;; amdgpu-corpus repo=ROCm/rocSPARSE kind=compiled arch=gfx942 opt=O3
	.text
	.amdgcn_target "amdgcn-amd-amdhsa--gfx942"
	.amdhsa_code_object_version 6
	.section	.text._ZN9rocsparseL19gebsrmvn_2xn_kernelILj128ELj1ELj4EfEEvi20rocsparse_direction_NS_24const_host_device_scalarIT2_EEPKiS6_PKS3_S8_S4_PS3_21rocsparse_index_base_b,"axG",@progbits,_ZN9rocsparseL19gebsrmvn_2xn_kernelILj128ELj1ELj4EfEEvi20rocsparse_direction_NS_24const_host_device_scalarIT2_EEPKiS6_PKS3_S8_S4_PS3_21rocsparse_index_base_b,comdat
	.globl	_ZN9rocsparseL19gebsrmvn_2xn_kernelILj128ELj1ELj4EfEEvi20rocsparse_direction_NS_24const_host_device_scalarIT2_EEPKiS6_PKS3_S8_S4_PS3_21rocsparse_index_base_b ; -- Begin function _ZN9rocsparseL19gebsrmvn_2xn_kernelILj128ELj1ELj4EfEEvi20rocsparse_direction_NS_24const_host_device_scalarIT2_EEPKiS6_PKS3_S8_S4_PS3_21rocsparse_index_base_b
	.p2align	8
	.type	_ZN9rocsparseL19gebsrmvn_2xn_kernelILj128ELj1ELj4EfEEvi20rocsparse_direction_NS_24const_host_device_scalarIT2_EEPKiS6_PKS3_S8_S4_PS3_21rocsparse_index_base_b,@function
_ZN9rocsparseL19gebsrmvn_2xn_kernelILj128ELj1ELj4EfEEvi20rocsparse_direction_NS_24const_host_device_scalarIT2_EEPKiS6_PKS3_S8_S4_PS3_21rocsparse_index_base_b: ; @_ZN9rocsparseL19gebsrmvn_2xn_kernelILj128ELj1ELj4EfEEvi20rocsparse_direction_NS_24const_host_device_scalarIT2_EEPKiS6_PKS3_S8_S4_PS3_21rocsparse_index_base_b
; %bb.0:
	s_load_dwordx2 s[16:17], s[0:1], 0x40
	s_load_dwordx2 s[14:15], s[0:1], 0x8
	;; [unrolled: 1-line block ×3, first 2 shown]
	s_waitcnt lgkmcnt(0)
	s_bitcmp1_b32 s17, 0
	s_cselect_b64 s[6:7], -1, 0
	s_xor_b64 s[4:5], s[6:7], -1
	s_and_b64 vcc, exec, s[6:7]
	s_cbranch_vccnz .LBB0_2
; %bb.1:
	s_load_dword s14, s[14:15], 0x0
.LBB0_2:
	s_andn2_b64 vcc, exec, s[4:5]
	s_cbranch_vccnz .LBB0_4
; %bb.3:
	s_load_dword s12, s[12:13], 0x0
.LBB0_4:
	s_waitcnt lgkmcnt(0)
	v_cmp_eq_f32_e64 s[4:5], s14, 0
	v_cmp_eq_f32_e64 s[6:7], s12, 1.0
	s_and_b64 s[4:5], s[4:5], s[6:7]
	s_and_b64 vcc, exec, s[4:5]
	s_cbranch_vccnz .LBB0_22
; %bb.5:
	s_load_dwordx2 s[18:19], s[0:1], 0x0
	v_lshrrev_b32_e32 v1, 2, v0
	v_lshl_or_b32 v2, s2, 5, v1
	s_waitcnt lgkmcnt(0)
	v_cmp_gt_i32_e32 vcc, s18, v2
	s_and_saveexec_b64 s[2:3], vcc
	s_cbranch_execz .LBB0_22
; %bb.6:
	s_load_dwordx8 s[4:11], s[0:1], 0x10
	v_ashrrev_i32_e32 v3, 31, v2
	s_cmp_lg_u32 s19, 0
	s_waitcnt lgkmcnt(0)
	v_lshl_add_u64 v[4:5], v[2:3], 2, s[4:5]
	global_load_dwordx2 v[4:5], v[4:5], off
	v_and_b32_e32 v3, 3, v0
	s_waitcnt vmcnt(0)
	v_subrev_u32_e32 v0, s16, v4
	v_subrev_u32_e32 v10, s16, v5
	v_add_u32_e32 v0, v0, v3
	v_cmp_lt_i32_e64 s[2:3], v0, v10
	s_cbranch_scc0 .LBB0_12
; %bb.7:
	v_mov_b32_e32 v5, 0
	v_mov_b32_e32 v4, v5
	s_and_saveexec_b64 s[4:5], s[2:3]
	s_cbranch_execz .LBB0_11
; %bb.8:
	v_mov_b32_e32 v7, 0
	v_lshlrev_b32_e32 v6, 1, v0
	s_mov_b64 s[18:19], 0
	v_mov_b32_e32 v8, v0
	v_mov_b32_e32 v4, v7
	v_mov_b32_e32 v5, v7
.LBB0_9:                                ; =>This Inner Loop Header: Depth=1
	v_ashrrev_i32_e32 v9, 31, v8
	v_lshl_add_u64 v[12:13], v[8:9], 2, s[6:7]
	global_load_dword v1, v[12:13], off
	v_mov_b32_e32 v15, v7
	v_lshl_add_u64 v[12:13], v[6:7], 2, s[8:9]
	global_load_dwordx2 v[12:13], v[12:13], off
	v_add_u32_e32 v8, 4, v8
	v_cmp_ge_i32_e32 vcc, v8, v10
	v_add_u32_e32 v6, 8, v6
	s_or_b64 s[18:19], vcc, s[18:19]
	s_waitcnt vmcnt(1)
	v_subrev_u32_e32 v14, s16, v1
	v_lshl_add_u64 v[14:15], v[14:15], 2, s[10:11]
	global_load_dword v14, v[14:15], off
	s_waitcnt vmcnt(0)
	v_pk_fma_f32 v[4:5], v[12:13], v[14:15], v[4:5] op_sel_hi:[1,0,1]
	s_andn2_b64 exec, exec, s[18:19]
	s_cbranch_execnz .LBB0_9
; %bb.10:
	s_or_b64 exec, exec, s[18:19]
.LBB0_11:
	s_or_b64 exec, exec, s[4:5]
	s_cbranch_execz .LBB0_13
	s_branch .LBB0_18
.LBB0_12:
                                        ; implicit-def: $vgpr5
.LBB0_13:
	v_mov_b32_e32 v5, 0
	v_mov_b32_e32 v4, v5
	s_and_saveexec_b64 s[4:5], s[2:3]
	s_cbranch_execz .LBB0_17
; %bb.14:
	v_mov_b32_e32 v7, 0
	v_lshlrev_b32_e32 v6, 1, v0
	s_mov_b64 s[2:3], 0
	v_mov_b32_e32 v4, v7
	v_mov_b32_e32 v5, v7
.LBB0_15:                               ; =>This Inner Loop Header: Depth=1
	v_ashrrev_i32_e32 v1, 31, v0
	v_lshl_add_u64 v[8:9], v[0:1], 2, s[6:7]
	global_load_dword v1, v[8:9], off
	v_mov_b32_e32 v13, v7
	v_lshl_add_u64 v[8:9], v[6:7], 2, s[8:9]
	global_load_dwordx2 v[8:9], v[8:9], off
	v_add_u32_e32 v0, 4, v0
	v_cmp_ge_i32_e32 vcc, v0, v10
	v_add_u32_e32 v6, 8, v6
	s_or_b64 s[2:3], vcc, s[2:3]
	s_waitcnt vmcnt(1)
	v_subrev_u32_e32 v12, s16, v1
	v_lshl_add_u64 v[12:13], v[12:13], 2, s[10:11]
	global_load_dword v12, v[12:13], off
	s_waitcnt vmcnt(0)
	v_pk_fma_f32 v[4:5], v[8:9], v[12:13], v[4:5] op_sel_hi:[1,0,1]
	s_andn2_b64 exec, exec, s[2:3]
	s_cbranch_execnz .LBB0_15
; %bb.16:
	s_or_b64 exec, exec, s[2:3]
.LBB0_17:
	s_or_b64 exec, exec, s[4:5]
.LBB0_18:
	v_mov_b32_dpp v0, v4 row_shr:1 row_mask:0xf bank_mask:0xf
	v_mov_b32_dpp v1, v5 row_shr:1 row_mask:0xf bank_mask:0xf
	v_pk_add_f32 v[0:1], v[4:5], v[0:1]
	v_cmp_eq_u32_e32 vcc, 3, v3
	s_nop 0
	v_mov_b32_dpp v4, v0 row_shr:2 row_mask:0xf bank_mask:0xf
	v_mov_b32_dpp v5, v1 row_shr:2 row_mask:0xf bank_mask:0xf
	s_and_b64 exec, exec, vcc
	s_cbranch_execz .LBB0_22
; %bb.19:
	s_load_dwordx2 s[0:1], s[0:1], 0x38
	v_cmp_eq_f32_e64 s[2:3], s12, 0
	v_pk_add_f32 v[0:1], v[0:1], v[4:5]
	s_and_b64 vcc, exec, s[2:3]
	v_lshlrev_b32_e32 v2, 1, v2
	s_cbranch_vccz .LBB0_23
; %bb.20:
	v_ashrrev_i32_e32 v3, 31, v2
	s_waitcnt lgkmcnt(0)
	v_lshl_add_u64 v[4:5], v[2:3], 2, s[0:1]
	v_pk_mul_f32 v[6:7], s[14:15], v[0:1] op_sel_hi:[0,1]
	global_store_dwordx2 v[4:5], v[6:7], off
	s_cbranch_execnz .LBB0_22
.LBB0_21:
	v_ashrrev_i32_e32 v3, 31, v2
	s_waitcnt lgkmcnt(0)
	v_lshl_add_u64 v[2:3], v[2:3], 2, s[0:1]
	global_load_dwordx2 v[4:5], v[2:3], off
	v_pk_mul_f32 v[0:1], s[14:15], v[0:1] op_sel_hi:[0,1]
	s_waitcnt vmcnt(0)
	v_pk_fma_f32 v[0:1], s[12:13], v[4:5], v[0:1] op_sel_hi:[0,1,1]
	global_store_dwordx2 v[2:3], v[0:1], off
.LBB0_22:
	s_endpgm
.LBB0_23:
	s_branch .LBB0_21
	.section	.rodata,"a",@progbits
	.p2align	6, 0x0
	.amdhsa_kernel _ZN9rocsparseL19gebsrmvn_2xn_kernelILj128ELj1ELj4EfEEvi20rocsparse_direction_NS_24const_host_device_scalarIT2_EEPKiS6_PKS3_S8_S4_PS3_21rocsparse_index_base_b
		.amdhsa_group_segment_fixed_size 0
		.amdhsa_private_segment_fixed_size 0
		.amdhsa_kernarg_size 72
		.amdhsa_user_sgpr_count 2
		.amdhsa_user_sgpr_dispatch_ptr 0
		.amdhsa_user_sgpr_queue_ptr 0
		.amdhsa_user_sgpr_kernarg_segment_ptr 1
		.amdhsa_user_sgpr_dispatch_id 0
		.amdhsa_user_sgpr_kernarg_preload_length 0
		.amdhsa_user_sgpr_kernarg_preload_offset 0
		.amdhsa_user_sgpr_private_segment_size 0
		.amdhsa_uses_dynamic_stack 0
		.amdhsa_enable_private_segment 0
		.amdhsa_system_sgpr_workgroup_id_x 1
		.amdhsa_system_sgpr_workgroup_id_y 0
		.amdhsa_system_sgpr_workgroup_id_z 0
		.amdhsa_system_sgpr_workgroup_info 0
		.amdhsa_system_vgpr_workitem_id 0
		.amdhsa_next_free_vgpr 16
		.amdhsa_next_free_sgpr 20
		.amdhsa_accum_offset 16
		.amdhsa_reserve_vcc 1
		.amdhsa_float_round_mode_32 0
		.amdhsa_float_round_mode_16_64 0
		.amdhsa_float_denorm_mode_32 3
		.amdhsa_float_denorm_mode_16_64 3
		.amdhsa_dx10_clamp 1
		.amdhsa_ieee_mode 1
		.amdhsa_fp16_overflow 0
		.amdhsa_tg_split 0
		.amdhsa_exception_fp_ieee_invalid_op 0
		.amdhsa_exception_fp_denorm_src 0
		.amdhsa_exception_fp_ieee_div_zero 0
		.amdhsa_exception_fp_ieee_overflow 0
		.amdhsa_exception_fp_ieee_underflow 0
		.amdhsa_exception_fp_ieee_inexact 0
		.amdhsa_exception_int_div_zero 0
	.end_amdhsa_kernel
	.section	.text._ZN9rocsparseL19gebsrmvn_2xn_kernelILj128ELj1ELj4EfEEvi20rocsparse_direction_NS_24const_host_device_scalarIT2_EEPKiS6_PKS3_S8_S4_PS3_21rocsparse_index_base_b,"axG",@progbits,_ZN9rocsparseL19gebsrmvn_2xn_kernelILj128ELj1ELj4EfEEvi20rocsparse_direction_NS_24const_host_device_scalarIT2_EEPKiS6_PKS3_S8_S4_PS3_21rocsparse_index_base_b,comdat
.Lfunc_end0:
	.size	_ZN9rocsparseL19gebsrmvn_2xn_kernelILj128ELj1ELj4EfEEvi20rocsparse_direction_NS_24const_host_device_scalarIT2_EEPKiS6_PKS3_S8_S4_PS3_21rocsparse_index_base_b, .Lfunc_end0-_ZN9rocsparseL19gebsrmvn_2xn_kernelILj128ELj1ELj4EfEEvi20rocsparse_direction_NS_24const_host_device_scalarIT2_EEPKiS6_PKS3_S8_S4_PS3_21rocsparse_index_base_b
                                        ; -- End function
	.section	.AMDGPU.csdata,"",@progbits
; Kernel info:
; codeLenInByte = 696
; NumSgprs: 26
; NumVgprs: 16
; NumAgprs: 0
; TotalNumVgprs: 16
; ScratchSize: 0
; MemoryBound: 0
; FloatMode: 240
; IeeeMode: 1
; LDSByteSize: 0 bytes/workgroup (compile time only)
; SGPRBlocks: 3
; VGPRBlocks: 1
; NumSGPRsForWavesPerEU: 26
; NumVGPRsForWavesPerEU: 16
; AccumOffset: 16
; Occupancy: 8
; WaveLimiterHint : 1
; COMPUTE_PGM_RSRC2:SCRATCH_EN: 0
; COMPUTE_PGM_RSRC2:USER_SGPR: 2
; COMPUTE_PGM_RSRC2:TRAP_HANDLER: 0
; COMPUTE_PGM_RSRC2:TGID_X_EN: 1
; COMPUTE_PGM_RSRC2:TGID_Y_EN: 0
; COMPUTE_PGM_RSRC2:TGID_Z_EN: 0
; COMPUTE_PGM_RSRC2:TIDIG_COMP_CNT: 0
; COMPUTE_PGM_RSRC3_GFX90A:ACCUM_OFFSET: 3
; COMPUTE_PGM_RSRC3_GFX90A:TG_SPLIT: 0
	.section	.text._ZN9rocsparseL19gebsrmvn_2xn_kernelILj128ELj1ELj8EfEEvi20rocsparse_direction_NS_24const_host_device_scalarIT2_EEPKiS6_PKS3_S8_S4_PS3_21rocsparse_index_base_b,"axG",@progbits,_ZN9rocsparseL19gebsrmvn_2xn_kernelILj128ELj1ELj8EfEEvi20rocsparse_direction_NS_24const_host_device_scalarIT2_EEPKiS6_PKS3_S8_S4_PS3_21rocsparse_index_base_b,comdat
	.globl	_ZN9rocsparseL19gebsrmvn_2xn_kernelILj128ELj1ELj8EfEEvi20rocsparse_direction_NS_24const_host_device_scalarIT2_EEPKiS6_PKS3_S8_S4_PS3_21rocsparse_index_base_b ; -- Begin function _ZN9rocsparseL19gebsrmvn_2xn_kernelILj128ELj1ELj8EfEEvi20rocsparse_direction_NS_24const_host_device_scalarIT2_EEPKiS6_PKS3_S8_S4_PS3_21rocsparse_index_base_b
	.p2align	8
	.type	_ZN9rocsparseL19gebsrmvn_2xn_kernelILj128ELj1ELj8EfEEvi20rocsparse_direction_NS_24const_host_device_scalarIT2_EEPKiS6_PKS3_S8_S4_PS3_21rocsparse_index_base_b,@function
_ZN9rocsparseL19gebsrmvn_2xn_kernelILj128ELj1ELj8EfEEvi20rocsparse_direction_NS_24const_host_device_scalarIT2_EEPKiS6_PKS3_S8_S4_PS3_21rocsparse_index_base_b: ; @_ZN9rocsparseL19gebsrmvn_2xn_kernelILj128ELj1ELj8EfEEvi20rocsparse_direction_NS_24const_host_device_scalarIT2_EEPKiS6_PKS3_S8_S4_PS3_21rocsparse_index_base_b
; %bb.0:
	s_load_dwordx2 s[16:17], s[0:1], 0x40
	s_load_dwordx2 s[14:15], s[0:1], 0x8
	;; [unrolled: 1-line block ×3, first 2 shown]
	s_waitcnt lgkmcnt(0)
	s_bitcmp1_b32 s17, 0
	s_cselect_b64 s[6:7], -1, 0
	s_xor_b64 s[4:5], s[6:7], -1
	s_and_b64 vcc, exec, s[6:7]
	s_cbranch_vccnz .LBB1_2
; %bb.1:
	s_load_dword s14, s[14:15], 0x0
.LBB1_2:
	s_andn2_b64 vcc, exec, s[4:5]
	s_cbranch_vccnz .LBB1_4
; %bb.3:
	s_load_dword s12, s[12:13], 0x0
.LBB1_4:
	s_waitcnt lgkmcnt(0)
	v_cmp_eq_f32_e64 s[4:5], s14, 0
	v_cmp_eq_f32_e64 s[6:7], s12, 1.0
	s_and_b64 s[4:5], s[4:5], s[6:7]
	s_and_b64 vcc, exec, s[4:5]
	s_cbranch_vccnz .LBB1_22
; %bb.5:
	s_load_dwordx2 s[18:19], s[0:1], 0x0
	v_lshrrev_b32_e32 v1, 3, v0
	v_lshl_or_b32 v2, s2, 4, v1
	s_waitcnt lgkmcnt(0)
	v_cmp_gt_i32_e32 vcc, s18, v2
	s_and_saveexec_b64 s[2:3], vcc
	s_cbranch_execz .LBB1_22
; %bb.6:
	s_load_dwordx8 s[4:11], s[0:1], 0x10
	v_ashrrev_i32_e32 v3, 31, v2
	s_cmp_lg_u32 s19, 0
	s_waitcnt lgkmcnt(0)
	v_lshl_add_u64 v[4:5], v[2:3], 2, s[4:5]
	global_load_dwordx2 v[4:5], v[4:5], off
	v_and_b32_e32 v3, 7, v0
	s_waitcnt vmcnt(0)
	v_subrev_u32_e32 v0, s16, v4
	v_subrev_u32_e32 v10, s16, v5
	v_add_u32_e32 v0, v0, v3
	v_cmp_lt_i32_e64 s[2:3], v0, v10
	s_cbranch_scc0 .LBB1_12
; %bb.7:
	v_mov_b32_e32 v5, 0
	v_mov_b32_e32 v4, v5
	s_and_saveexec_b64 s[4:5], s[2:3]
	s_cbranch_execz .LBB1_11
; %bb.8:
	v_mov_b32_e32 v7, 0
	v_lshlrev_b32_e32 v6, 1, v0
	s_mov_b64 s[18:19], 0
	v_mov_b32_e32 v8, v0
	v_mov_b32_e32 v4, v7
	;; [unrolled: 1-line block ×3, first 2 shown]
.LBB1_9:                                ; =>This Inner Loop Header: Depth=1
	v_ashrrev_i32_e32 v9, 31, v8
	v_lshl_add_u64 v[12:13], v[8:9], 2, s[6:7]
	global_load_dword v1, v[12:13], off
	v_mov_b32_e32 v15, v7
	v_lshl_add_u64 v[12:13], v[6:7], 2, s[8:9]
	global_load_dwordx2 v[12:13], v[12:13], off
	v_add_u32_e32 v8, 8, v8
	v_cmp_ge_i32_e32 vcc, v8, v10
	v_add_u32_e32 v6, 16, v6
	s_or_b64 s[18:19], vcc, s[18:19]
	s_waitcnt vmcnt(1)
	v_subrev_u32_e32 v14, s16, v1
	v_lshl_add_u64 v[14:15], v[14:15], 2, s[10:11]
	global_load_dword v14, v[14:15], off
	s_waitcnt vmcnt(0)
	v_pk_fma_f32 v[4:5], v[12:13], v[14:15], v[4:5] op_sel_hi:[1,0,1]
	s_andn2_b64 exec, exec, s[18:19]
	s_cbranch_execnz .LBB1_9
; %bb.10:
	s_or_b64 exec, exec, s[18:19]
.LBB1_11:
	s_or_b64 exec, exec, s[4:5]
	s_cbranch_execz .LBB1_13
	s_branch .LBB1_18
.LBB1_12:
                                        ; implicit-def: $vgpr5
.LBB1_13:
	v_mov_b32_e32 v5, 0
	v_mov_b32_e32 v4, v5
	s_and_saveexec_b64 s[4:5], s[2:3]
	s_cbranch_execz .LBB1_17
; %bb.14:
	v_mov_b32_e32 v7, 0
	v_lshlrev_b32_e32 v6, 1, v0
	s_mov_b64 s[2:3], 0
	v_mov_b32_e32 v4, v7
	v_mov_b32_e32 v5, v7
.LBB1_15:                               ; =>This Inner Loop Header: Depth=1
	v_ashrrev_i32_e32 v1, 31, v0
	v_lshl_add_u64 v[8:9], v[0:1], 2, s[6:7]
	global_load_dword v1, v[8:9], off
	v_mov_b32_e32 v13, v7
	v_lshl_add_u64 v[8:9], v[6:7], 2, s[8:9]
	global_load_dwordx2 v[8:9], v[8:9], off
	v_add_u32_e32 v0, 8, v0
	v_cmp_ge_i32_e32 vcc, v0, v10
	v_add_u32_e32 v6, 16, v6
	s_or_b64 s[2:3], vcc, s[2:3]
	s_waitcnt vmcnt(1)
	v_subrev_u32_e32 v12, s16, v1
	v_lshl_add_u64 v[12:13], v[12:13], 2, s[10:11]
	global_load_dword v12, v[12:13], off
	s_waitcnt vmcnt(0)
	v_pk_fma_f32 v[4:5], v[8:9], v[12:13], v[4:5] op_sel_hi:[1,0,1]
	s_andn2_b64 exec, exec, s[2:3]
	s_cbranch_execnz .LBB1_15
; %bb.16:
	s_or_b64 exec, exec, s[2:3]
.LBB1_17:
	s_or_b64 exec, exec, s[4:5]
.LBB1_18:
	v_mov_b32_dpp v0, v4 row_shr:1 row_mask:0xf bank_mask:0xf
	v_mov_b32_dpp v1, v5 row_shr:1 row_mask:0xf bank_mask:0xf
	v_pk_add_f32 v[0:1], v[4:5], v[0:1]
	v_cmp_eq_u32_e32 vcc, 7, v3
	s_nop 0
	v_mov_b32_dpp v4, v0 row_shr:2 row_mask:0xf bank_mask:0xf
	v_mov_b32_dpp v5, v1 row_shr:2 row_mask:0xf bank_mask:0xf
	v_pk_add_f32 v[0:1], v[0:1], v[4:5]
	s_nop 1
	v_mov_b32_dpp v4, v0 row_shr:4 row_mask:0xf bank_mask:0xe
	v_mov_b32_dpp v5, v1 row_shr:4 row_mask:0xf bank_mask:0xe
	s_and_b64 exec, exec, vcc
	s_cbranch_execz .LBB1_22
; %bb.19:
	s_load_dwordx2 s[0:1], s[0:1], 0x38
	v_cmp_eq_f32_e64 s[2:3], s12, 0
	v_pk_add_f32 v[0:1], v[0:1], v[4:5]
	s_and_b64 vcc, exec, s[2:3]
	v_lshlrev_b32_e32 v2, 1, v2
	s_cbranch_vccz .LBB1_23
; %bb.20:
	v_ashrrev_i32_e32 v3, 31, v2
	s_waitcnt lgkmcnt(0)
	v_lshl_add_u64 v[4:5], v[2:3], 2, s[0:1]
	v_pk_mul_f32 v[6:7], s[14:15], v[0:1] op_sel_hi:[0,1]
	global_store_dwordx2 v[4:5], v[6:7], off
	s_cbranch_execnz .LBB1_22
.LBB1_21:
	v_ashrrev_i32_e32 v3, 31, v2
	s_waitcnt lgkmcnt(0)
	v_lshl_add_u64 v[2:3], v[2:3], 2, s[0:1]
	global_load_dwordx2 v[4:5], v[2:3], off
	v_pk_mul_f32 v[0:1], s[14:15], v[0:1] op_sel_hi:[0,1]
	s_waitcnt vmcnt(0)
	v_pk_fma_f32 v[0:1], s[12:13], v[4:5], v[0:1] op_sel_hi:[0,1,1]
	global_store_dwordx2 v[2:3], v[0:1], off
.LBB1_22:
	s_endpgm
.LBB1_23:
	s_branch .LBB1_21
	.section	.rodata,"a",@progbits
	.p2align	6, 0x0
	.amdhsa_kernel _ZN9rocsparseL19gebsrmvn_2xn_kernelILj128ELj1ELj8EfEEvi20rocsparse_direction_NS_24const_host_device_scalarIT2_EEPKiS6_PKS3_S8_S4_PS3_21rocsparse_index_base_b
		.amdhsa_group_segment_fixed_size 0
		.amdhsa_private_segment_fixed_size 0
		.amdhsa_kernarg_size 72
		.amdhsa_user_sgpr_count 2
		.amdhsa_user_sgpr_dispatch_ptr 0
		.amdhsa_user_sgpr_queue_ptr 0
		.amdhsa_user_sgpr_kernarg_segment_ptr 1
		.amdhsa_user_sgpr_dispatch_id 0
		.amdhsa_user_sgpr_kernarg_preload_length 0
		.amdhsa_user_sgpr_kernarg_preload_offset 0
		.amdhsa_user_sgpr_private_segment_size 0
		.amdhsa_uses_dynamic_stack 0
		.amdhsa_enable_private_segment 0
		.amdhsa_system_sgpr_workgroup_id_x 1
		.amdhsa_system_sgpr_workgroup_id_y 0
		.amdhsa_system_sgpr_workgroup_id_z 0
		.amdhsa_system_sgpr_workgroup_info 0
		.amdhsa_system_vgpr_workitem_id 0
		.amdhsa_next_free_vgpr 16
		.amdhsa_next_free_sgpr 20
		.amdhsa_accum_offset 16
		.amdhsa_reserve_vcc 1
		.amdhsa_float_round_mode_32 0
		.amdhsa_float_round_mode_16_64 0
		.amdhsa_float_denorm_mode_32 3
		.amdhsa_float_denorm_mode_16_64 3
		.amdhsa_dx10_clamp 1
		.amdhsa_ieee_mode 1
		.amdhsa_fp16_overflow 0
		.amdhsa_tg_split 0
		.amdhsa_exception_fp_ieee_invalid_op 0
		.amdhsa_exception_fp_denorm_src 0
		.amdhsa_exception_fp_ieee_div_zero 0
		.amdhsa_exception_fp_ieee_overflow 0
		.amdhsa_exception_fp_ieee_underflow 0
		.amdhsa_exception_fp_ieee_inexact 0
		.amdhsa_exception_int_div_zero 0
	.end_amdhsa_kernel
	.section	.text._ZN9rocsparseL19gebsrmvn_2xn_kernelILj128ELj1ELj8EfEEvi20rocsparse_direction_NS_24const_host_device_scalarIT2_EEPKiS6_PKS3_S8_S4_PS3_21rocsparse_index_base_b,"axG",@progbits,_ZN9rocsparseL19gebsrmvn_2xn_kernelILj128ELj1ELj8EfEEvi20rocsparse_direction_NS_24const_host_device_scalarIT2_EEPKiS6_PKS3_S8_S4_PS3_21rocsparse_index_base_b,comdat
.Lfunc_end1:
	.size	_ZN9rocsparseL19gebsrmvn_2xn_kernelILj128ELj1ELj8EfEEvi20rocsparse_direction_NS_24const_host_device_scalarIT2_EEPKiS6_PKS3_S8_S4_PS3_21rocsparse_index_base_b, .Lfunc_end1-_ZN9rocsparseL19gebsrmvn_2xn_kernelILj128ELj1ELj8EfEEvi20rocsparse_direction_NS_24const_host_device_scalarIT2_EEPKiS6_PKS3_S8_S4_PS3_21rocsparse_index_base_b
                                        ; -- End function
	.section	.AMDGPU.csdata,"",@progbits
; Kernel info:
; codeLenInByte = 724
; NumSgprs: 26
; NumVgprs: 16
; NumAgprs: 0
; TotalNumVgprs: 16
; ScratchSize: 0
; MemoryBound: 0
; FloatMode: 240
; IeeeMode: 1
; LDSByteSize: 0 bytes/workgroup (compile time only)
; SGPRBlocks: 3
; VGPRBlocks: 1
; NumSGPRsForWavesPerEU: 26
; NumVGPRsForWavesPerEU: 16
; AccumOffset: 16
; Occupancy: 8
; WaveLimiterHint : 1
; COMPUTE_PGM_RSRC2:SCRATCH_EN: 0
; COMPUTE_PGM_RSRC2:USER_SGPR: 2
; COMPUTE_PGM_RSRC2:TRAP_HANDLER: 0
; COMPUTE_PGM_RSRC2:TGID_X_EN: 1
; COMPUTE_PGM_RSRC2:TGID_Y_EN: 0
; COMPUTE_PGM_RSRC2:TGID_Z_EN: 0
; COMPUTE_PGM_RSRC2:TIDIG_COMP_CNT: 0
; COMPUTE_PGM_RSRC3_GFX90A:ACCUM_OFFSET: 3
; COMPUTE_PGM_RSRC3_GFX90A:TG_SPLIT: 0
	.section	.text._ZN9rocsparseL19gebsrmvn_2xn_kernelILj128ELj1ELj16EfEEvi20rocsparse_direction_NS_24const_host_device_scalarIT2_EEPKiS6_PKS3_S8_S4_PS3_21rocsparse_index_base_b,"axG",@progbits,_ZN9rocsparseL19gebsrmvn_2xn_kernelILj128ELj1ELj16EfEEvi20rocsparse_direction_NS_24const_host_device_scalarIT2_EEPKiS6_PKS3_S8_S4_PS3_21rocsparse_index_base_b,comdat
	.globl	_ZN9rocsparseL19gebsrmvn_2xn_kernelILj128ELj1ELj16EfEEvi20rocsparse_direction_NS_24const_host_device_scalarIT2_EEPKiS6_PKS3_S8_S4_PS3_21rocsparse_index_base_b ; -- Begin function _ZN9rocsparseL19gebsrmvn_2xn_kernelILj128ELj1ELj16EfEEvi20rocsparse_direction_NS_24const_host_device_scalarIT2_EEPKiS6_PKS3_S8_S4_PS3_21rocsparse_index_base_b
	.p2align	8
	.type	_ZN9rocsparseL19gebsrmvn_2xn_kernelILj128ELj1ELj16EfEEvi20rocsparse_direction_NS_24const_host_device_scalarIT2_EEPKiS6_PKS3_S8_S4_PS3_21rocsparse_index_base_b,@function
_ZN9rocsparseL19gebsrmvn_2xn_kernelILj128ELj1ELj16EfEEvi20rocsparse_direction_NS_24const_host_device_scalarIT2_EEPKiS6_PKS3_S8_S4_PS3_21rocsparse_index_base_b: ; @_ZN9rocsparseL19gebsrmvn_2xn_kernelILj128ELj1ELj16EfEEvi20rocsparse_direction_NS_24const_host_device_scalarIT2_EEPKiS6_PKS3_S8_S4_PS3_21rocsparse_index_base_b
; %bb.0:
	s_load_dwordx2 s[16:17], s[0:1], 0x40
	s_load_dwordx2 s[14:15], s[0:1], 0x8
	;; [unrolled: 1-line block ×3, first 2 shown]
	s_waitcnt lgkmcnt(0)
	s_bitcmp1_b32 s17, 0
	s_cselect_b64 s[6:7], -1, 0
	s_xor_b64 s[4:5], s[6:7], -1
	s_and_b64 vcc, exec, s[6:7]
	s_cbranch_vccnz .LBB2_2
; %bb.1:
	s_load_dword s14, s[14:15], 0x0
.LBB2_2:
	s_andn2_b64 vcc, exec, s[4:5]
	s_cbranch_vccnz .LBB2_4
; %bb.3:
	s_load_dword s12, s[12:13], 0x0
.LBB2_4:
	s_waitcnt lgkmcnt(0)
	v_cmp_eq_f32_e64 s[4:5], s14, 0
	v_cmp_eq_f32_e64 s[6:7], s12, 1.0
	s_and_b64 s[4:5], s[4:5], s[6:7]
	s_and_b64 vcc, exec, s[4:5]
	s_cbranch_vccnz .LBB2_22
; %bb.5:
	s_load_dwordx2 s[18:19], s[0:1], 0x0
	v_lshrrev_b32_e32 v1, 4, v0
	v_lshl_or_b32 v2, s2, 3, v1
	s_waitcnt lgkmcnt(0)
	v_cmp_gt_i32_e32 vcc, s18, v2
	s_and_saveexec_b64 s[2:3], vcc
	s_cbranch_execz .LBB2_22
; %bb.6:
	s_load_dwordx8 s[4:11], s[0:1], 0x10
	v_ashrrev_i32_e32 v3, 31, v2
	s_cmp_lg_u32 s19, 0
	s_waitcnt lgkmcnt(0)
	v_lshl_add_u64 v[4:5], v[2:3], 2, s[4:5]
	global_load_dwordx2 v[4:5], v[4:5], off
	v_and_b32_e32 v3, 15, v0
	s_waitcnt vmcnt(0)
	v_subrev_u32_e32 v0, s16, v4
	v_subrev_u32_e32 v10, s16, v5
	v_add_u32_e32 v0, v0, v3
	v_cmp_lt_i32_e64 s[2:3], v0, v10
	s_cbranch_scc0 .LBB2_12
; %bb.7:
	v_mov_b32_e32 v5, 0
	v_mov_b32_e32 v4, v5
	s_and_saveexec_b64 s[4:5], s[2:3]
	s_cbranch_execz .LBB2_11
; %bb.8:
	v_mov_b32_e32 v7, 0
	v_lshlrev_b32_e32 v6, 1, v0
	s_mov_b64 s[18:19], 0
	v_mov_b32_e32 v8, v0
	v_mov_b32_e32 v4, v7
	;; [unrolled: 1-line block ×3, first 2 shown]
.LBB2_9:                                ; =>This Inner Loop Header: Depth=1
	v_ashrrev_i32_e32 v9, 31, v8
	v_lshl_add_u64 v[12:13], v[8:9], 2, s[6:7]
	global_load_dword v1, v[12:13], off
	v_mov_b32_e32 v15, v7
	v_lshl_add_u64 v[12:13], v[6:7], 2, s[8:9]
	global_load_dwordx2 v[12:13], v[12:13], off
	v_add_u32_e32 v8, 16, v8
	v_cmp_ge_i32_e32 vcc, v8, v10
	v_add_u32_e32 v6, 32, v6
	s_or_b64 s[18:19], vcc, s[18:19]
	s_waitcnt vmcnt(1)
	v_subrev_u32_e32 v14, s16, v1
	v_lshl_add_u64 v[14:15], v[14:15], 2, s[10:11]
	global_load_dword v14, v[14:15], off
	s_waitcnt vmcnt(0)
	v_pk_fma_f32 v[4:5], v[12:13], v[14:15], v[4:5] op_sel_hi:[1,0,1]
	s_andn2_b64 exec, exec, s[18:19]
	s_cbranch_execnz .LBB2_9
; %bb.10:
	s_or_b64 exec, exec, s[18:19]
.LBB2_11:
	s_or_b64 exec, exec, s[4:5]
	s_cbranch_execz .LBB2_13
	s_branch .LBB2_18
.LBB2_12:
                                        ; implicit-def: $vgpr5
.LBB2_13:
	v_mov_b32_e32 v5, 0
	v_mov_b32_e32 v4, v5
	s_and_saveexec_b64 s[4:5], s[2:3]
	s_cbranch_execz .LBB2_17
; %bb.14:
	v_mov_b32_e32 v7, 0
	v_lshlrev_b32_e32 v6, 1, v0
	s_mov_b64 s[2:3], 0
	v_mov_b32_e32 v4, v7
	v_mov_b32_e32 v5, v7
.LBB2_15:                               ; =>This Inner Loop Header: Depth=1
	v_ashrrev_i32_e32 v1, 31, v0
	v_lshl_add_u64 v[8:9], v[0:1], 2, s[6:7]
	global_load_dword v1, v[8:9], off
	v_mov_b32_e32 v13, v7
	v_lshl_add_u64 v[8:9], v[6:7], 2, s[8:9]
	global_load_dwordx2 v[8:9], v[8:9], off
	v_add_u32_e32 v0, 16, v0
	v_cmp_ge_i32_e32 vcc, v0, v10
	v_add_u32_e32 v6, 32, v6
	s_or_b64 s[2:3], vcc, s[2:3]
	s_waitcnt vmcnt(1)
	v_subrev_u32_e32 v12, s16, v1
	v_lshl_add_u64 v[12:13], v[12:13], 2, s[10:11]
	global_load_dword v12, v[12:13], off
	s_waitcnt vmcnt(0)
	v_pk_fma_f32 v[4:5], v[8:9], v[12:13], v[4:5] op_sel_hi:[1,0,1]
	s_andn2_b64 exec, exec, s[2:3]
	s_cbranch_execnz .LBB2_15
; %bb.16:
	s_or_b64 exec, exec, s[2:3]
.LBB2_17:
	s_or_b64 exec, exec, s[4:5]
.LBB2_18:
	v_mov_b32_dpp v0, v4 row_shr:1 row_mask:0xf bank_mask:0xf
	v_mov_b32_dpp v1, v5 row_shr:1 row_mask:0xf bank_mask:0xf
	v_pk_add_f32 v[0:1], v[4:5], v[0:1]
	v_cmp_eq_u32_e32 vcc, 15, v3
	s_nop 0
	v_mov_b32_dpp v4, v0 row_shr:2 row_mask:0xf bank_mask:0xf
	v_mov_b32_dpp v5, v1 row_shr:2 row_mask:0xf bank_mask:0xf
	v_pk_add_f32 v[0:1], v[0:1], v[4:5]
	s_nop 1
	v_mov_b32_dpp v4, v0 row_shr:4 row_mask:0xf bank_mask:0xe
	v_mov_b32_dpp v5, v1 row_shr:4 row_mask:0xf bank_mask:0xe
	v_pk_add_f32 v[0:1], v[0:1], v[4:5]
	s_nop 1
	v_mov_b32_dpp v4, v0 row_shr:8 row_mask:0xf bank_mask:0xc
	v_mov_b32_dpp v5, v1 row_shr:8 row_mask:0xf bank_mask:0xc
	s_and_b64 exec, exec, vcc
	s_cbranch_execz .LBB2_22
; %bb.19:
	s_load_dwordx2 s[0:1], s[0:1], 0x38
	v_cmp_eq_f32_e64 s[2:3], s12, 0
	v_pk_add_f32 v[0:1], v[0:1], v[4:5]
	s_and_b64 vcc, exec, s[2:3]
	v_lshlrev_b32_e32 v2, 1, v2
	s_cbranch_vccz .LBB2_23
; %bb.20:
	v_ashrrev_i32_e32 v3, 31, v2
	s_waitcnt lgkmcnt(0)
	v_lshl_add_u64 v[4:5], v[2:3], 2, s[0:1]
	v_pk_mul_f32 v[6:7], s[14:15], v[0:1] op_sel_hi:[0,1]
	global_store_dwordx2 v[4:5], v[6:7], off
	s_cbranch_execnz .LBB2_22
.LBB2_21:
	v_ashrrev_i32_e32 v3, 31, v2
	s_waitcnt lgkmcnt(0)
	v_lshl_add_u64 v[2:3], v[2:3], 2, s[0:1]
	global_load_dwordx2 v[4:5], v[2:3], off
	v_pk_mul_f32 v[0:1], s[14:15], v[0:1] op_sel_hi:[0,1]
	s_waitcnt vmcnt(0)
	v_pk_fma_f32 v[0:1], s[12:13], v[4:5], v[0:1] op_sel_hi:[0,1,1]
	global_store_dwordx2 v[2:3], v[0:1], off
.LBB2_22:
	s_endpgm
.LBB2_23:
	s_branch .LBB2_21
	.section	.rodata,"a",@progbits
	.p2align	6, 0x0
	.amdhsa_kernel _ZN9rocsparseL19gebsrmvn_2xn_kernelILj128ELj1ELj16EfEEvi20rocsparse_direction_NS_24const_host_device_scalarIT2_EEPKiS6_PKS3_S8_S4_PS3_21rocsparse_index_base_b
		.amdhsa_group_segment_fixed_size 0
		.amdhsa_private_segment_fixed_size 0
		.amdhsa_kernarg_size 72
		.amdhsa_user_sgpr_count 2
		.amdhsa_user_sgpr_dispatch_ptr 0
		.amdhsa_user_sgpr_queue_ptr 0
		.amdhsa_user_sgpr_kernarg_segment_ptr 1
		.amdhsa_user_sgpr_dispatch_id 0
		.amdhsa_user_sgpr_kernarg_preload_length 0
		.amdhsa_user_sgpr_kernarg_preload_offset 0
		.amdhsa_user_sgpr_private_segment_size 0
		.amdhsa_uses_dynamic_stack 0
		.amdhsa_enable_private_segment 0
		.amdhsa_system_sgpr_workgroup_id_x 1
		.amdhsa_system_sgpr_workgroup_id_y 0
		.amdhsa_system_sgpr_workgroup_id_z 0
		.amdhsa_system_sgpr_workgroup_info 0
		.amdhsa_system_vgpr_workitem_id 0
		.amdhsa_next_free_vgpr 16
		.amdhsa_next_free_sgpr 20
		.amdhsa_accum_offset 16
		.amdhsa_reserve_vcc 1
		.amdhsa_float_round_mode_32 0
		.amdhsa_float_round_mode_16_64 0
		.amdhsa_float_denorm_mode_32 3
		.amdhsa_float_denorm_mode_16_64 3
		.amdhsa_dx10_clamp 1
		.amdhsa_ieee_mode 1
		.amdhsa_fp16_overflow 0
		.amdhsa_tg_split 0
		.amdhsa_exception_fp_ieee_invalid_op 0
		.amdhsa_exception_fp_denorm_src 0
		.amdhsa_exception_fp_ieee_div_zero 0
		.amdhsa_exception_fp_ieee_overflow 0
		.amdhsa_exception_fp_ieee_underflow 0
		.amdhsa_exception_fp_ieee_inexact 0
		.amdhsa_exception_int_div_zero 0
	.end_amdhsa_kernel
	.section	.text._ZN9rocsparseL19gebsrmvn_2xn_kernelILj128ELj1ELj16EfEEvi20rocsparse_direction_NS_24const_host_device_scalarIT2_EEPKiS6_PKS3_S8_S4_PS3_21rocsparse_index_base_b,"axG",@progbits,_ZN9rocsparseL19gebsrmvn_2xn_kernelILj128ELj1ELj16EfEEvi20rocsparse_direction_NS_24const_host_device_scalarIT2_EEPKiS6_PKS3_S8_S4_PS3_21rocsparse_index_base_b,comdat
.Lfunc_end2:
	.size	_ZN9rocsparseL19gebsrmvn_2xn_kernelILj128ELj1ELj16EfEEvi20rocsparse_direction_NS_24const_host_device_scalarIT2_EEPKiS6_PKS3_S8_S4_PS3_21rocsparse_index_base_b, .Lfunc_end2-_ZN9rocsparseL19gebsrmvn_2xn_kernelILj128ELj1ELj16EfEEvi20rocsparse_direction_NS_24const_host_device_scalarIT2_EEPKiS6_PKS3_S8_S4_PS3_21rocsparse_index_base_b
                                        ; -- End function
	.section	.AMDGPU.csdata,"",@progbits
; Kernel info:
; codeLenInByte = 752
; NumSgprs: 26
; NumVgprs: 16
; NumAgprs: 0
; TotalNumVgprs: 16
; ScratchSize: 0
; MemoryBound: 0
; FloatMode: 240
; IeeeMode: 1
; LDSByteSize: 0 bytes/workgroup (compile time only)
; SGPRBlocks: 3
; VGPRBlocks: 1
; NumSGPRsForWavesPerEU: 26
; NumVGPRsForWavesPerEU: 16
; AccumOffset: 16
; Occupancy: 8
; WaveLimiterHint : 1
; COMPUTE_PGM_RSRC2:SCRATCH_EN: 0
; COMPUTE_PGM_RSRC2:USER_SGPR: 2
; COMPUTE_PGM_RSRC2:TRAP_HANDLER: 0
; COMPUTE_PGM_RSRC2:TGID_X_EN: 1
; COMPUTE_PGM_RSRC2:TGID_Y_EN: 0
; COMPUTE_PGM_RSRC2:TGID_Z_EN: 0
; COMPUTE_PGM_RSRC2:TIDIG_COMP_CNT: 0
; COMPUTE_PGM_RSRC3_GFX90A:ACCUM_OFFSET: 3
; COMPUTE_PGM_RSRC3_GFX90A:TG_SPLIT: 0
	.section	.text._ZN9rocsparseL19gebsrmvn_2xn_kernelILj128ELj1ELj32EfEEvi20rocsparse_direction_NS_24const_host_device_scalarIT2_EEPKiS6_PKS3_S8_S4_PS3_21rocsparse_index_base_b,"axG",@progbits,_ZN9rocsparseL19gebsrmvn_2xn_kernelILj128ELj1ELj32EfEEvi20rocsparse_direction_NS_24const_host_device_scalarIT2_EEPKiS6_PKS3_S8_S4_PS3_21rocsparse_index_base_b,comdat
	.globl	_ZN9rocsparseL19gebsrmvn_2xn_kernelILj128ELj1ELj32EfEEvi20rocsparse_direction_NS_24const_host_device_scalarIT2_EEPKiS6_PKS3_S8_S4_PS3_21rocsparse_index_base_b ; -- Begin function _ZN9rocsparseL19gebsrmvn_2xn_kernelILj128ELj1ELj32EfEEvi20rocsparse_direction_NS_24const_host_device_scalarIT2_EEPKiS6_PKS3_S8_S4_PS3_21rocsparse_index_base_b
	.p2align	8
	.type	_ZN9rocsparseL19gebsrmvn_2xn_kernelILj128ELj1ELj32EfEEvi20rocsparse_direction_NS_24const_host_device_scalarIT2_EEPKiS6_PKS3_S8_S4_PS3_21rocsparse_index_base_b,@function
_ZN9rocsparseL19gebsrmvn_2xn_kernelILj128ELj1ELj32EfEEvi20rocsparse_direction_NS_24const_host_device_scalarIT2_EEPKiS6_PKS3_S8_S4_PS3_21rocsparse_index_base_b: ; @_ZN9rocsparseL19gebsrmvn_2xn_kernelILj128ELj1ELj32EfEEvi20rocsparse_direction_NS_24const_host_device_scalarIT2_EEPKiS6_PKS3_S8_S4_PS3_21rocsparse_index_base_b
; %bb.0:
	s_load_dwordx2 s[16:17], s[0:1], 0x40
	s_load_dwordx2 s[14:15], s[0:1], 0x8
	;; [unrolled: 1-line block ×3, first 2 shown]
	s_waitcnt lgkmcnt(0)
	s_bitcmp1_b32 s17, 0
	s_cselect_b64 s[6:7], -1, 0
	s_xor_b64 s[4:5], s[6:7], -1
	s_and_b64 vcc, exec, s[6:7]
	s_cbranch_vccnz .LBB3_2
; %bb.1:
	s_load_dword s14, s[14:15], 0x0
.LBB3_2:
	s_andn2_b64 vcc, exec, s[4:5]
	s_cbranch_vccnz .LBB3_4
; %bb.3:
	s_load_dword s12, s[12:13], 0x0
.LBB3_4:
	s_waitcnt lgkmcnt(0)
	v_cmp_eq_f32_e64 s[4:5], s14, 0
	v_cmp_eq_f32_e64 s[6:7], s12, 1.0
	s_and_b64 s[4:5], s[4:5], s[6:7]
	s_and_b64 vcc, exec, s[4:5]
	s_cbranch_vccnz .LBB3_22
; %bb.5:
	s_load_dwordx2 s[18:19], s[0:1], 0x0
	v_lshrrev_b32_e32 v1, 5, v0
	v_lshl_or_b32 v2, s2, 2, v1
	s_waitcnt lgkmcnt(0)
	v_cmp_gt_i32_e32 vcc, s18, v2
	s_and_saveexec_b64 s[2:3], vcc
	s_cbranch_execz .LBB3_22
; %bb.6:
	s_load_dwordx8 s[4:11], s[0:1], 0x10
	v_ashrrev_i32_e32 v3, 31, v2
	s_cmp_lg_u32 s19, 0
	s_waitcnt lgkmcnt(0)
	v_lshl_add_u64 v[4:5], v[2:3], 2, s[4:5]
	global_load_dwordx2 v[4:5], v[4:5], off
	v_and_b32_e32 v3, 31, v0
	s_waitcnt vmcnt(0)
	v_subrev_u32_e32 v0, s16, v4
	v_subrev_u32_e32 v10, s16, v5
	v_add_u32_e32 v0, v0, v3
	v_cmp_lt_i32_e64 s[2:3], v0, v10
	s_cbranch_scc0 .LBB3_12
; %bb.7:
	v_mov_b32_e32 v5, 0
	v_mov_b32_e32 v4, v5
	s_and_saveexec_b64 s[4:5], s[2:3]
	s_cbranch_execz .LBB3_11
; %bb.8:
	v_mov_b32_e32 v7, 0
	v_lshlrev_b32_e32 v6, 1, v0
	s_mov_b64 s[18:19], 0
	v_mov_b32_e32 v8, v0
	v_mov_b32_e32 v4, v7
	;; [unrolled: 1-line block ×3, first 2 shown]
.LBB3_9:                                ; =>This Inner Loop Header: Depth=1
	v_ashrrev_i32_e32 v9, 31, v8
	v_lshl_add_u64 v[12:13], v[8:9], 2, s[6:7]
	global_load_dword v1, v[12:13], off
	v_mov_b32_e32 v15, v7
	v_lshl_add_u64 v[12:13], v[6:7], 2, s[8:9]
	global_load_dwordx2 v[12:13], v[12:13], off
	v_add_u32_e32 v8, 32, v8
	v_cmp_ge_i32_e32 vcc, v8, v10
	v_add_u32_e32 v6, 64, v6
	s_or_b64 s[18:19], vcc, s[18:19]
	s_waitcnt vmcnt(1)
	v_subrev_u32_e32 v14, s16, v1
	v_lshl_add_u64 v[14:15], v[14:15], 2, s[10:11]
	global_load_dword v14, v[14:15], off
	s_waitcnt vmcnt(0)
	v_pk_fma_f32 v[4:5], v[12:13], v[14:15], v[4:5] op_sel_hi:[1,0,1]
	s_andn2_b64 exec, exec, s[18:19]
	s_cbranch_execnz .LBB3_9
; %bb.10:
	s_or_b64 exec, exec, s[18:19]
.LBB3_11:
	s_or_b64 exec, exec, s[4:5]
	s_cbranch_execz .LBB3_13
	s_branch .LBB3_18
.LBB3_12:
                                        ; implicit-def: $vgpr5
.LBB3_13:
	v_mov_b32_e32 v5, 0
	v_mov_b32_e32 v4, v5
	s_and_saveexec_b64 s[4:5], s[2:3]
	s_cbranch_execz .LBB3_17
; %bb.14:
	v_mov_b32_e32 v7, 0
	v_lshlrev_b32_e32 v6, 1, v0
	s_mov_b64 s[2:3], 0
	v_mov_b32_e32 v4, v7
	v_mov_b32_e32 v5, v7
.LBB3_15:                               ; =>This Inner Loop Header: Depth=1
	v_ashrrev_i32_e32 v1, 31, v0
	v_lshl_add_u64 v[8:9], v[0:1], 2, s[6:7]
	global_load_dword v1, v[8:9], off
	v_mov_b32_e32 v13, v7
	v_lshl_add_u64 v[8:9], v[6:7], 2, s[8:9]
	global_load_dwordx2 v[8:9], v[8:9], off
	v_add_u32_e32 v0, 32, v0
	v_cmp_ge_i32_e32 vcc, v0, v10
	v_add_u32_e32 v6, 64, v6
	s_or_b64 s[2:3], vcc, s[2:3]
	s_waitcnt vmcnt(1)
	v_subrev_u32_e32 v12, s16, v1
	v_lshl_add_u64 v[12:13], v[12:13], 2, s[10:11]
	global_load_dword v12, v[12:13], off
	s_waitcnt vmcnt(0)
	v_pk_fma_f32 v[4:5], v[8:9], v[12:13], v[4:5] op_sel_hi:[1,0,1]
	s_andn2_b64 exec, exec, s[2:3]
	s_cbranch_execnz .LBB3_15
; %bb.16:
	s_or_b64 exec, exec, s[2:3]
.LBB3_17:
	s_or_b64 exec, exec, s[4:5]
.LBB3_18:
	v_mov_b32_dpp v0, v4 row_shr:1 row_mask:0xf bank_mask:0xf
	v_mov_b32_dpp v1, v5 row_shr:1 row_mask:0xf bank_mask:0xf
	v_pk_add_f32 v[0:1], v[4:5], v[0:1]
	v_cmp_eq_u32_e32 vcc, 31, v3
	s_nop 0
	v_mov_b32_dpp v4, v0 row_shr:2 row_mask:0xf bank_mask:0xf
	v_mov_b32_dpp v5, v1 row_shr:2 row_mask:0xf bank_mask:0xf
	v_pk_add_f32 v[0:1], v[0:1], v[4:5]
	s_nop 1
	v_mov_b32_dpp v4, v0 row_shr:4 row_mask:0xf bank_mask:0xe
	v_mov_b32_dpp v5, v1 row_shr:4 row_mask:0xf bank_mask:0xe
	v_pk_add_f32 v[0:1], v[0:1], v[4:5]
	;; [unrolled: 4-line block ×3, first 2 shown]
	s_nop 1
	v_mov_b32_dpp v4, v0 row_bcast:15 row_mask:0xa bank_mask:0xf
	v_mov_b32_dpp v5, v1 row_bcast:15 row_mask:0xa bank_mask:0xf
	s_and_b64 exec, exec, vcc
	s_cbranch_execz .LBB3_22
; %bb.19:
	s_load_dwordx2 s[0:1], s[0:1], 0x38
	v_cmp_eq_f32_e64 s[2:3], s12, 0
	v_pk_add_f32 v[0:1], v[0:1], v[4:5]
	s_and_b64 vcc, exec, s[2:3]
	v_lshlrev_b32_e32 v2, 1, v2
	s_cbranch_vccz .LBB3_23
; %bb.20:
	v_ashrrev_i32_e32 v3, 31, v2
	s_waitcnt lgkmcnt(0)
	v_lshl_add_u64 v[4:5], v[2:3], 2, s[0:1]
	v_pk_mul_f32 v[6:7], s[14:15], v[0:1] op_sel_hi:[0,1]
	global_store_dwordx2 v[4:5], v[6:7], off
	s_cbranch_execnz .LBB3_22
.LBB3_21:
	v_ashrrev_i32_e32 v3, 31, v2
	s_waitcnt lgkmcnt(0)
	v_lshl_add_u64 v[2:3], v[2:3], 2, s[0:1]
	global_load_dwordx2 v[4:5], v[2:3], off
	v_pk_mul_f32 v[0:1], s[14:15], v[0:1] op_sel_hi:[0,1]
	s_waitcnt vmcnt(0)
	v_pk_fma_f32 v[0:1], s[12:13], v[4:5], v[0:1] op_sel_hi:[0,1,1]
	global_store_dwordx2 v[2:3], v[0:1], off
.LBB3_22:
	s_endpgm
.LBB3_23:
	s_branch .LBB3_21
	.section	.rodata,"a",@progbits
	.p2align	6, 0x0
	.amdhsa_kernel _ZN9rocsparseL19gebsrmvn_2xn_kernelILj128ELj1ELj32EfEEvi20rocsparse_direction_NS_24const_host_device_scalarIT2_EEPKiS6_PKS3_S8_S4_PS3_21rocsparse_index_base_b
		.amdhsa_group_segment_fixed_size 0
		.amdhsa_private_segment_fixed_size 0
		.amdhsa_kernarg_size 72
		.amdhsa_user_sgpr_count 2
		.amdhsa_user_sgpr_dispatch_ptr 0
		.amdhsa_user_sgpr_queue_ptr 0
		.amdhsa_user_sgpr_kernarg_segment_ptr 1
		.amdhsa_user_sgpr_dispatch_id 0
		.amdhsa_user_sgpr_kernarg_preload_length 0
		.amdhsa_user_sgpr_kernarg_preload_offset 0
		.amdhsa_user_sgpr_private_segment_size 0
		.amdhsa_uses_dynamic_stack 0
		.amdhsa_enable_private_segment 0
		.amdhsa_system_sgpr_workgroup_id_x 1
		.amdhsa_system_sgpr_workgroup_id_y 0
		.amdhsa_system_sgpr_workgroup_id_z 0
		.amdhsa_system_sgpr_workgroup_info 0
		.amdhsa_system_vgpr_workitem_id 0
		.amdhsa_next_free_vgpr 16
		.amdhsa_next_free_sgpr 20
		.amdhsa_accum_offset 16
		.amdhsa_reserve_vcc 1
		.amdhsa_float_round_mode_32 0
		.amdhsa_float_round_mode_16_64 0
		.amdhsa_float_denorm_mode_32 3
		.amdhsa_float_denorm_mode_16_64 3
		.amdhsa_dx10_clamp 1
		.amdhsa_ieee_mode 1
		.amdhsa_fp16_overflow 0
		.amdhsa_tg_split 0
		.amdhsa_exception_fp_ieee_invalid_op 0
		.amdhsa_exception_fp_denorm_src 0
		.amdhsa_exception_fp_ieee_div_zero 0
		.amdhsa_exception_fp_ieee_overflow 0
		.amdhsa_exception_fp_ieee_underflow 0
		.amdhsa_exception_fp_ieee_inexact 0
		.amdhsa_exception_int_div_zero 0
	.end_amdhsa_kernel
	.section	.text._ZN9rocsparseL19gebsrmvn_2xn_kernelILj128ELj1ELj32EfEEvi20rocsparse_direction_NS_24const_host_device_scalarIT2_EEPKiS6_PKS3_S8_S4_PS3_21rocsparse_index_base_b,"axG",@progbits,_ZN9rocsparseL19gebsrmvn_2xn_kernelILj128ELj1ELj32EfEEvi20rocsparse_direction_NS_24const_host_device_scalarIT2_EEPKiS6_PKS3_S8_S4_PS3_21rocsparse_index_base_b,comdat
.Lfunc_end3:
	.size	_ZN9rocsparseL19gebsrmvn_2xn_kernelILj128ELj1ELj32EfEEvi20rocsparse_direction_NS_24const_host_device_scalarIT2_EEPKiS6_PKS3_S8_S4_PS3_21rocsparse_index_base_b, .Lfunc_end3-_ZN9rocsparseL19gebsrmvn_2xn_kernelILj128ELj1ELj32EfEEvi20rocsparse_direction_NS_24const_host_device_scalarIT2_EEPKiS6_PKS3_S8_S4_PS3_21rocsparse_index_base_b
                                        ; -- End function
	.section	.AMDGPU.csdata,"",@progbits
; Kernel info:
; codeLenInByte = 780
; NumSgprs: 26
; NumVgprs: 16
; NumAgprs: 0
; TotalNumVgprs: 16
; ScratchSize: 0
; MemoryBound: 0
; FloatMode: 240
; IeeeMode: 1
; LDSByteSize: 0 bytes/workgroup (compile time only)
; SGPRBlocks: 3
; VGPRBlocks: 1
; NumSGPRsForWavesPerEU: 26
; NumVGPRsForWavesPerEU: 16
; AccumOffset: 16
; Occupancy: 8
; WaveLimiterHint : 1
; COMPUTE_PGM_RSRC2:SCRATCH_EN: 0
; COMPUTE_PGM_RSRC2:USER_SGPR: 2
; COMPUTE_PGM_RSRC2:TRAP_HANDLER: 0
; COMPUTE_PGM_RSRC2:TGID_X_EN: 1
; COMPUTE_PGM_RSRC2:TGID_Y_EN: 0
; COMPUTE_PGM_RSRC2:TGID_Z_EN: 0
; COMPUTE_PGM_RSRC2:TIDIG_COMP_CNT: 0
; COMPUTE_PGM_RSRC3_GFX90A:ACCUM_OFFSET: 3
; COMPUTE_PGM_RSRC3_GFX90A:TG_SPLIT: 0
	.section	.text._ZN9rocsparseL19gebsrmvn_2xn_kernelILj128ELj1ELj64EfEEvi20rocsparse_direction_NS_24const_host_device_scalarIT2_EEPKiS6_PKS3_S8_S4_PS3_21rocsparse_index_base_b,"axG",@progbits,_ZN9rocsparseL19gebsrmvn_2xn_kernelILj128ELj1ELj64EfEEvi20rocsparse_direction_NS_24const_host_device_scalarIT2_EEPKiS6_PKS3_S8_S4_PS3_21rocsparse_index_base_b,comdat
	.globl	_ZN9rocsparseL19gebsrmvn_2xn_kernelILj128ELj1ELj64EfEEvi20rocsparse_direction_NS_24const_host_device_scalarIT2_EEPKiS6_PKS3_S8_S4_PS3_21rocsparse_index_base_b ; -- Begin function _ZN9rocsparseL19gebsrmvn_2xn_kernelILj128ELj1ELj64EfEEvi20rocsparse_direction_NS_24const_host_device_scalarIT2_EEPKiS6_PKS3_S8_S4_PS3_21rocsparse_index_base_b
	.p2align	8
	.type	_ZN9rocsparseL19gebsrmvn_2xn_kernelILj128ELj1ELj64EfEEvi20rocsparse_direction_NS_24const_host_device_scalarIT2_EEPKiS6_PKS3_S8_S4_PS3_21rocsparse_index_base_b,@function
_ZN9rocsparseL19gebsrmvn_2xn_kernelILj128ELj1ELj64EfEEvi20rocsparse_direction_NS_24const_host_device_scalarIT2_EEPKiS6_PKS3_S8_S4_PS3_21rocsparse_index_base_b: ; @_ZN9rocsparseL19gebsrmvn_2xn_kernelILj128ELj1ELj64EfEEvi20rocsparse_direction_NS_24const_host_device_scalarIT2_EEPKiS6_PKS3_S8_S4_PS3_21rocsparse_index_base_b
; %bb.0:
	s_load_dwordx2 s[16:17], s[0:1], 0x40
	s_load_dwordx2 s[14:15], s[0:1], 0x8
	;; [unrolled: 1-line block ×3, first 2 shown]
	s_waitcnt lgkmcnt(0)
	s_bitcmp1_b32 s17, 0
	s_cselect_b64 s[6:7], -1, 0
	s_xor_b64 s[4:5], s[6:7], -1
	s_and_b64 vcc, exec, s[6:7]
	s_cbranch_vccnz .LBB4_2
; %bb.1:
	s_load_dword s14, s[14:15], 0x0
.LBB4_2:
	s_andn2_b64 vcc, exec, s[4:5]
	s_cbranch_vccnz .LBB4_4
; %bb.3:
	s_load_dword s12, s[12:13], 0x0
.LBB4_4:
	s_waitcnt lgkmcnt(0)
	v_cmp_eq_f32_e64 s[4:5], s14, 0
	v_cmp_eq_f32_e64 s[6:7], s12, 1.0
	s_and_b64 s[4:5], s[4:5], s[6:7]
	s_and_b64 vcc, exec, s[4:5]
	s_cbranch_vccnz .LBB4_22
; %bb.5:
	s_load_dwordx2 s[18:19], s[0:1], 0x0
	v_lshrrev_b32_e32 v1, 6, v0
	v_lshl_or_b32 v2, s2, 1, v1
	s_waitcnt lgkmcnt(0)
	v_cmp_gt_i32_e32 vcc, s18, v2
	s_and_saveexec_b64 s[2:3], vcc
	s_cbranch_execz .LBB4_22
; %bb.6:
	s_load_dwordx8 s[4:11], s[0:1], 0x10
	v_ashrrev_i32_e32 v3, 31, v2
	s_cmp_lg_u32 s19, 0
	s_waitcnt lgkmcnt(0)
	v_lshl_add_u64 v[4:5], v[2:3], 2, s[4:5]
	global_load_dwordx2 v[4:5], v[4:5], off
	v_and_b32_e32 v3, 63, v0
	s_waitcnt vmcnt(0)
	v_subrev_u32_e32 v0, s16, v4
	v_subrev_u32_e32 v10, s16, v5
	v_add_u32_e32 v0, v0, v3
	v_cmp_lt_i32_e64 s[2:3], v0, v10
	s_cbranch_scc0 .LBB4_12
; %bb.7:
	v_mov_b32_e32 v5, 0
	v_mov_b32_e32 v4, v5
	s_and_saveexec_b64 s[4:5], s[2:3]
	s_cbranch_execz .LBB4_11
; %bb.8:
	v_mov_b32_e32 v7, 0
	v_lshlrev_b32_e32 v6, 1, v0
	s_mov_b64 s[18:19], 0
	v_mov_b32_e32 v8, v0
	v_mov_b32_e32 v4, v7
	;; [unrolled: 1-line block ×3, first 2 shown]
.LBB4_9:                                ; =>This Inner Loop Header: Depth=1
	v_ashrrev_i32_e32 v9, 31, v8
	v_lshl_add_u64 v[12:13], v[8:9], 2, s[6:7]
	global_load_dword v1, v[12:13], off
	v_mov_b32_e32 v15, v7
	v_lshl_add_u64 v[12:13], v[6:7], 2, s[8:9]
	global_load_dwordx2 v[12:13], v[12:13], off
	v_add_u32_e32 v8, 64, v8
	v_cmp_ge_i32_e32 vcc, v8, v10
	v_add_u32_e32 v6, 0x80, v6
	s_or_b64 s[18:19], vcc, s[18:19]
	s_waitcnt vmcnt(1)
	v_subrev_u32_e32 v14, s16, v1
	v_lshl_add_u64 v[14:15], v[14:15], 2, s[10:11]
	global_load_dword v14, v[14:15], off
	s_waitcnt vmcnt(0)
	v_pk_fma_f32 v[4:5], v[12:13], v[14:15], v[4:5] op_sel_hi:[1,0,1]
	s_andn2_b64 exec, exec, s[18:19]
	s_cbranch_execnz .LBB4_9
; %bb.10:
	s_or_b64 exec, exec, s[18:19]
.LBB4_11:
	s_or_b64 exec, exec, s[4:5]
	s_cbranch_execz .LBB4_13
	s_branch .LBB4_18
.LBB4_12:
                                        ; implicit-def: $vgpr5
.LBB4_13:
	v_mov_b32_e32 v5, 0
	v_mov_b32_e32 v4, v5
	s_and_saveexec_b64 s[4:5], s[2:3]
	s_cbranch_execz .LBB4_17
; %bb.14:
	v_mov_b32_e32 v7, 0
	v_lshlrev_b32_e32 v6, 1, v0
	s_mov_b64 s[2:3], 0
	v_mov_b32_e32 v4, v7
	v_mov_b32_e32 v5, v7
.LBB4_15:                               ; =>This Inner Loop Header: Depth=1
	v_ashrrev_i32_e32 v1, 31, v0
	v_lshl_add_u64 v[8:9], v[0:1], 2, s[6:7]
	global_load_dword v1, v[8:9], off
	v_mov_b32_e32 v13, v7
	v_lshl_add_u64 v[8:9], v[6:7], 2, s[8:9]
	global_load_dwordx2 v[8:9], v[8:9], off
	v_add_u32_e32 v0, 64, v0
	v_cmp_ge_i32_e32 vcc, v0, v10
	v_add_u32_e32 v6, 0x80, v6
	s_or_b64 s[2:3], vcc, s[2:3]
	s_waitcnt vmcnt(1)
	v_subrev_u32_e32 v12, s16, v1
	v_lshl_add_u64 v[12:13], v[12:13], 2, s[10:11]
	global_load_dword v12, v[12:13], off
	s_waitcnt vmcnt(0)
	v_pk_fma_f32 v[4:5], v[8:9], v[12:13], v[4:5] op_sel_hi:[1,0,1]
	s_andn2_b64 exec, exec, s[2:3]
	s_cbranch_execnz .LBB4_15
; %bb.16:
	s_or_b64 exec, exec, s[2:3]
.LBB4_17:
	s_or_b64 exec, exec, s[4:5]
.LBB4_18:
	v_mov_b32_dpp v0, v4 row_shr:1 row_mask:0xf bank_mask:0xf
	v_mov_b32_dpp v1, v5 row_shr:1 row_mask:0xf bank_mask:0xf
	v_pk_add_f32 v[0:1], v[4:5], v[0:1]
	v_cmp_eq_u32_e32 vcc, 63, v3
	s_nop 0
	v_mov_b32_dpp v4, v0 row_shr:2 row_mask:0xf bank_mask:0xf
	v_mov_b32_dpp v5, v1 row_shr:2 row_mask:0xf bank_mask:0xf
	v_pk_add_f32 v[0:1], v[0:1], v[4:5]
	s_nop 1
	v_mov_b32_dpp v4, v0 row_shr:4 row_mask:0xf bank_mask:0xe
	v_mov_b32_dpp v5, v1 row_shr:4 row_mask:0xf bank_mask:0xe
	v_pk_add_f32 v[0:1], v[0:1], v[4:5]
	;; [unrolled: 4-line block ×3, first 2 shown]
	s_nop 1
	v_mov_b32_dpp v4, v0 row_bcast:15 row_mask:0xa bank_mask:0xf
	v_mov_b32_dpp v5, v1 row_bcast:15 row_mask:0xa bank_mask:0xf
	v_pk_add_f32 v[0:1], v[0:1], v[4:5]
	s_nop 1
	v_mov_b32_dpp v4, v0 row_bcast:31 row_mask:0xc bank_mask:0xf
	v_mov_b32_dpp v5, v1 row_bcast:31 row_mask:0xc bank_mask:0xf
	s_and_b64 exec, exec, vcc
	s_cbranch_execz .LBB4_22
; %bb.19:
	s_load_dwordx2 s[0:1], s[0:1], 0x38
	v_cmp_eq_f32_e64 s[2:3], s12, 0
	v_pk_add_f32 v[0:1], v[0:1], v[4:5]
	s_and_b64 vcc, exec, s[2:3]
	v_lshlrev_b32_e32 v2, 1, v2
	s_cbranch_vccz .LBB4_23
; %bb.20:
	v_ashrrev_i32_e32 v3, 31, v2
	s_waitcnt lgkmcnt(0)
	v_lshl_add_u64 v[4:5], v[2:3], 2, s[0:1]
	v_pk_mul_f32 v[6:7], s[14:15], v[0:1] op_sel_hi:[0,1]
	global_store_dwordx2 v[4:5], v[6:7], off
	s_cbranch_execnz .LBB4_22
.LBB4_21:
	v_ashrrev_i32_e32 v3, 31, v2
	s_waitcnt lgkmcnt(0)
	v_lshl_add_u64 v[2:3], v[2:3], 2, s[0:1]
	global_load_dwordx2 v[4:5], v[2:3], off
	v_pk_mul_f32 v[0:1], s[14:15], v[0:1] op_sel_hi:[0,1]
	s_waitcnt vmcnt(0)
	v_pk_fma_f32 v[0:1], s[12:13], v[4:5], v[0:1] op_sel_hi:[0,1,1]
	global_store_dwordx2 v[2:3], v[0:1], off
.LBB4_22:
	s_endpgm
.LBB4_23:
	s_branch .LBB4_21
	.section	.rodata,"a",@progbits
	.p2align	6, 0x0
	.amdhsa_kernel _ZN9rocsparseL19gebsrmvn_2xn_kernelILj128ELj1ELj64EfEEvi20rocsparse_direction_NS_24const_host_device_scalarIT2_EEPKiS6_PKS3_S8_S4_PS3_21rocsparse_index_base_b
		.amdhsa_group_segment_fixed_size 0
		.amdhsa_private_segment_fixed_size 0
		.amdhsa_kernarg_size 72
		.amdhsa_user_sgpr_count 2
		.amdhsa_user_sgpr_dispatch_ptr 0
		.amdhsa_user_sgpr_queue_ptr 0
		.amdhsa_user_sgpr_kernarg_segment_ptr 1
		.amdhsa_user_sgpr_dispatch_id 0
		.amdhsa_user_sgpr_kernarg_preload_length 0
		.amdhsa_user_sgpr_kernarg_preload_offset 0
		.amdhsa_user_sgpr_private_segment_size 0
		.amdhsa_uses_dynamic_stack 0
		.amdhsa_enable_private_segment 0
		.amdhsa_system_sgpr_workgroup_id_x 1
		.amdhsa_system_sgpr_workgroup_id_y 0
		.amdhsa_system_sgpr_workgroup_id_z 0
		.amdhsa_system_sgpr_workgroup_info 0
		.amdhsa_system_vgpr_workitem_id 0
		.amdhsa_next_free_vgpr 16
		.amdhsa_next_free_sgpr 20
		.amdhsa_accum_offset 16
		.amdhsa_reserve_vcc 1
		.amdhsa_float_round_mode_32 0
		.amdhsa_float_round_mode_16_64 0
		.amdhsa_float_denorm_mode_32 3
		.amdhsa_float_denorm_mode_16_64 3
		.amdhsa_dx10_clamp 1
		.amdhsa_ieee_mode 1
		.amdhsa_fp16_overflow 0
		.amdhsa_tg_split 0
		.amdhsa_exception_fp_ieee_invalid_op 0
		.amdhsa_exception_fp_denorm_src 0
		.amdhsa_exception_fp_ieee_div_zero 0
		.amdhsa_exception_fp_ieee_overflow 0
		.amdhsa_exception_fp_ieee_underflow 0
		.amdhsa_exception_fp_ieee_inexact 0
		.amdhsa_exception_int_div_zero 0
	.end_amdhsa_kernel
	.section	.text._ZN9rocsparseL19gebsrmvn_2xn_kernelILj128ELj1ELj64EfEEvi20rocsparse_direction_NS_24const_host_device_scalarIT2_EEPKiS6_PKS3_S8_S4_PS3_21rocsparse_index_base_b,"axG",@progbits,_ZN9rocsparseL19gebsrmvn_2xn_kernelILj128ELj1ELj64EfEEvi20rocsparse_direction_NS_24const_host_device_scalarIT2_EEPKiS6_PKS3_S8_S4_PS3_21rocsparse_index_base_b,comdat
.Lfunc_end4:
	.size	_ZN9rocsparseL19gebsrmvn_2xn_kernelILj128ELj1ELj64EfEEvi20rocsparse_direction_NS_24const_host_device_scalarIT2_EEPKiS6_PKS3_S8_S4_PS3_21rocsparse_index_base_b, .Lfunc_end4-_ZN9rocsparseL19gebsrmvn_2xn_kernelILj128ELj1ELj64EfEEvi20rocsparse_direction_NS_24const_host_device_scalarIT2_EEPKiS6_PKS3_S8_S4_PS3_21rocsparse_index_base_b
                                        ; -- End function
	.section	.AMDGPU.csdata,"",@progbits
; Kernel info:
; codeLenInByte = 816
; NumSgprs: 26
; NumVgprs: 16
; NumAgprs: 0
; TotalNumVgprs: 16
; ScratchSize: 0
; MemoryBound: 0
; FloatMode: 240
; IeeeMode: 1
; LDSByteSize: 0 bytes/workgroup (compile time only)
; SGPRBlocks: 3
; VGPRBlocks: 1
; NumSGPRsForWavesPerEU: 26
; NumVGPRsForWavesPerEU: 16
; AccumOffset: 16
; Occupancy: 8
; WaveLimiterHint : 1
; COMPUTE_PGM_RSRC2:SCRATCH_EN: 0
; COMPUTE_PGM_RSRC2:USER_SGPR: 2
; COMPUTE_PGM_RSRC2:TRAP_HANDLER: 0
; COMPUTE_PGM_RSRC2:TGID_X_EN: 1
; COMPUTE_PGM_RSRC2:TGID_Y_EN: 0
; COMPUTE_PGM_RSRC2:TGID_Z_EN: 0
; COMPUTE_PGM_RSRC2:TIDIG_COMP_CNT: 0
; COMPUTE_PGM_RSRC3_GFX90A:ACCUM_OFFSET: 3
; COMPUTE_PGM_RSRC3_GFX90A:TG_SPLIT: 0
	.section	.text._ZN9rocsparseL19gebsrmvn_2xn_kernelILj128ELj3ELj4EfEEvi20rocsparse_direction_NS_24const_host_device_scalarIT2_EEPKiS6_PKS3_S8_S4_PS3_21rocsparse_index_base_b,"axG",@progbits,_ZN9rocsparseL19gebsrmvn_2xn_kernelILj128ELj3ELj4EfEEvi20rocsparse_direction_NS_24const_host_device_scalarIT2_EEPKiS6_PKS3_S8_S4_PS3_21rocsparse_index_base_b,comdat
	.globl	_ZN9rocsparseL19gebsrmvn_2xn_kernelILj128ELj3ELj4EfEEvi20rocsparse_direction_NS_24const_host_device_scalarIT2_EEPKiS6_PKS3_S8_S4_PS3_21rocsparse_index_base_b ; -- Begin function _ZN9rocsparseL19gebsrmvn_2xn_kernelILj128ELj3ELj4EfEEvi20rocsparse_direction_NS_24const_host_device_scalarIT2_EEPKiS6_PKS3_S8_S4_PS3_21rocsparse_index_base_b
	.p2align	8
	.type	_ZN9rocsparseL19gebsrmvn_2xn_kernelILj128ELj3ELj4EfEEvi20rocsparse_direction_NS_24const_host_device_scalarIT2_EEPKiS6_PKS3_S8_S4_PS3_21rocsparse_index_base_b,@function
_ZN9rocsparseL19gebsrmvn_2xn_kernelILj128ELj3ELj4EfEEvi20rocsparse_direction_NS_24const_host_device_scalarIT2_EEPKiS6_PKS3_S8_S4_PS3_21rocsparse_index_base_b: ; @_ZN9rocsparseL19gebsrmvn_2xn_kernelILj128ELj3ELj4EfEEvi20rocsparse_direction_NS_24const_host_device_scalarIT2_EEPKiS6_PKS3_S8_S4_PS3_21rocsparse_index_base_b
; %bb.0:
	s_load_dwordx2 s[16:17], s[0:1], 0x40
	s_load_dwordx2 s[14:15], s[0:1], 0x8
	;; [unrolled: 1-line block ×3, first 2 shown]
	s_waitcnt lgkmcnt(0)
	s_bitcmp1_b32 s17, 0
	s_cselect_b64 s[6:7], -1, 0
	s_xor_b64 s[4:5], s[6:7], -1
	s_and_b64 vcc, exec, s[6:7]
	s_cbranch_vccnz .LBB5_2
; %bb.1:
	s_load_dword s14, s[14:15], 0x0
.LBB5_2:
	s_andn2_b64 vcc, exec, s[4:5]
	s_cbranch_vccnz .LBB5_4
; %bb.3:
	s_load_dword s12, s[12:13], 0x0
.LBB5_4:
	s_waitcnt lgkmcnt(0)
	v_cmp_eq_f32_e64 s[4:5], s14, 0
	v_cmp_eq_f32_e64 s[6:7], s12, 1.0
	s_and_b64 s[4:5], s[4:5], s[6:7]
	s_and_b64 vcc, exec, s[4:5]
	s_cbranch_vccnz .LBB5_22
; %bb.5:
	s_load_dwordx2 s[18:19], s[0:1], 0x0
	v_lshrrev_b32_e32 v1, 2, v0
	v_lshl_or_b32 v2, s2, 5, v1
	s_waitcnt lgkmcnt(0)
	v_cmp_gt_i32_e32 vcc, s18, v2
	s_and_saveexec_b64 s[2:3], vcc
	s_cbranch_execz .LBB5_22
; %bb.6:
	s_load_dwordx8 s[4:11], s[0:1], 0x10
	v_ashrrev_i32_e32 v3, 31, v2
	s_cmp_lg_u32 s19, 0
	s_waitcnt lgkmcnt(0)
	v_lshl_add_u64 v[4:5], v[2:3], 2, s[4:5]
	global_load_dwordx2 v[4:5], v[4:5], off
	v_and_b32_e32 v3, 3, v0
	s_waitcnt vmcnt(0)
	v_subrev_u32_e32 v0, s16, v4
	v_subrev_u32_e32 v10, s16, v5
	v_add_u32_e32 v0, v0, v3
	v_cmp_lt_i32_e64 s[2:3], v0, v10
	s_cbranch_scc0 .LBB5_12
; %bb.7:
	v_mov_b32_e32 v5, 0
	v_mov_b32_e32 v4, v5
	s_and_saveexec_b64 s[4:5], s[2:3]
	s_cbranch_execz .LBB5_11
; %bb.8:
	v_mov_b32_e32 v7, 0
	v_mul_lo_u32 v6, v0, 6
	s_mov_b64 s[18:19], 0
	v_mov_b32_e32 v8, v0
	v_mov_b32_e32 v4, v7
	;; [unrolled: 1-line block ×3, first 2 shown]
.LBB5_9:                                ; =>This Inner Loop Header: Depth=1
	v_ashrrev_i32_e32 v9, 31, v8
	v_lshl_add_u64 v[12:13], v[8:9], 2, s[6:7]
	global_load_dword v1, v[12:13], off
	v_add_u32_e32 v16, 2, v6
	v_mov_b32_e32 v17, v7
	v_lshl_add_u64 v[12:13], v[6:7], 2, s[8:9]
	v_mov_b32_e32 v15, v7
	v_add_u32_e32 v20, 4, v6
	v_mov_b32_e32 v21, v7
	v_lshl_add_u64 v[16:17], v[16:17], 2, s[8:9]
	global_load_dwordx2 v[12:13], v[12:13], off
	v_lshl_add_u64 v[20:21], v[20:21], 2, s[8:9]
	global_load_dwordx2 v[24:25], v[16:17], off
	global_load_dwordx2 v[26:27], v[20:21], off
	v_mov_b32_e32 v19, v7
	v_mov_b32_e32 v23, v7
	v_add_u32_e32 v8, 4, v8
	v_cmp_ge_i32_e32 vcc, v8, v10
	v_add_u32_e32 v6, 24, v6
	s_or_b64 s[18:19], vcc, s[18:19]
	s_waitcnt vmcnt(3)
	v_subrev_u32_e32 v1, s16, v1
	v_lshl_add_u32 v14, v1, 1, v1
	v_lshl_add_u64 v[16:17], v[14:15], 2, s[10:11]
	v_add_u32_e32 v18, 1, v14
	v_add_u32_e32 v22, 2, v14
	global_load_dword v14, v[16:17], off
	v_lshl_add_u64 v[16:17], v[18:19], 2, s[10:11]
	v_lshl_add_u64 v[18:19], v[22:23], 2, s[10:11]
	global_load_dword v20, v[16:17], off
	global_load_dword v22, v[18:19], off
	s_waitcnt vmcnt(2)
	v_pk_fma_f32 v[4:5], v[12:13], v[14:15], v[4:5] op_sel_hi:[1,0,1]
	s_waitcnt vmcnt(1)
	v_pk_fma_f32 v[4:5], v[24:25], v[20:21], v[4:5] op_sel_hi:[1,0,1]
	;; [unrolled: 2-line block ×3, first 2 shown]
	s_andn2_b64 exec, exec, s[18:19]
	s_cbranch_execnz .LBB5_9
; %bb.10:
	s_or_b64 exec, exec, s[18:19]
.LBB5_11:
	s_or_b64 exec, exec, s[4:5]
	s_cbranch_execz .LBB5_13
	s_branch .LBB5_18
.LBB5_12:
                                        ; implicit-def: $vgpr5
.LBB5_13:
	v_mov_b32_e32 v5, 0
	v_mov_b32_e32 v4, v5
	s_and_saveexec_b64 s[4:5], s[2:3]
	s_cbranch_execz .LBB5_17
; %bb.14:
	v_mad_u64_u32 v[6:7], s[2:3], v0, 6, 5
	v_mov_b32_e32 v9, 0
	s_mov_b64 s[2:3], 0
	v_mov_b32_e32 v4, v9
	v_mov_b32_e32 v5, v9
.LBB5_15:                               ; =>This Inner Loop Header: Depth=1
	v_ashrrev_i32_e32 v1, 31, v0
	v_lshl_add_u64 v[12:13], v[0:1], 2, s[6:7]
	global_load_dword v1, v[12:13], off
	v_add_u32_e32 v8, -5, v6
	v_add_u32_e32 v12, -2, v6
	v_mov_b32_e32 v13, v9
	v_mov_b32_e32 v7, v9
	v_lshl_add_u64 v[16:17], v[8:9], 2, s[8:9]
	v_mov_b32_e32 v15, v9
	v_lshl_add_u64 v[12:13], v[12:13], 2, s[8:9]
	v_lshl_add_u64 v[18:19], v[6:7], 2, s[8:9]
	global_load_dwordx2 v[20:21], v[16:17], off
	global_load_dword v23, v[12:13], off
	global_load_dword v25, v[18:19], off
	v_add_u32_e32 v0, 4, v0
	v_cmp_ge_i32_e32 vcc, v0, v10
	s_or_b64 s[2:3], vcc, s[2:3]
	s_waitcnt vmcnt(3)
	v_subrev_u32_e32 v1, s16, v1
	v_lshl_add_u32 v14, v1, 1, v1
	v_add_u32_e32 v8, 1, v14
	v_lshl_add_u64 v[16:17], v[8:9], 2, s[10:11]
	v_add_u32_e32 v8, -1, v6
	v_lshl_add_u64 v[12:13], v[14:15], 2, s[10:11]
	v_lshl_add_u64 v[18:19], v[8:9], 2, s[8:9]
	v_add_u32_e32 v8, -3, v6
	global_load_dword v12, v[12:13], off
	v_lshl_add_u64 v[26:27], v[8:9], 2, s[8:9]
	global_load_dword v16, v[16:17], off
	v_add_u32_e32 v8, 2, v14
	global_load_dword v15, v[18:19], off
	global_load_dword v24, v[26:27], off
	v_lshl_add_u64 v[18:19], v[8:9], 2, s[10:11]
	global_load_dword v8, v[18:19], off
	s_waitcnt vmcnt(7)
	v_mov_b32_e32 v22, v20
	v_mov_b32_e32 v14, v21
	v_add_u32_e32 v6, 24, v6
	s_waitcnt vmcnt(4)
	v_pk_fma_f32 v[4:5], v[22:23], v[12:13], v[4:5] op_sel_hi:[1,0,1]
	s_waitcnt vmcnt(2)
	v_pk_fma_f32 v[4:5], v[14:15], v[16:17], v[4:5] op_sel_hi:[1,0,1]
	s_waitcnt vmcnt(0)
	v_pk_fma_f32 v[4:5], v[24:25], v[8:9], v[4:5] op_sel_hi:[1,0,1]
	s_andn2_b64 exec, exec, s[2:3]
	s_cbranch_execnz .LBB5_15
; %bb.16:
	s_or_b64 exec, exec, s[2:3]
.LBB5_17:
	s_or_b64 exec, exec, s[4:5]
.LBB5_18:
	v_mov_b32_dpp v0, v4 row_shr:1 row_mask:0xf bank_mask:0xf
	v_mov_b32_dpp v1, v5 row_shr:1 row_mask:0xf bank_mask:0xf
	v_pk_add_f32 v[0:1], v[4:5], v[0:1]
	v_cmp_eq_u32_e32 vcc, 3, v3
	s_nop 0
	v_mov_b32_dpp v4, v0 row_shr:2 row_mask:0xf bank_mask:0xf
	v_mov_b32_dpp v5, v1 row_shr:2 row_mask:0xf bank_mask:0xf
	s_and_b64 exec, exec, vcc
	s_cbranch_execz .LBB5_22
; %bb.19:
	s_load_dwordx2 s[0:1], s[0:1], 0x38
	v_cmp_eq_f32_e64 s[2:3], s12, 0
	v_pk_add_f32 v[0:1], v[0:1], v[4:5]
	s_and_b64 vcc, exec, s[2:3]
	v_lshlrev_b32_e32 v2, 1, v2
	s_cbranch_vccz .LBB5_23
; %bb.20:
	v_ashrrev_i32_e32 v3, 31, v2
	s_waitcnt lgkmcnt(0)
	v_lshl_add_u64 v[4:5], v[2:3], 2, s[0:1]
	v_pk_mul_f32 v[6:7], s[14:15], v[0:1] op_sel_hi:[0,1]
	global_store_dwordx2 v[4:5], v[6:7], off
	s_cbranch_execnz .LBB5_22
.LBB5_21:
	v_ashrrev_i32_e32 v3, 31, v2
	s_waitcnt lgkmcnt(0)
	v_lshl_add_u64 v[2:3], v[2:3], 2, s[0:1]
	global_load_dwordx2 v[4:5], v[2:3], off
	v_pk_mul_f32 v[0:1], s[14:15], v[0:1] op_sel_hi:[0,1]
	s_waitcnt vmcnt(0)
	v_pk_fma_f32 v[0:1], s[12:13], v[4:5], v[0:1] op_sel_hi:[0,1,1]
	global_store_dwordx2 v[2:3], v[0:1], off
.LBB5_22:
	s_endpgm
.LBB5_23:
	s_branch .LBB5_21
	.section	.rodata,"a",@progbits
	.p2align	6, 0x0
	.amdhsa_kernel _ZN9rocsparseL19gebsrmvn_2xn_kernelILj128ELj3ELj4EfEEvi20rocsparse_direction_NS_24const_host_device_scalarIT2_EEPKiS6_PKS3_S8_S4_PS3_21rocsparse_index_base_b
		.amdhsa_group_segment_fixed_size 0
		.amdhsa_private_segment_fixed_size 0
		.amdhsa_kernarg_size 72
		.amdhsa_user_sgpr_count 2
		.amdhsa_user_sgpr_dispatch_ptr 0
		.amdhsa_user_sgpr_queue_ptr 0
		.amdhsa_user_sgpr_kernarg_segment_ptr 1
		.amdhsa_user_sgpr_dispatch_id 0
		.amdhsa_user_sgpr_kernarg_preload_length 0
		.amdhsa_user_sgpr_kernarg_preload_offset 0
		.amdhsa_user_sgpr_private_segment_size 0
		.amdhsa_uses_dynamic_stack 0
		.amdhsa_enable_private_segment 0
		.amdhsa_system_sgpr_workgroup_id_x 1
		.amdhsa_system_sgpr_workgroup_id_y 0
		.amdhsa_system_sgpr_workgroup_id_z 0
		.amdhsa_system_sgpr_workgroup_info 0
		.amdhsa_system_vgpr_workitem_id 0
		.amdhsa_next_free_vgpr 28
		.amdhsa_next_free_sgpr 20
		.amdhsa_accum_offset 28
		.amdhsa_reserve_vcc 1
		.amdhsa_float_round_mode_32 0
		.amdhsa_float_round_mode_16_64 0
		.amdhsa_float_denorm_mode_32 3
		.amdhsa_float_denorm_mode_16_64 3
		.amdhsa_dx10_clamp 1
		.amdhsa_ieee_mode 1
		.amdhsa_fp16_overflow 0
		.amdhsa_tg_split 0
		.amdhsa_exception_fp_ieee_invalid_op 0
		.amdhsa_exception_fp_denorm_src 0
		.amdhsa_exception_fp_ieee_div_zero 0
		.amdhsa_exception_fp_ieee_overflow 0
		.amdhsa_exception_fp_ieee_underflow 0
		.amdhsa_exception_fp_ieee_inexact 0
		.amdhsa_exception_int_div_zero 0
	.end_amdhsa_kernel
	.section	.text._ZN9rocsparseL19gebsrmvn_2xn_kernelILj128ELj3ELj4EfEEvi20rocsparse_direction_NS_24const_host_device_scalarIT2_EEPKiS6_PKS3_S8_S4_PS3_21rocsparse_index_base_b,"axG",@progbits,_ZN9rocsparseL19gebsrmvn_2xn_kernelILj128ELj3ELj4EfEEvi20rocsparse_direction_NS_24const_host_device_scalarIT2_EEPKiS6_PKS3_S8_S4_PS3_21rocsparse_index_base_b,comdat
.Lfunc_end5:
	.size	_ZN9rocsparseL19gebsrmvn_2xn_kernelILj128ELj3ELj4EfEEvi20rocsparse_direction_NS_24const_host_device_scalarIT2_EEPKiS6_PKS3_S8_S4_PS3_21rocsparse_index_base_b, .Lfunc_end5-_ZN9rocsparseL19gebsrmvn_2xn_kernelILj128ELj3ELj4EfEEvi20rocsparse_direction_NS_24const_host_device_scalarIT2_EEPKiS6_PKS3_S8_S4_PS3_21rocsparse_index_base_b
                                        ; -- End function
	.section	.AMDGPU.csdata,"",@progbits
; Kernel info:
; codeLenInByte = 1004
; NumSgprs: 26
; NumVgprs: 28
; NumAgprs: 0
; TotalNumVgprs: 28
; ScratchSize: 0
; MemoryBound: 0
; FloatMode: 240
; IeeeMode: 1
; LDSByteSize: 0 bytes/workgroup (compile time only)
; SGPRBlocks: 3
; VGPRBlocks: 3
; NumSGPRsForWavesPerEU: 26
; NumVGPRsForWavesPerEU: 28
; AccumOffset: 28
; Occupancy: 8
; WaveLimiterHint : 1
; COMPUTE_PGM_RSRC2:SCRATCH_EN: 0
; COMPUTE_PGM_RSRC2:USER_SGPR: 2
; COMPUTE_PGM_RSRC2:TRAP_HANDLER: 0
; COMPUTE_PGM_RSRC2:TGID_X_EN: 1
; COMPUTE_PGM_RSRC2:TGID_Y_EN: 0
; COMPUTE_PGM_RSRC2:TGID_Z_EN: 0
; COMPUTE_PGM_RSRC2:TIDIG_COMP_CNT: 0
; COMPUTE_PGM_RSRC3_GFX90A:ACCUM_OFFSET: 6
; COMPUTE_PGM_RSRC3_GFX90A:TG_SPLIT: 0
	.section	.text._ZN9rocsparseL19gebsrmvn_2xn_kernelILj128ELj3ELj8EfEEvi20rocsparse_direction_NS_24const_host_device_scalarIT2_EEPKiS6_PKS3_S8_S4_PS3_21rocsparse_index_base_b,"axG",@progbits,_ZN9rocsparseL19gebsrmvn_2xn_kernelILj128ELj3ELj8EfEEvi20rocsparse_direction_NS_24const_host_device_scalarIT2_EEPKiS6_PKS3_S8_S4_PS3_21rocsparse_index_base_b,comdat
	.globl	_ZN9rocsparseL19gebsrmvn_2xn_kernelILj128ELj3ELj8EfEEvi20rocsparse_direction_NS_24const_host_device_scalarIT2_EEPKiS6_PKS3_S8_S4_PS3_21rocsparse_index_base_b ; -- Begin function _ZN9rocsparseL19gebsrmvn_2xn_kernelILj128ELj3ELj8EfEEvi20rocsparse_direction_NS_24const_host_device_scalarIT2_EEPKiS6_PKS3_S8_S4_PS3_21rocsparse_index_base_b
	.p2align	8
	.type	_ZN9rocsparseL19gebsrmvn_2xn_kernelILj128ELj3ELj8EfEEvi20rocsparse_direction_NS_24const_host_device_scalarIT2_EEPKiS6_PKS3_S8_S4_PS3_21rocsparse_index_base_b,@function
_ZN9rocsparseL19gebsrmvn_2xn_kernelILj128ELj3ELj8EfEEvi20rocsparse_direction_NS_24const_host_device_scalarIT2_EEPKiS6_PKS3_S8_S4_PS3_21rocsparse_index_base_b: ; @_ZN9rocsparseL19gebsrmvn_2xn_kernelILj128ELj3ELj8EfEEvi20rocsparse_direction_NS_24const_host_device_scalarIT2_EEPKiS6_PKS3_S8_S4_PS3_21rocsparse_index_base_b
; %bb.0:
	s_load_dwordx2 s[16:17], s[0:1], 0x40
	s_load_dwordx2 s[14:15], s[0:1], 0x8
	;; [unrolled: 1-line block ×3, first 2 shown]
	s_waitcnt lgkmcnt(0)
	s_bitcmp1_b32 s17, 0
	s_cselect_b64 s[6:7], -1, 0
	s_xor_b64 s[4:5], s[6:7], -1
	s_and_b64 vcc, exec, s[6:7]
	s_cbranch_vccnz .LBB6_2
; %bb.1:
	s_load_dword s14, s[14:15], 0x0
.LBB6_2:
	s_andn2_b64 vcc, exec, s[4:5]
	s_cbranch_vccnz .LBB6_4
; %bb.3:
	s_load_dword s12, s[12:13], 0x0
.LBB6_4:
	s_waitcnt lgkmcnt(0)
	v_cmp_eq_f32_e64 s[4:5], s14, 0
	v_cmp_eq_f32_e64 s[6:7], s12, 1.0
	s_and_b64 s[4:5], s[4:5], s[6:7]
	s_and_b64 vcc, exec, s[4:5]
	s_cbranch_vccnz .LBB6_22
; %bb.5:
	s_load_dwordx2 s[18:19], s[0:1], 0x0
	v_lshrrev_b32_e32 v1, 3, v0
	v_lshl_or_b32 v2, s2, 4, v1
	s_waitcnt lgkmcnt(0)
	v_cmp_gt_i32_e32 vcc, s18, v2
	s_and_saveexec_b64 s[2:3], vcc
	s_cbranch_execz .LBB6_22
; %bb.6:
	s_load_dwordx8 s[4:11], s[0:1], 0x10
	v_ashrrev_i32_e32 v3, 31, v2
	s_cmp_lg_u32 s19, 0
	s_waitcnt lgkmcnt(0)
	v_lshl_add_u64 v[4:5], v[2:3], 2, s[4:5]
	global_load_dwordx2 v[4:5], v[4:5], off
	v_and_b32_e32 v3, 7, v0
	s_waitcnt vmcnt(0)
	v_subrev_u32_e32 v0, s16, v4
	v_subrev_u32_e32 v10, s16, v5
	v_add_u32_e32 v0, v0, v3
	v_cmp_lt_i32_e64 s[2:3], v0, v10
	s_cbranch_scc0 .LBB6_12
; %bb.7:
	v_mov_b32_e32 v5, 0
	v_mov_b32_e32 v4, v5
	s_and_saveexec_b64 s[4:5], s[2:3]
	s_cbranch_execz .LBB6_11
; %bb.8:
	v_mov_b32_e32 v7, 0
	v_mul_lo_u32 v6, v0, 6
	s_mov_b64 s[18:19], 0
	v_mov_b32_e32 v8, v0
	v_mov_b32_e32 v4, v7
	;; [unrolled: 1-line block ×3, first 2 shown]
.LBB6_9:                                ; =>This Inner Loop Header: Depth=1
	v_ashrrev_i32_e32 v9, 31, v8
	v_lshl_add_u64 v[12:13], v[8:9], 2, s[6:7]
	global_load_dword v1, v[12:13], off
	v_add_u32_e32 v16, 2, v6
	v_mov_b32_e32 v17, v7
	v_lshl_add_u64 v[12:13], v[6:7], 2, s[8:9]
	v_mov_b32_e32 v15, v7
	v_add_u32_e32 v20, 4, v6
	v_mov_b32_e32 v21, v7
	v_lshl_add_u64 v[16:17], v[16:17], 2, s[8:9]
	global_load_dwordx2 v[12:13], v[12:13], off
	v_lshl_add_u64 v[20:21], v[20:21], 2, s[8:9]
	global_load_dwordx2 v[24:25], v[16:17], off
	global_load_dwordx2 v[26:27], v[20:21], off
	v_mov_b32_e32 v19, v7
	v_mov_b32_e32 v23, v7
	v_add_u32_e32 v8, 8, v8
	v_cmp_ge_i32_e32 vcc, v8, v10
	v_add_u32_e32 v6, 48, v6
	s_or_b64 s[18:19], vcc, s[18:19]
	s_waitcnt vmcnt(3)
	v_subrev_u32_e32 v1, s16, v1
	v_lshl_add_u32 v14, v1, 1, v1
	v_lshl_add_u64 v[16:17], v[14:15], 2, s[10:11]
	v_add_u32_e32 v18, 1, v14
	v_add_u32_e32 v22, 2, v14
	global_load_dword v14, v[16:17], off
	v_lshl_add_u64 v[16:17], v[18:19], 2, s[10:11]
	v_lshl_add_u64 v[18:19], v[22:23], 2, s[10:11]
	global_load_dword v20, v[16:17], off
	global_load_dword v22, v[18:19], off
	s_waitcnt vmcnt(2)
	v_pk_fma_f32 v[4:5], v[12:13], v[14:15], v[4:5] op_sel_hi:[1,0,1]
	s_waitcnt vmcnt(1)
	v_pk_fma_f32 v[4:5], v[24:25], v[20:21], v[4:5] op_sel_hi:[1,0,1]
	;; [unrolled: 2-line block ×3, first 2 shown]
	s_andn2_b64 exec, exec, s[18:19]
	s_cbranch_execnz .LBB6_9
; %bb.10:
	s_or_b64 exec, exec, s[18:19]
.LBB6_11:
	s_or_b64 exec, exec, s[4:5]
	s_cbranch_execz .LBB6_13
	s_branch .LBB6_18
.LBB6_12:
                                        ; implicit-def: $vgpr5
.LBB6_13:
	v_mov_b32_e32 v5, 0
	v_mov_b32_e32 v4, v5
	s_and_saveexec_b64 s[4:5], s[2:3]
	s_cbranch_execz .LBB6_17
; %bb.14:
	v_mad_u64_u32 v[6:7], s[2:3], v0, 6, 5
	v_mov_b32_e32 v9, 0
	s_mov_b64 s[2:3], 0
	v_mov_b32_e32 v4, v9
	v_mov_b32_e32 v5, v9
.LBB6_15:                               ; =>This Inner Loop Header: Depth=1
	v_ashrrev_i32_e32 v1, 31, v0
	v_lshl_add_u64 v[12:13], v[0:1], 2, s[6:7]
	global_load_dword v1, v[12:13], off
	v_add_u32_e32 v8, -5, v6
	v_add_u32_e32 v12, -2, v6
	v_mov_b32_e32 v13, v9
	v_mov_b32_e32 v7, v9
	v_lshl_add_u64 v[16:17], v[8:9], 2, s[8:9]
	v_mov_b32_e32 v15, v9
	v_lshl_add_u64 v[12:13], v[12:13], 2, s[8:9]
	v_lshl_add_u64 v[18:19], v[6:7], 2, s[8:9]
	global_load_dwordx2 v[20:21], v[16:17], off
	global_load_dword v23, v[12:13], off
	global_load_dword v25, v[18:19], off
	v_add_u32_e32 v0, 8, v0
	v_cmp_ge_i32_e32 vcc, v0, v10
	s_or_b64 s[2:3], vcc, s[2:3]
	s_waitcnt vmcnt(3)
	v_subrev_u32_e32 v1, s16, v1
	v_lshl_add_u32 v14, v1, 1, v1
	v_add_u32_e32 v8, 1, v14
	v_lshl_add_u64 v[16:17], v[8:9], 2, s[10:11]
	v_add_u32_e32 v8, -1, v6
	v_lshl_add_u64 v[12:13], v[14:15], 2, s[10:11]
	v_lshl_add_u64 v[18:19], v[8:9], 2, s[8:9]
	v_add_u32_e32 v8, -3, v6
	global_load_dword v12, v[12:13], off
	v_lshl_add_u64 v[26:27], v[8:9], 2, s[8:9]
	global_load_dword v16, v[16:17], off
	v_add_u32_e32 v8, 2, v14
	global_load_dword v15, v[18:19], off
	global_load_dword v24, v[26:27], off
	v_lshl_add_u64 v[18:19], v[8:9], 2, s[10:11]
	global_load_dword v8, v[18:19], off
	s_waitcnt vmcnt(7)
	v_mov_b32_e32 v22, v20
	v_mov_b32_e32 v14, v21
	v_add_u32_e32 v6, 48, v6
	s_waitcnt vmcnt(4)
	v_pk_fma_f32 v[4:5], v[22:23], v[12:13], v[4:5] op_sel_hi:[1,0,1]
	s_waitcnt vmcnt(2)
	v_pk_fma_f32 v[4:5], v[14:15], v[16:17], v[4:5] op_sel_hi:[1,0,1]
	;; [unrolled: 2-line block ×3, first 2 shown]
	s_andn2_b64 exec, exec, s[2:3]
	s_cbranch_execnz .LBB6_15
; %bb.16:
	s_or_b64 exec, exec, s[2:3]
.LBB6_17:
	s_or_b64 exec, exec, s[4:5]
.LBB6_18:
	v_mov_b32_dpp v0, v4 row_shr:1 row_mask:0xf bank_mask:0xf
	v_mov_b32_dpp v1, v5 row_shr:1 row_mask:0xf bank_mask:0xf
	v_pk_add_f32 v[0:1], v[4:5], v[0:1]
	v_cmp_eq_u32_e32 vcc, 7, v3
	s_nop 0
	v_mov_b32_dpp v4, v0 row_shr:2 row_mask:0xf bank_mask:0xf
	v_mov_b32_dpp v5, v1 row_shr:2 row_mask:0xf bank_mask:0xf
	v_pk_add_f32 v[0:1], v[0:1], v[4:5]
	s_nop 1
	v_mov_b32_dpp v4, v0 row_shr:4 row_mask:0xf bank_mask:0xe
	v_mov_b32_dpp v5, v1 row_shr:4 row_mask:0xf bank_mask:0xe
	s_and_b64 exec, exec, vcc
	s_cbranch_execz .LBB6_22
; %bb.19:
	s_load_dwordx2 s[0:1], s[0:1], 0x38
	v_cmp_eq_f32_e64 s[2:3], s12, 0
	v_pk_add_f32 v[0:1], v[0:1], v[4:5]
	s_and_b64 vcc, exec, s[2:3]
	v_lshlrev_b32_e32 v2, 1, v2
	s_cbranch_vccz .LBB6_23
; %bb.20:
	v_ashrrev_i32_e32 v3, 31, v2
	s_waitcnt lgkmcnt(0)
	v_lshl_add_u64 v[4:5], v[2:3], 2, s[0:1]
	v_pk_mul_f32 v[6:7], s[14:15], v[0:1] op_sel_hi:[0,1]
	global_store_dwordx2 v[4:5], v[6:7], off
	s_cbranch_execnz .LBB6_22
.LBB6_21:
	v_ashrrev_i32_e32 v3, 31, v2
	s_waitcnt lgkmcnt(0)
	v_lshl_add_u64 v[2:3], v[2:3], 2, s[0:1]
	global_load_dwordx2 v[4:5], v[2:3], off
	v_pk_mul_f32 v[0:1], s[14:15], v[0:1] op_sel_hi:[0,1]
	s_waitcnt vmcnt(0)
	v_pk_fma_f32 v[0:1], s[12:13], v[4:5], v[0:1] op_sel_hi:[0,1,1]
	global_store_dwordx2 v[2:3], v[0:1], off
.LBB6_22:
	s_endpgm
.LBB6_23:
	s_branch .LBB6_21
	.section	.rodata,"a",@progbits
	.p2align	6, 0x0
	.amdhsa_kernel _ZN9rocsparseL19gebsrmvn_2xn_kernelILj128ELj3ELj8EfEEvi20rocsparse_direction_NS_24const_host_device_scalarIT2_EEPKiS6_PKS3_S8_S4_PS3_21rocsparse_index_base_b
		.amdhsa_group_segment_fixed_size 0
		.amdhsa_private_segment_fixed_size 0
		.amdhsa_kernarg_size 72
		.amdhsa_user_sgpr_count 2
		.amdhsa_user_sgpr_dispatch_ptr 0
		.amdhsa_user_sgpr_queue_ptr 0
		.amdhsa_user_sgpr_kernarg_segment_ptr 1
		.amdhsa_user_sgpr_dispatch_id 0
		.amdhsa_user_sgpr_kernarg_preload_length 0
		.amdhsa_user_sgpr_kernarg_preload_offset 0
		.amdhsa_user_sgpr_private_segment_size 0
		.amdhsa_uses_dynamic_stack 0
		.amdhsa_enable_private_segment 0
		.amdhsa_system_sgpr_workgroup_id_x 1
		.amdhsa_system_sgpr_workgroup_id_y 0
		.amdhsa_system_sgpr_workgroup_id_z 0
		.amdhsa_system_sgpr_workgroup_info 0
		.amdhsa_system_vgpr_workitem_id 0
		.amdhsa_next_free_vgpr 28
		.amdhsa_next_free_sgpr 20
		.amdhsa_accum_offset 28
		.amdhsa_reserve_vcc 1
		.amdhsa_float_round_mode_32 0
		.amdhsa_float_round_mode_16_64 0
		.amdhsa_float_denorm_mode_32 3
		.amdhsa_float_denorm_mode_16_64 3
		.amdhsa_dx10_clamp 1
		.amdhsa_ieee_mode 1
		.amdhsa_fp16_overflow 0
		.amdhsa_tg_split 0
		.amdhsa_exception_fp_ieee_invalid_op 0
		.amdhsa_exception_fp_denorm_src 0
		.amdhsa_exception_fp_ieee_div_zero 0
		.amdhsa_exception_fp_ieee_overflow 0
		.amdhsa_exception_fp_ieee_underflow 0
		.amdhsa_exception_fp_ieee_inexact 0
		.amdhsa_exception_int_div_zero 0
	.end_amdhsa_kernel
	.section	.text._ZN9rocsparseL19gebsrmvn_2xn_kernelILj128ELj3ELj8EfEEvi20rocsparse_direction_NS_24const_host_device_scalarIT2_EEPKiS6_PKS3_S8_S4_PS3_21rocsparse_index_base_b,"axG",@progbits,_ZN9rocsparseL19gebsrmvn_2xn_kernelILj128ELj3ELj8EfEEvi20rocsparse_direction_NS_24const_host_device_scalarIT2_EEPKiS6_PKS3_S8_S4_PS3_21rocsparse_index_base_b,comdat
.Lfunc_end6:
	.size	_ZN9rocsparseL19gebsrmvn_2xn_kernelILj128ELj3ELj8EfEEvi20rocsparse_direction_NS_24const_host_device_scalarIT2_EEPKiS6_PKS3_S8_S4_PS3_21rocsparse_index_base_b, .Lfunc_end6-_ZN9rocsparseL19gebsrmvn_2xn_kernelILj128ELj3ELj8EfEEvi20rocsparse_direction_NS_24const_host_device_scalarIT2_EEPKiS6_PKS3_S8_S4_PS3_21rocsparse_index_base_b
                                        ; -- End function
	.section	.AMDGPU.csdata,"",@progbits
; Kernel info:
; codeLenInByte = 1032
; NumSgprs: 26
; NumVgprs: 28
; NumAgprs: 0
; TotalNumVgprs: 28
; ScratchSize: 0
; MemoryBound: 0
; FloatMode: 240
; IeeeMode: 1
; LDSByteSize: 0 bytes/workgroup (compile time only)
; SGPRBlocks: 3
; VGPRBlocks: 3
; NumSGPRsForWavesPerEU: 26
; NumVGPRsForWavesPerEU: 28
; AccumOffset: 28
; Occupancy: 8
; WaveLimiterHint : 1
; COMPUTE_PGM_RSRC2:SCRATCH_EN: 0
; COMPUTE_PGM_RSRC2:USER_SGPR: 2
; COMPUTE_PGM_RSRC2:TRAP_HANDLER: 0
; COMPUTE_PGM_RSRC2:TGID_X_EN: 1
; COMPUTE_PGM_RSRC2:TGID_Y_EN: 0
; COMPUTE_PGM_RSRC2:TGID_Z_EN: 0
; COMPUTE_PGM_RSRC2:TIDIG_COMP_CNT: 0
; COMPUTE_PGM_RSRC3_GFX90A:ACCUM_OFFSET: 6
; COMPUTE_PGM_RSRC3_GFX90A:TG_SPLIT: 0
	.section	.text._ZN9rocsparseL19gebsrmvn_2xn_kernelILj128ELj3ELj16EfEEvi20rocsparse_direction_NS_24const_host_device_scalarIT2_EEPKiS6_PKS3_S8_S4_PS3_21rocsparse_index_base_b,"axG",@progbits,_ZN9rocsparseL19gebsrmvn_2xn_kernelILj128ELj3ELj16EfEEvi20rocsparse_direction_NS_24const_host_device_scalarIT2_EEPKiS6_PKS3_S8_S4_PS3_21rocsparse_index_base_b,comdat
	.globl	_ZN9rocsparseL19gebsrmvn_2xn_kernelILj128ELj3ELj16EfEEvi20rocsparse_direction_NS_24const_host_device_scalarIT2_EEPKiS6_PKS3_S8_S4_PS3_21rocsparse_index_base_b ; -- Begin function _ZN9rocsparseL19gebsrmvn_2xn_kernelILj128ELj3ELj16EfEEvi20rocsparse_direction_NS_24const_host_device_scalarIT2_EEPKiS6_PKS3_S8_S4_PS3_21rocsparse_index_base_b
	.p2align	8
	.type	_ZN9rocsparseL19gebsrmvn_2xn_kernelILj128ELj3ELj16EfEEvi20rocsparse_direction_NS_24const_host_device_scalarIT2_EEPKiS6_PKS3_S8_S4_PS3_21rocsparse_index_base_b,@function
_ZN9rocsparseL19gebsrmvn_2xn_kernelILj128ELj3ELj16EfEEvi20rocsparse_direction_NS_24const_host_device_scalarIT2_EEPKiS6_PKS3_S8_S4_PS3_21rocsparse_index_base_b: ; @_ZN9rocsparseL19gebsrmvn_2xn_kernelILj128ELj3ELj16EfEEvi20rocsparse_direction_NS_24const_host_device_scalarIT2_EEPKiS6_PKS3_S8_S4_PS3_21rocsparse_index_base_b
; %bb.0:
	s_load_dwordx2 s[16:17], s[0:1], 0x40
	s_load_dwordx2 s[14:15], s[0:1], 0x8
	;; [unrolled: 1-line block ×3, first 2 shown]
	s_waitcnt lgkmcnt(0)
	s_bitcmp1_b32 s17, 0
	s_cselect_b64 s[6:7], -1, 0
	s_xor_b64 s[4:5], s[6:7], -1
	s_and_b64 vcc, exec, s[6:7]
	s_cbranch_vccnz .LBB7_2
; %bb.1:
	s_load_dword s14, s[14:15], 0x0
.LBB7_2:
	s_andn2_b64 vcc, exec, s[4:5]
	s_cbranch_vccnz .LBB7_4
; %bb.3:
	s_load_dword s12, s[12:13], 0x0
.LBB7_4:
	s_waitcnt lgkmcnt(0)
	v_cmp_eq_f32_e64 s[4:5], s14, 0
	v_cmp_eq_f32_e64 s[6:7], s12, 1.0
	s_and_b64 s[4:5], s[4:5], s[6:7]
	s_and_b64 vcc, exec, s[4:5]
	s_cbranch_vccnz .LBB7_22
; %bb.5:
	s_load_dwordx2 s[18:19], s[0:1], 0x0
	v_lshrrev_b32_e32 v1, 4, v0
	v_lshl_or_b32 v2, s2, 3, v1
	s_waitcnt lgkmcnt(0)
	v_cmp_gt_i32_e32 vcc, s18, v2
	s_and_saveexec_b64 s[2:3], vcc
	s_cbranch_execz .LBB7_22
; %bb.6:
	s_load_dwordx8 s[4:11], s[0:1], 0x10
	v_ashrrev_i32_e32 v3, 31, v2
	s_cmp_lg_u32 s19, 0
	s_waitcnt lgkmcnt(0)
	v_lshl_add_u64 v[4:5], v[2:3], 2, s[4:5]
	global_load_dwordx2 v[4:5], v[4:5], off
	v_and_b32_e32 v3, 15, v0
	s_waitcnt vmcnt(0)
	v_subrev_u32_e32 v0, s16, v4
	v_subrev_u32_e32 v10, s16, v5
	v_add_u32_e32 v0, v0, v3
	v_cmp_lt_i32_e64 s[2:3], v0, v10
	s_cbranch_scc0 .LBB7_12
; %bb.7:
	v_mov_b32_e32 v5, 0
	v_mov_b32_e32 v4, v5
	s_and_saveexec_b64 s[4:5], s[2:3]
	s_cbranch_execz .LBB7_11
; %bb.8:
	v_mov_b32_e32 v7, 0
	v_mul_lo_u32 v6, v0, 6
	s_mov_b64 s[18:19], 0
	v_mov_b32_e32 v8, v0
	v_mov_b32_e32 v4, v7
	;; [unrolled: 1-line block ×3, first 2 shown]
.LBB7_9:                                ; =>This Inner Loop Header: Depth=1
	v_ashrrev_i32_e32 v9, 31, v8
	v_lshl_add_u64 v[12:13], v[8:9], 2, s[6:7]
	global_load_dword v1, v[12:13], off
	v_add_u32_e32 v16, 2, v6
	v_mov_b32_e32 v17, v7
	v_lshl_add_u64 v[12:13], v[6:7], 2, s[8:9]
	v_mov_b32_e32 v15, v7
	v_add_u32_e32 v20, 4, v6
	v_mov_b32_e32 v21, v7
	v_lshl_add_u64 v[16:17], v[16:17], 2, s[8:9]
	global_load_dwordx2 v[12:13], v[12:13], off
	v_lshl_add_u64 v[20:21], v[20:21], 2, s[8:9]
	global_load_dwordx2 v[24:25], v[16:17], off
	global_load_dwordx2 v[26:27], v[20:21], off
	v_mov_b32_e32 v19, v7
	v_mov_b32_e32 v23, v7
	v_add_u32_e32 v8, 16, v8
	v_cmp_ge_i32_e32 vcc, v8, v10
	v_add_u32_e32 v6, 0x60, v6
	s_or_b64 s[18:19], vcc, s[18:19]
	s_waitcnt vmcnt(3)
	v_subrev_u32_e32 v1, s16, v1
	v_lshl_add_u32 v14, v1, 1, v1
	v_lshl_add_u64 v[16:17], v[14:15], 2, s[10:11]
	v_add_u32_e32 v18, 1, v14
	v_add_u32_e32 v22, 2, v14
	global_load_dword v14, v[16:17], off
	v_lshl_add_u64 v[16:17], v[18:19], 2, s[10:11]
	v_lshl_add_u64 v[18:19], v[22:23], 2, s[10:11]
	global_load_dword v20, v[16:17], off
	global_load_dword v22, v[18:19], off
	s_waitcnt vmcnt(2)
	v_pk_fma_f32 v[4:5], v[12:13], v[14:15], v[4:5] op_sel_hi:[1,0,1]
	s_waitcnt vmcnt(1)
	v_pk_fma_f32 v[4:5], v[24:25], v[20:21], v[4:5] op_sel_hi:[1,0,1]
	;; [unrolled: 2-line block ×3, first 2 shown]
	s_andn2_b64 exec, exec, s[18:19]
	s_cbranch_execnz .LBB7_9
; %bb.10:
	s_or_b64 exec, exec, s[18:19]
.LBB7_11:
	s_or_b64 exec, exec, s[4:5]
	s_cbranch_execz .LBB7_13
	s_branch .LBB7_18
.LBB7_12:
                                        ; implicit-def: $vgpr5
.LBB7_13:
	v_mov_b32_e32 v5, 0
	v_mov_b32_e32 v4, v5
	s_and_saveexec_b64 s[4:5], s[2:3]
	s_cbranch_execz .LBB7_17
; %bb.14:
	v_mad_u64_u32 v[6:7], s[2:3], v0, 6, 5
	v_mov_b32_e32 v9, 0
	s_mov_b64 s[2:3], 0
	v_mov_b32_e32 v4, v9
	v_mov_b32_e32 v5, v9
.LBB7_15:                               ; =>This Inner Loop Header: Depth=1
	v_ashrrev_i32_e32 v1, 31, v0
	v_lshl_add_u64 v[12:13], v[0:1], 2, s[6:7]
	global_load_dword v1, v[12:13], off
	v_add_u32_e32 v8, -5, v6
	v_add_u32_e32 v12, -2, v6
	v_mov_b32_e32 v13, v9
	v_mov_b32_e32 v7, v9
	v_lshl_add_u64 v[16:17], v[8:9], 2, s[8:9]
	v_mov_b32_e32 v15, v9
	v_lshl_add_u64 v[12:13], v[12:13], 2, s[8:9]
	v_lshl_add_u64 v[18:19], v[6:7], 2, s[8:9]
	global_load_dwordx2 v[20:21], v[16:17], off
	global_load_dword v23, v[12:13], off
	global_load_dword v25, v[18:19], off
	v_add_u32_e32 v0, 16, v0
	v_cmp_ge_i32_e32 vcc, v0, v10
	s_or_b64 s[2:3], vcc, s[2:3]
	s_waitcnt vmcnt(3)
	v_subrev_u32_e32 v1, s16, v1
	v_lshl_add_u32 v14, v1, 1, v1
	v_add_u32_e32 v8, 1, v14
	v_lshl_add_u64 v[16:17], v[8:9], 2, s[10:11]
	v_add_u32_e32 v8, -1, v6
	v_lshl_add_u64 v[12:13], v[14:15], 2, s[10:11]
	v_lshl_add_u64 v[18:19], v[8:9], 2, s[8:9]
	v_add_u32_e32 v8, -3, v6
	global_load_dword v12, v[12:13], off
	v_lshl_add_u64 v[26:27], v[8:9], 2, s[8:9]
	global_load_dword v16, v[16:17], off
	v_add_u32_e32 v8, 2, v14
	global_load_dword v15, v[18:19], off
	global_load_dword v24, v[26:27], off
	v_lshl_add_u64 v[18:19], v[8:9], 2, s[10:11]
	global_load_dword v8, v[18:19], off
	s_waitcnt vmcnt(7)
	v_mov_b32_e32 v22, v20
	v_mov_b32_e32 v14, v21
	v_add_u32_e32 v6, 0x60, v6
	s_waitcnt vmcnt(4)
	v_pk_fma_f32 v[4:5], v[22:23], v[12:13], v[4:5] op_sel_hi:[1,0,1]
	s_waitcnt vmcnt(2)
	v_pk_fma_f32 v[4:5], v[14:15], v[16:17], v[4:5] op_sel_hi:[1,0,1]
	s_waitcnt vmcnt(0)
	v_pk_fma_f32 v[4:5], v[24:25], v[8:9], v[4:5] op_sel_hi:[1,0,1]
	s_andn2_b64 exec, exec, s[2:3]
	s_cbranch_execnz .LBB7_15
; %bb.16:
	s_or_b64 exec, exec, s[2:3]
.LBB7_17:
	s_or_b64 exec, exec, s[4:5]
.LBB7_18:
	v_mov_b32_dpp v0, v4 row_shr:1 row_mask:0xf bank_mask:0xf
	v_mov_b32_dpp v1, v5 row_shr:1 row_mask:0xf bank_mask:0xf
	v_pk_add_f32 v[0:1], v[4:5], v[0:1]
	v_cmp_eq_u32_e32 vcc, 15, v3
	s_nop 0
	v_mov_b32_dpp v4, v0 row_shr:2 row_mask:0xf bank_mask:0xf
	v_mov_b32_dpp v5, v1 row_shr:2 row_mask:0xf bank_mask:0xf
	v_pk_add_f32 v[0:1], v[0:1], v[4:5]
	s_nop 1
	v_mov_b32_dpp v4, v0 row_shr:4 row_mask:0xf bank_mask:0xe
	v_mov_b32_dpp v5, v1 row_shr:4 row_mask:0xf bank_mask:0xe
	v_pk_add_f32 v[0:1], v[0:1], v[4:5]
	s_nop 1
	v_mov_b32_dpp v4, v0 row_shr:8 row_mask:0xf bank_mask:0xc
	v_mov_b32_dpp v5, v1 row_shr:8 row_mask:0xf bank_mask:0xc
	s_and_b64 exec, exec, vcc
	s_cbranch_execz .LBB7_22
; %bb.19:
	s_load_dwordx2 s[0:1], s[0:1], 0x38
	v_cmp_eq_f32_e64 s[2:3], s12, 0
	v_pk_add_f32 v[0:1], v[0:1], v[4:5]
	s_and_b64 vcc, exec, s[2:3]
	v_lshlrev_b32_e32 v2, 1, v2
	s_cbranch_vccz .LBB7_23
; %bb.20:
	v_ashrrev_i32_e32 v3, 31, v2
	s_waitcnt lgkmcnt(0)
	v_lshl_add_u64 v[4:5], v[2:3], 2, s[0:1]
	v_pk_mul_f32 v[6:7], s[14:15], v[0:1] op_sel_hi:[0,1]
	global_store_dwordx2 v[4:5], v[6:7], off
	s_cbranch_execnz .LBB7_22
.LBB7_21:
	v_ashrrev_i32_e32 v3, 31, v2
	s_waitcnt lgkmcnt(0)
	v_lshl_add_u64 v[2:3], v[2:3], 2, s[0:1]
	global_load_dwordx2 v[4:5], v[2:3], off
	v_pk_mul_f32 v[0:1], s[14:15], v[0:1] op_sel_hi:[0,1]
	s_waitcnt vmcnt(0)
	v_pk_fma_f32 v[0:1], s[12:13], v[4:5], v[0:1] op_sel_hi:[0,1,1]
	global_store_dwordx2 v[2:3], v[0:1], off
.LBB7_22:
	s_endpgm
.LBB7_23:
	s_branch .LBB7_21
	.section	.rodata,"a",@progbits
	.p2align	6, 0x0
	.amdhsa_kernel _ZN9rocsparseL19gebsrmvn_2xn_kernelILj128ELj3ELj16EfEEvi20rocsparse_direction_NS_24const_host_device_scalarIT2_EEPKiS6_PKS3_S8_S4_PS3_21rocsparse_index_base_b
		.amdhsa_group_segment_fixed_size 0
		.amdhsa_private_segment_fixed_size 0
		.amdhsa_kernarg_size 72
		.amdhsa_user_sgpr_count 2
		.amdhsa_user_sgpr_dispatch_ptr 0
		.amdhsa_user_sgpr_queue_ptr 0
		.amdhsa_user_sgpr_kernarg_segment_ptr 1
		.amdhsa_user_sgpr_dispatch_id 0
		.amdhsa_user_sgpr_kernarg_preload_length 0
		.amdhsa_user_sgpr_kernarg_preload_offset 0
		.amdhsa_user_sgpr_private_segment_size 0
		.amdhsa_uses_dynamic_stack 0
		.amdhsa_enable_private_segment 0
		.amdhsa_system_sgpr_workgroup_id_x 1
		.amdhsa_system_sgpr_workgroup_id_y 0
		.amdhsa_system_sgpr_workgroup_id_z 0
		.amdhsa_system_sgpr_workgroup_info 0
		.amdhsa_system_vgpr_workitem_id 0
		.amdhsa_next_free_vgpr 28
		.amdhsa_next_free_sgpr 20
		.amdhsa_accum_offset 28
		.amdhsa_reserve_vcc 1
		.amdhsa_float_round_mode_32 0
		.amdhsa_float_round_mode_16_64 0
		.amdhsa_float_denorm_mode_32 3
		.amdhsa_float_denorm_mode_16_64 3
		.amdhsa_dx10_clamp 1
		.amdhsa_ieee_mode 1
		.amdhsa_fp16_overflow 0
		.amdhsa_tg_split 0
		.amdhsa_exception_fp_ieee_invalid_op 0
		.amdhsa_exception_fp_denorm_src 0
		.amdhsa_exception_fp_ieee_div_zero 0
		.amdhsa_exception_fp_ieee_overflow 0
		.amdhsa_exception_fp_ieee_underflow 0
		.amdhsa_exception_fp_ieee_inexact 0
		.amdhsa_exception_int_div_zero 0
	.end_amdhsa_kernel
	.section	.text._ZN9rocsparseL19gebsrmvn_2xn_kernelILj128ELj3ELj16EfEEvi20rocsparse_direction_NS_24const_host_device_scalarIT2_EEPKiS6_PKS3_S8_S4_PS3_21rocsparse_index_base_b,"axG",@progbits,_ZN9rocsparseL19gebsrmvn_2xn_kernelILj128ELj3ELj16EfEEvi20rocsparse_direction_NS_24const_host_device_scalarIT2_EEPKiS6_PKS3_S8_S4_PS3_21rocsparse_index_base_b,comdat
.Lfunc_end7:
	.size	_ZN9rocsparseL19gebsrmvn_2xn_kernelILj128ELj3ELj16EfEEvi20rocsparse_direction_NS_24const_host_device_scalarIT2_EEPKiS6_PKS3_S8_S4_PS3_21rocsparse_index_base_b, .Lfunc_end7-_ZN9rocsparseL19gebsrmvn_2xn_kernelILj128ELj3ELj16EfEEvi20rocsparse_direction_NS_24const_host_device_scalarIT2_EEPKiS6_PKS3_S8_S4_PS3_21rocsparse_index_base_b
                                        ; -- End function
	.section	.AMDGPU.csdata,"",@progbits
; Kernel info:
; codeLenInByte = 1068
; NumSgprs: 26
; NumVgprs: 28
; NumAgprs: 0
; TotalNumVgprs: 28
; ScratchSize: 0
; MemoryBound: 0
; FloatMode: 240
; IeeeMode: 1
; LDSByteSize: 0 bytes/workgroup (compile time only)
; SGPRBlocks: 3
; VGPRBlocks: 3
; NumSGPRsForWavesPerEU: 26
; NumVGPRsForWavesPerEU: 28
; AccumOffset: 28
; Occupancy: 8
; WaveLimiterHint : 1
; COMPUTE_PGM_RSRC2:SCRATCH_EN: 0
; COMPUTE_PGM_RSRC2:USER_SGPR: 2
; COMPUTE_PGM_RSRC2:TRAP_HANDLER: 0
; COMPUTE_PGM_RSRC2:TGID_X_EN: 1
; COMPUTE_PGM_RSRC2:TGID_Y_EN: 0
; COMPUTE_PGM_RSRC2:TGID_Z_EN: 0
; COMPUTE_PGM_RSRC2:TIDIG_COMP_CNT: 0
; COMPUTE_PGM_RSRC3_GFX90A:ACCUM_OFFSET: 6
; COMPUTE_PGM_RSRC3_GFX90A:TG_SPLIT: 0
	.section	.text._ZN9rocsparseL19gebsrmvn_2xn_kernelILj128ELj3ELj32EfEEvi20rocsparse_direction_NS_24const_host_device_scalarIT2_EEPKiS6_PKS3_S8_S4_PS3_21rocsparse_index_base_b,"axG",@progbits,_ZN9rocsparseL19gebsrmvn_2xn_kernelILj128ELj3ELj32EfEEvi20rocsparse_direction_NS_24const_host_device_scalarIT2_EEPKiS6_PKS3_S8_S4_PS3_21rocsparse_index_base_b,comdat
	.globl	_ZN9rocsparseL19gebsrmvn_2xn_kernelILj128ELj3ELj32EfEEvi20rocsparse_direction_NS_24const_host_device_scalarIT2_EEPKiS6_PKS3_S8_S4_PS3_21rocsparse_index_base_b ; -- Begin function _ZN9rocsparseL19gebsrmvn_2xn_kernelILj128ELj3ELj32EfEEvi20rocsparse_direction_NS_24const_host_device_scalarIT2_EEPKiS6_PKS3_S8_S4_PS3_21rocsparse_index_base_b
	.p2align	8
	.type	_ZN9rocsparseL19gebsrmvn_2xn_kernelILj128ELj3ELj32EfEEvi20rocsparse_direction_NS_24const_host_device_scalarIT2_EEPKiS6_PKS3_S8_S4_PS3_21rocsparse_index_base_b,@function
_ZN9rocsparseL19gebsrmvn_2xn_kernelILj128ELj3ELj32EfEEvi20rocsparse_direction_NS_24const_host_device_scalarIT2_EEPKiS6_PKS3_S8_S4_PS3_21rocsparse_index_base_b: ; @_ZN9rocsparseL19gebsrmvn_2xn_kernelILj128ELj3ELj32EfEEvi20rocsparse_direction_NS_24const_host_device_scalarIT2_EEPKiS6_PKS3_S8_S4_PS3_21rocsparse_index_base_b
; %bb.0:
	s_load_dwordx2 s[16:17], s[0:1], 0x40
	s_load_dwordx2 s[14:15], s[0:1], 0x8
	;; [unrolled: 1-line block ×3, first 2 shown]
	s_waitcnt lgkmcnt(0)
	s_bitcmp1_b32 s17, 0
	s_cselect_b64 s[6:7], -1, 0
	s_xor_b64 s[4:5], s[6:7], -1
	s_and_b64 vcc, exec, s[6:7]
	s_cbranch_vccnz .LBB8_2
; %bb.1:
	s_load_dword s14, s[14:15], 0x0
.LBB8_2:
	s_andn2_b64 vcc, exec, s[4:5]
	s_cbranch_vccnz .LBB8_4
; %bb.3:
	s_load_dword s12, s[12:13], 0x0
.LBB8_4:
	s_waitcnt lgkmcnt(0)
	v_cmp_eq_f32_e64 s[4:5], s14, 0
	v_cmp_eq_f32_e64 s[6:7], s12, 1.0
	s_and_b64 s[4:5], s[4:5], s[6:7]
	s_and_b64 vcc, exec, s[4:5]
	s_cbranch_vccnz .LBB8_22
; %bb.5:
	s_load_dwordx2 s[18:19], s[0:1], 0x0
	v_lshrrev_b32_e32 v1, 5, v0
	v_lshl_or_b32 v2, s2, 2, v1
	s_waitcnt lgkmcnt(0)
	v_cmp_gt_i32_e32 vcc, s18, v2
	s_and_saveexec_b64 s[2:3], vcc
	s_cbranch_execz .LBB8_22
; %bb.6:
	s_load_dwordx8 s[4:11], s[0:1], 0x10
	v_ashrrev_i32_e32 v3, 31, v2
	s_cmp_lg_u32 s19, 0
	s_waitcnt lgkmcnt(0)
	v_lshl_add_u64 v[4:5], v[2:3], 2, s[4:5]
	global_load_dwordx2 v[4:5], v[4:5], off
	v_and_b32_e32 v3, 31, v0
	s_waitcnt vmcnt(0)
	v_subrev_u32_e32 v0, s16, v4
	v_subrev_u32_e32 v10, s16, v5
	v_add_u32_e32 v0, v0, v3
	v_cmp_lt_i32_e64 s[2:3], v0, v10
	s_cbranch_scc0 .LBB8_12
; %bb.7:
	v_mov_b32_e32 v5, 0
	v_mov_b32_e32 v4, v5
	s_and_saveexec_b64 s[4:5], s[2:3]
	s_cbranch_execz .LBB8_11
; %bb.8:
	v_mov_b32_e32 v7, 0
	v_mul_lo_u32 v6, v0, 6
	s_mov_b64 s[18:19], 0
	v_mov_b32_e32 v8, v0
	v_mov_b32_e32 v4, v7
	;; [unrolled: 1-line block ×3, first 2 shown]
.LBB8_9:                                ; =>This Inner Loop Header: Depth=1
	v_ashrrev_i32_e32 v9, 31, v8
	v_lshl_add_u64 v[12:13], v[8:9], 2, s[6:7]
	global_load_dword v1, v[12:13], off
	v_add_u32_e32 v16, 2, v6
	v_mov_b32_e32 v17, v7
	v_lshl_add_u64 v[12:13], v[6:7], 2, s[8:9]
	v_mov_b32_e32 v15, v7
	v_add_u32_e32 v20, 4, v6
	v_mov_b32_e32 v21, v7
	v_lshl_add_u64 v[16:17], v[16:17], 2, s[8:9]
	global_load_dwordx2 v[12:13], v[12:13], off
	v_lshl_add_u64 v[20:21], v[20:21], 2, s[8:9]
	global_load_dwordx2 v[24:25], v[16:17], off
	global_load_dwordx2 v[26:27], v[20:21], off
	v_mov_b32_e32 v19, v7
	v_mov_b32_e32 v23, v7
	v_add_u32_e32 v8, 32, v8
	v_cmp_ge_i32_e32 vcc, v8, v10
	v_add_u32_e32 v6, 0xc0, v6
	s_or_b64 s[18:19], vcc, s[18:19]
	s_waitcnt vmcnt(3)
	v_subrev_u32_e32 v1, s16, v1
	v_lshl_add_u32 v14, v1, 1, v1
	v_lshl_add_u64 v[16:17], v[14:15], 2, s[10:11]
	v_add_u32_e32 v18, 1, v14
	v_add_u32_e32 v22, 2, v14
	global_load_dword v14, v[16:17], off
	v_lshl_add_u64 v[16:17], v[18:19], 2, s[10:11]
	v_lshl_add_u64 v[18:19], v[22:23], 2, s[10:11]
	global_load_dword v20, v[16:17], off
	global_load_dword v22, v[18:19], off
	s_waitcnt vmcnt(2)
	v_pk_fma_f32 v[4:5], v[12:13], v[14:15], v[4:5] op_sel_hi:[1,0,1]
	s_waitcnt vmcnt(1)
	v_pk_fma_f32 v[4:5], v[24:25], v[20:21], v[4:5] op_sel_hi:[1,0,1]
	;; [unrolled: 2-line block ×3, first 2 shown]
	s_andn2_b64 exec, exec, s[18:19]
	s_cbranch_execnz .LBB8_9
; %bb.10:
	s_or_b64 exec, exec, s[18:19]
.LBB8_11:
	s_or_b64 exec, exec, s[4:5]
	s_cbranch_execz .LBB8_13
	s_branch .LBB8_18
.LBB8_12:
                                        ; implicit-def: $vgpr5
.LBB8_13:
	v_mov_b32_e32 v5, 0
	v_mov_b32_e32 v4, v5
	s_and_saveexec_b64 s[4:5], s[2:3]
	s_cbranch_execz .LBB8_17
; %bb.14:
	v_mad_u64_u32 v[6:7], s[2:3], v0, 6, 5
	v_mov_b32_e32 v9, 0
	s_mov_b64 s[2:3], 0
	v_mov_b32_e32 v4, v9
	v_mov_b32_e32 v5, v9
.LBB8_15:                               ; =>This Inner Loop Header: Depth=1
	v_ashrrev_i32_e32 v1, 31, v0
	v_lshl_add_u64 v[12:13], v[0:1], 2, s[6:7]
	global_load_dword v1, v[12:13], off
	v_add_u32_e32 v8, -5, v6
	v_add_u32_e32 v12, -2, v6
	v_mov_b32_e32 v13, v9
	v_mov_b32_e32 v7, v9
	v_lshl_add_u64 v[16:17], v[8:9], 2, s[8:9]
	v_mov_b32_e32 v15, v9
	v_lshl_add_u64 v[12:13], v[12:13], 2, s[8:9]
	v_lshl_add_u64 v[18:19], v[6:7], 2, s[8:9]
	global_load_dwordx2 v[20:21], v[16:17], off
	global_load_dword v23, v[12:13], off
	global_load_dword v25, v[18:19], off
	v_add_u32_e32 v0, 32, v0
	v_cmp_ge_i32_e32 vcc, v0, v10
	s_or_b64 s[2:3], vcc, s[2:3]
	s_waitcnt vmcnt(3)
	v_subrev_u32_e32 v1, s16, v1
	v_lshl_add_u32 v14, v1, 1, v1
	v_add_u32_e32 v8, 1, v14
	v_lshl_add_u64 v[16:17], v[8:9], 2, s[10:11]
	v_add_u32_e32 v8, -1, v6
	v_lshl_add_u64 v[12:13], v[14:15], 2, s[10:11]
	v_lshl_add_u64 v[18:19], v[8:9], 2, s[8:9]
	v_add_u32_e32 v8, -3, v6
	global_load_dword v12, v[12:13], off
	v_lshl_add_u64 v[26:27], v[8:9], 2, s[8:9]
	global_load_dword v16, v[16:17], off
	v_add_u32_e32 v8, 2, v14
	global_load_dword v15, v[18:19], off
	global_load_dword v24, v[26:27], off
	v_lshl_add_u64 v[18:19], v[8:9], 2, s[10:11]
	global_load_dword v8, v[18:19], off
	s_waitcnt vmcnt(7)
	v_mov_b32_e32 v22, v20
	v_mov_b32_e32 v14, v21
	v_add_u32_e32 v6, 0xc0, v6
	s_waitcnt vmcnt(4)
	v_pk_fma_f32 v[4:5], v[22:23], v[12:13], v[4:5] op_sel_hi:[1,0,1]
	s_waitcnt vmcnt(2)
	v_pk_fma_f32 v[4:5], v[14:15], v[16:17], v[4:5] op_sel_hi:[1,0,1]
	s_waitcnt vmcnt(0)
	v_pk_fma_f32 v[4:5], v[24:25], v[8:9], v[4:5] op_sel_hi:[1,0,1]
	s_andn2_b64 exec, exec, s[2:3]
	s_cbranch_execnz .LBB8_15
; %bb.16:
	s_or_b64 exec, exec, s[2:3]
.LBB8_17:
	s_or_b64 exec, exec, s[4:5]
.LBB8_18:
	v_mov_b32_dpp v0, v4 row_shr:1 row_mask:0xf bank_mask:0xf
	v_mov_b32_dpp v1, v5 row_shr:1 row_mask:0xf bank_mask:0xf
	v_pk_add_f32 v[0:1], v[4:5], v[0:1]
	v_cmp_eq_u32_e32 vcc, 31, v3
	s_nop 0
	v_mov_b32_dpp v4, v0 row_shr:2 row_mask:0xf bank_mask:0xf
	v_mov_b32_dpp v5, v1 row_shr:2 row_mask:0xf bank_mask:0xf
	v_pk_add_f32 v[0:1], v[0:1], v[4:5]
	s_nop 1
	v_mov_b32_dpp v4, v0 row_shr:4 row_mask:0xf bank_mask:0xe
	v_mov_b32_dpp v5, v1 row_shr:4 row_mask:0xf bank_mask:0xe
	v_pk_add_f32 v[0:1], v[0:1], v[4:5]
	;; [unrolled: 4-line block ×3, first 2 shown]
	s_nop 1
	v_mov_b32_dpp v4, v0 row_bcast:15 row_mask:0xa bank_mask:0xf
	v_mov_b32_dpp v5, v1 row_bcast:15 row_mask:0xa bank_mask:0xf
	s_and_b64 exec, exec, vcc
	s_cbranch_execz .LBB8_22
; %bb.19:
	s_load_dwordx2 s[0:1], s[0:1], 0x38
	v_cmp_eq_f32_e64 s[2:3], s12, 0
	v_pk_add_f32 v[0:1], v[0:1], v[4:5]
	s_and_b64 vcc, exec, s[2:3]
	v_lshlrev_b32_e32 v2, 1, v2
	s_cbranch_vccz .LBB8_23
; %bb.20:
	v_ashrrev_i32_e32 v3, 31, v2
	s_waitcnt lgkmcnt(0)
	v_lshl_add_u64 v[4:5], v[2:3], 2, s[0:1]
	v_pk_mul_f32 v[6:7], s[14:15], v[0:1] op_sel_hi:[0,1]
	global_store_dwordx2 v[4:5], v[6:7], off
	s_cbranch_execnz .LBB8_22
.LBB8_21:
	v_ashrrev_i32_e32 v3, 31, v2
	s_waitcnt lgkmcnt(0)
	v_lshl_add_u64 v[2:3], v[2:3], 2, s[0:1]
	global_load_dwordx2 v[4:5], v[2:3], off
	v_pk_mul_f32 v[0:1], s[14:15], v[0:1] op_sel_hi:[0,1]
	s_waitcnt vmcnt(0)
	v_pk_fma_f32 v[0:1], s[12:13], v[4:5], v[0:1] op_sel_hi:[0,1,1]
	global_store_dwordx2 v[2:3], v[0:1], off
.LBB8_22:
	s_endpgm
.LBB8_23:
	s_branch .LBB8_21
	.section	.rodata,"a",@progbits
	.p2align	6, 0x0
	.amdhsa_kernel _ZN9rocsparseL19gebsrmvn_2xn_kernelILj128ELj3ELj32EfEEvi20rocsparse_direction_NS_24const_host_device_scalarIT2_EEPKiS6_PKS3_S8_S4_PS3_21rocsparse_index_base_b
		.amdhsa_group_segment_fixed_size 0
		.amdhsa_private_segment_fixed_size 0
		.amdhsa_kernarg_size 72
		.amdhsa_user_sgpr_count 2
		.amdhsa_user_sgpr_dispatch_ptr 0
		.amdhsa_user_sgpr_queue_ptr 0
		.amdhsa_user_sgpr_kernarg_segment_ptr 1
		.amdhsa_user_sgpr_dispatch_id 0
		.amdhsa_user_sgpr_kernarg_preload_length 0
		.amdhsa_user_sgpr_kernarg_preload_offset 0
		.amdhsa_user_sgpr_private_segment_size 0
		.amdhsa_uses_dynamic_stack 0
		.amdhsa_enable_private_segment 0
		.amdhsa_system_sgpr_workgroup_id_x 1
		.amdhsa_system_sgpr_workgroup_id_y 0
		.amdhsa_system_sgpr_workgroup_id_z 0
		.amdhsa_system_sgpr_workgroup_info 0
		.amdhsa_system_vgpr_workitem_id 0
		.amdhsa_next_free_vgpr 28
		.amdhsa_next_free_sgpr 20
		.amdhsa_accum_offset 28
		.amdhsa_reserve_vcc 1
		.amdhsa_float_round_mode_32 0
		.amdhsa_float_round_mode_16_64 0
		.amdhsa_float_denorm_mode_32 3
		.amdhsa_float_denorm_mode_16_64 3
		.amdhsa_dx10_clamp 1
		.amdhsa_ieee_mode 1
		.amdhsa_fp16_overflow 0
		.amdhsa_tg_split 0
		.amdhsa_exception_fp_ieee_invalid_op 0
		.amdhsa_exception_fp_denorm_src 0
		.amdhsa_exception_fp_ieee_div_zero 0
		.amdhsa_exception_fp_ieee_overflow 0
		.amdhsa_exception_fp_ieee_underflow 0
		.amdhsa_exception_fp_ieee_inexact 0
		.amdhsa_exception_int_div_zero 0
	.end_amdhsa_kernel
	.section	.text._ZN9rocsparseL19gebsrmvn_2xn_kernelILj128ELj3ELj32EfEEvi20rocsparse_direction_NS_24const_host_device_scalarIT2_EEPKiS6_PKS3_S8_S4_PS3_21rocsparse_index_base_b,"axG",@progbits,_ZN9rocsparseL19gebsrmvn_2xn_kernelILj128ELj3ELj32EfEEvi20rocsparse_direction_NS_24const_host_device_scalarIT2_EEPKiS6_PKS3_S8_S4_PS3_21rocsparse_index_base_b,comdat
.Lfunc_end8:
	.size	_ZN9rocsparseL19gebsrmvn_2xn_kernelILj128ELj3ELj32EfEEvi20rocsparse_direction_NS_24const_host_device_scalarIT2_EEPKiS6_PKS3_S8_S4_PS3_21rocsparse_index_base_b, .Lfunc_end8-_ZN9rocsparseL19gebsrmvn_2xn_kernelILj128ELj3ELj32EfEEvi20rocsparse_direction_NS_24const_host_device_scalarIT2_EEPKiS6_PKS3_S8_S4_PS3_21rocsparse_index_base_b
                                        ; -- End function
	.section	.AMDGPU.csdata,"",@progbits
; Kernel info:
; codeLenInByte = 1096
; NumSgprs: 26
; NumVgprs: 28
; NumAgprs: 0
; TotalNumVgprs: 28
; ScratchSize: 0
; MemoryBound: 0
; FloatMode: 240
; IeeeMode: 1
; LDSByteSize: 0 bytes/workgroup (compile time only)
; SGPRBlocks: 3
; VGPRBlocks: 3
; NumSGPRsForWavesPerEU: 26
; NumVGPRsForWavesPerEU: 28
; AccumOffset: 28
; Occupancy: 8
; WaveLimiterHint : 1
; COMPUTE_PGM_RSRC2:SCRATCH_EN: 0
; COMPUTE_PGM_RSRC2:USER_SGPR: 2
; COMPUTE_PGM_RSRC2:TRAP_HANDLER: 0
; COMPUTE_PGM_RSRC2:TGID_X_EN: 1
; COMPUTE_PGM_RSRC2:TGID_Y_EN: 0
; COMPUTE_PGM_RSRC2:TGID_Z_EN: 0
; COMPUTE_PGM_RSRC2:TIDIG_COMP_CNT: 0
; COMPUTE_PGM_RSRC3_GFX90A:ACCUM_OFFSET: 6
; COMPUTE_PGM_RSRC3_GFX90A:TG_SPLIT: 0
	.section	.text._ZN9rocsparseL19gebsrmvn_2xn_kernelILj128ELj3ELj64EfEEvi20rocsparse_direction_NS_24const_host_device_scalarIT2_EEPKiS6_PKS3_S8_S4_PS3_21rocsparse_index_base_b,"axG",@progbits,_ZN9rocsparseL19gebsrmvn_2xn_kernelILj128ELj3ELj64EfEEvi20rocsparse_direction_NS_24const_host_device_scalarIT2_EEPKiS6_PKS3_S8_S4_PS3_21rocsparse_index_base_b,comdat
	.globl	_ZN9rocsparseL19gebsrmvn_2xn_kernelILj128ELj3ELj64EfEEvi20rocsparse_direction_NS_24const_host_device_scalarIT2_EEPKiS6_PKS3_S8_S4_PS3_21rocsparse_index_base_b ; -- Begin function _ZN9rocsparseL19gebsrmvn_2xn_kernelILj128ELj3ELj64EfEEvi20rocsparse_direction_NS_24const_host_device_scalarIT2_EEPKiS6_PKS3_S8_S4_PS3_21rocsparse_index_base_b
	.p2align	8
	.type	_ZN9rocsparseL19gebsrmvn_2xn_kernelILj128ELj3ELj64EfEEvi20rocsparse_direction_NS_24const_host_device_scalarIT2_EEPKiS6_PKS3_S8_S4_PS3_21rocsparse_index_base_b,@function
_ZN9rocsparseL19gebsrmvn_2xn_kernelILj128ELj3ELj64EfEEvi20rocsparse_direction_NS_24const_host_device_scalarIT2_EEPKiS6_PKS3_S8_S4_PS3_21rocsparse_index_base_b: ; @_ZN9rocsparseL19gebsrmvn_2xn_kernelILj128ELj3ELj64EfEEvi20rocsparse_direction_NS_24const_host_device_scalarIT2_EEPKiS6_PKS3_S8_S4_PS3_21rocsparse_index_base_b
; %bb.0:
	s_load_dwordx2 s[16:17], s[0:1], 0x40
	s_load_dwordx2 s[14:15], s[0:1], 0x8
	;; [unrolled: 1-line block ×3, first 2 shown]
	s_waitcnt lgkmcnt(0)
	s_bitcmp1_b32 s17, 0
	s_cselect_b64 s[6:7], -1, 0
	s_xor_b64 s[4:5], s[6:7], -1
	s_and_b64 vcc, exec, s[6:7]
	s_cbranch_vccnz .LBB9_2
; %bb.1:
	s_load_dword s14, s[14:15], 0x0
.LBB9_2:
	s_andn2_b64 vcc, exec, s[4:5]
	s_cbranch_vccnz .LBB9_4
; %bb.3:
	s_load_dword s12, s[12:13], 0x0
.LBB9_4:
	s_waitcnt lgkmcnt(0)
	v_cmp_eq_f32_e64 s[4:5], s14, 0
	v_cmp_eq_f32_e64 s[6:7], s12, 1.0
	s_and_b64 s[4:5], s[4:5], s[6:7]
	s_and_b64 vcc, exec, s[4:5]
	s_cbranch_vccnz .LBB9_22
; %bb.5:
	s_load_dwordx2 s[18:19], s[0:1], 0x0
	v_lshrrev_b32_e32 v1, 6, v0
	v_lshl_or_b32 v2, s2, 1, v1
	s_waitcnt lgkmcnt(0)
	v_cmp_gt_i32_e32 vcc, s18, v2
	s_and_saveexec_b64 s[2:3], vcc
	s_cbranch_execz .LBB9_22
; %bb.6:
	s_load_dwordx8 s[4:11], s[0:1], 0x10
	v_ashrrev_i32_e32 v3, 31, v2
	s_cmp_lg_u32 s19, 0
	s_waitcnt lgkmcnt(0)
	v_lshl_add_u64 v[4:5], v[2:3], 2, s[4:5]
	global_load_dwordx2 v[4:5], v[4:5], off
	v_and_b32_e32 v3, 63, v0
	s_waitcnt vmcnt(0)
	v_subrev_u32_e32 v0, s16, v4
	v_subrev_u32_e32 v10, s16, v5
	v_add_u32_e32 v0, v0, v3
	v_cmp_lt_i32_e64 s[2:3], v0, v10
	s_cbranch_scc0 .LBB9_12
; %bb.7:
	v_mov_b32_e32 v5, 0
	v_mov_b32_e32 v4, v5
	s_and_saveexec_b64 s[4:5], s[2:3]
	s_cbranch_execz .LBB9_11
; %bb.8:
	v_mov_b32_e32 v7, 0
	v_mul_lo_u32 v6, v0, 6
	s_mov_b64 s[18:19], 0
	v_mov_b32_e32 v8, v0
	v_mov_b32_e32 v4, v7
	;; [unrolled: 1-line block ×3, first 2 shown]
.LBB9_9:                                ; =>This Inner Loop Header: Depth=1
	v_ashrrev_i32_e32 v9, 31, v8
	v_lshl_add_u64 v[12:13], v[8:9], 2, s[6:7]
	global_load_dword v1, v[12:13], off
	v_add_u32_e32 v16, 2, v6
	v_mov_b32_e32 v17, v7
	v_lshl_add_u64 v[12:13], v[6:7], 2, s[8:9]
	v_mov_b32_e32 v15, v7
	v_add_u32_e32 v20, 4, v6
	v_mov_b32_e32 v21, v7
	v_lshl_add_u64 v[16:17], v[16:17], 2, s[8:9]
	global_load_dwordx2 v[12:13], v[12:13], off
	v_lshl_add_u64 v[20:21], v[20:21], 2, s[8:9]
	global_load_dwordx2 v[24:25], v[16:17], off
	global_load_dwordx2 v[26:27], v[20:21], off
	v_mov_b32_e32 v19, v7
	v_mov_b32_e32 v23, v7
	v_add_u32_e32 v8, 64, v8
	v_cmp_ge_i32_e32 vcc, v8, v10
	v_add_u32_e32 v6, 0x180, v6
	s_or_b64 s[18:19], vcc, s[18:19]
	s_waitcnt vmcnt(3)
	v_subrev_u32_e32 v1, s16, v1
	v_lshl_add_u32 v14, v1, 1, v1
	v_lshl_add_u64 v[16:17], v[14:15], 2, s[10:11]
	v_add_u32_e32 v18, 1, v14
	v_add_u32_e32 v22, 2, v14
	global_load_dword v14, v[16:17], off
	v_lshl_add_u64 v[16:17], v[18:19], 2, s[10:11]
	v_lshl_add_u64 v[18:19], v[22:23], 2, s[10:11]
	global_load_dword v20, v[16:17], off
	global_load_dword v22, v[18:19], off
	s_waitcnt vmcnt(2)
	v_pk_fma_f32 v[4:5], v[12:13], v[14:15], v[4:5] op_sel_hi:[1,0,1]
	s_waitcnt vmcnt(1)
	v_pk_fma_f32 v[4:5], v[24:25], v[20:21], v[4:5] op_sel_hi:[1,0,1]
	;; [unrolled: 2-line block ×3, first 2 shown]
	s_andn2_b64 exec, exec, s[18:19]
	s_cbranch_execnz .LBB9_9
; %bb.10:
	s_or_b64 exec, exec, s[18:19]
.LBB9_11:
	s_or_b64 exec, exec, s[4:5]
	s_cbranch_execz .LBB9_13
	s_branch .LBB9_18
.LBB9_12:
                                        ; implicit-def: $vgpr5
.LBB9_13:
	v_mov_b32_e32 v5, 0
	v_mov_b32_e32 v4, v5
	s_and_saveexec_b64 s[4:5], s[2:3]
	s_cbranch_execz .LBB9_17
; %bb.14:
	v_mad_u64_u32 v[6:7], s[2:3], v0, 6, 5
	v_mov_b32_e32 v9, 0
	s_mov_b64 s[2:3], 0
	v_mov_b32_e32 v4, v9
	v_mov_b32_e32 v5, v9
.LBB9_15:                               ; =>This Inner Loop Header: Depth=1
	v_ashrrev_i32_e32 v1, 31, v0
	v_lshl_add_u64 v[12:13], v[0:1], 2, s[6:7]
	global_load_dword v1, v[12:13], off
	v_add_u32_e32 v8, -5, v6
	v_add_u32_e32 v12, -2, v6
	v_mov_b32_e32 v13, v9
	v_mov_b32_e32 v7, v9
	v_lshl_add_u64 v[16:17], v[8:9], 2, s[8:9]
	v_mov_b32_e32 v15, v9
	v_lshl_add_u64 v[12:13], v[12:13], 2, s[8:9]
	v_lshl_add_u64 v[18:19], v[6:7], 2, s[8:9]
	global_load_dwordx2 v[20:21], v[16:17], off
	global_load_dword v23, v[12:13], off
	global_load_dword v25, v[18:19], off
	v_add_u32_e32 v0, 64, v0
	v_cmp_ge_i32_e32 vcc, v0, v10
	s_or_b64 s[2:3], vcc, s[2:3]
	s_waitcnt vmcnt(3)
	v_subrev_u32_e32 v1, s16, v1
	v_lshl_add_u32 v14, v1, 1, v1
	v_add_u32_e32 v8, 1, v14
	v_lshl_add_u64 v[16:17], v[8:9], 2, s[10:11]
	v_add_u32_e32 v8, -1, v6
	v_lshl_add_u64 v[12:13], v[14:15], 2, s[10:11]
	v_lshl_add_u64 v[18:19], v[8:9], 2, s[8:9]
	v_add_u32_e32 v8, -3, v6
	global_load_dword v12, v[12:13], off
	v_lshl_add_u64 v[26:27], v[8:9], 2, s[8:9]
	global_load_dword v16, v[16:17], off
	v_add_u32_e32 v8, 2, v14
	global_load_dword v15, v[18:19], off
	global_load_dword v24, v[26:27], off
	v_lshl_add_u64 v[18:19], v[8:9], 2, s[10:11]
	global_load_dword v8, v[18:19], off
	s_waitcnt vmcnt(7)
	v_mov_b32_e32 v22, v20
	v_mov_b32_e32 v14, v21
	v_add_u32_e32 v6, 0x180, v6
	s_waitcnt vmcnt(4)
	v_pk_fma_f32 v[4:5], v[22:23], v[12:13], v[4:5] op_sel_hi:[1,0,1]
	s_waitcnt vmcnt(2)
	v_pk_fma_f32 v[4:5], v[14:15], v[16:17], v[4:5] op_sel_hi:[1,0,1]
	;; [unrolled: 2-line block ×3, first 2 shown]
	s_andn2_b64 exec, exec, s[2:3]
	s_cbranch_execnz .LBB9_15
; %bb.16:
	s_or_b64 exec, exec, s[2:3]
.LBB9_17:
	s_or_b64 exec, exec, s[4:5]
.LBB9_18:
	v_mov_b32_dpp v0, v4 row_shr:1 row_mask:0xf bank_mask:0xf
	v_mov_b32_dpp v1, v5 row_shr:1 row_mask:0xf bank_mask:0xf
	v_pk_add_f32 v[0:1], v[4:5], v[0:1]
	v_cmp_eq_u32_e32 vcc, 63, v3
	s_nop 0
	v_mov_b32_dpp v4, v0 row_shr:2 row_mask:0xf bank_mask:0xf
	v_mov_b32_dpp v5, v1 row_shr:2 row_mask:0xf bank_mask:0xf
	v_pk_add_f32 v[0:1], v[0:1], v[4:5]
	s_nop 1
	v_mov_b32_dpp v4, v0 row_shr:4 row_mask:0xf bank_mask:0xe
	v_mov_b32_dpp v5, v1 row_shr:4 row_mask:0xf bank_mask:0xe
	v_pk_add_f32 v[0:1], v[0:1], v[4:5]
	;; [unrolled: 4-line block ×3, first 2 shown]
	s_nop 1
	v_mov_b32_dpp v4, v0 row_bcast:15 row_mask:0xa bank_mask:0xf
	v_mov_b32_dpp v5, v1 row_bcast:15 row_mask:0xa bank_mask:0xf
	v_pk_add_f32 v[0:1], v[0:1], v[4:5]
	s_nop 1
	v_mov_b32_dpp v4, v0 row_bcast:31 row_mask:0xc bank_mask:0xf
	v_mov_b32_dpp v5, v1 row_bcast:31 row_mask:0xc bank_mask:0xf
	s_and_b64 exec, exec, vcc
	s_cbranch_execz .LBB9_22
; %bb.19:
	s_load_dwordx2 s[0:1], s[0:1], 0x38
	v_cmp_eq_f32_e64 s[2:3], s12, 0
	v_pk_add_f32 v[0:1], v[0:1], v[4:5]
	s_and_b64 vcc, exec, s[2:3]
	v_lshlrev_b32_e32 v2, 1, v2
	s_cbranch_vccz .LBB9_23
; %bb.20:
	v_ashrrev_i32_e32 v3, 31, v2
	s_waitcnt lgkmcnt(0)
	v_lshl_add_u64 v[4:5], v[2:3], 2, s[0:1]
	v_pk_mul_f32 v[6:7], s[14:15], v[0:1] op_sel_hi:[0,1]
	global_store_dwordx2 v[4:5], v[6:7], off
	s_cbranch_execnz .LBB9_22
.LBB9_21:
	v_ashrrev_i32_e32 v3, 31, v2
	s_waitcnt lgkmcnt(0)
	v_lshl_add_u64 v[2:3], v[2:3], 2, s[0:1]
	global_load_dwordx2 v[4:5], v[2:3], off
	v_pk_mul_f32 v[0:1], s[14:15], v[0:1] op_sel_hi:[0,1]
	s_waitcnt vmcnt(0)
	v_pk_fma_f32 v[0:1], s[12:13], v[4:5], v[0:1] op_sel_hi:[0,1,1]
	global_store_dwordx2 v[2:3], v[0:1], off
.LBB9_22:
	s_endpgm
.LBB9_23:
	s_branch .LBB9_21
	.section	.rodata,"a",@progbits
	.p2align	6, 0x0
	.amdhsa_kernel _ZN9rocsparseL19gebsrmvn_2xn_kernelILj128ELj3ELj64EfEEvi20rocsparse_direction_NS_24const_host_device_scalarIT2_EEPKiS6_PKS3_S8_S4_PS3_21rocsparse_index_base_b
		.amdhsa_group_segment_fixed_size 0
		.amdhsa_private_segment_fixed_size 0
		.amdhsa_kernarg_size 72
		.amdhsa_user_sgpr_count 2
		.amdhsa_user_sgpr_dispatch_ptr 0
		.amdhsa_user_sgpr_queue_ptr 0
		.amdhsa_user_sgpr_kernarg_segment_ptr 1
		.amdhsa_user_sgpr_dispatch_id 0
		.amdhsa_user_sgpr_kernarg_preload_length 0
		.amdhsa_user_sgpr_kernarg_preload_offset 0
		.amdhsa_user_sgpr_private_segment_size 0
		.amdhsa_uses_dynamic_stack 0
		.amdhsa_enable_private_segment 0
		.amdhsa_system_sgpr_workgroup_id_x 1
		.amdhsa_system_sgpr_workgroup_id_y 0
		.amdhsa_system_sgpr_workgroup_id_z 0
		.amdhsa_system_sgpr_workgroup_info 0
		.amdhsa_system_vgpr_workitem_id 0
		.amdhsa_next_free_vgpr 28
		.amdhsa_next_free_sgpr 20
		.amdhsa_accum_offset 28
		.amdhsa_reserve_vcc 1
		.amdhsa_float_round_mode_32 0
		.amdhsa_float_round_mode_16_64 0
		.amdhsa_float_denorm_mode_32 3
		.amdhsa_float_denorm_mode_16_64 3
		.amdhsa_dx10_clamp 1
		.amdhsa_ieee_mode 1
		.amdhsa_fp16_overflow 0
		.amdhsa_tg_split 0
		.amdhsa_exception_fp_ieee_invalid_op 0
		.amdhsa_exception_fp_denorm_src 0
		.amdhsa_exception_fp_ieee_div_zero 0
		.amdhsa_exception_fp_ieee_overflow 0
		.amdhsa_exception_fp_ieee_underflow 0
		.amdhsa_exception_fp_ieee_inexact 0
		.amdhsa_exception_int_div_zero 0
	.end_amdhsa_kernel
	.section	.text._ZN9rocsparseL19gebsrmvn_2xn_kernelILj128ELj3ELj64EfEEvi20rocsparse_direction_NS_24const_host_device_scalarIT2_EEPKiS6_PKS3_S8_S4_PS3_21rocsparse_index_base_b,"axG",@progbits,_ZN9rocsparseL19gebsrmvn_2xn_kernelILj128ELj3ELj64EfEEvi20rocsparse_direction_NS_24const_host_device_scalarIT2_EEPKiS6_PKS3_S8_S4_PS3_21rocsparse_index_base_b,comdat
.Lfunc_end9:
	.size	_ZN9rocsparseL19gebsrmvn_2xn_kernelILj128ELj3ELj64EfEEvi20rocsparse_direction_NS_24const_host_device_scalarIT2_EEPKiS6_PKS3_S8_S4_PS3_21rocsparse_index_base_b, .Lfunc_end9-_ZN9rocsparseL19gebsrmvn_2xn_kernelILj128ELj3ELj64EfEEvi20rocsparse_direction_NS_24const_host_device_scalarIT2_EEPKiS6_PKS3_S8_S4_PS3_21rocsparse_index_base_b
                                        ; -- End function
	.section	.AMDGPU.csdata,"",@progbits
; Kernel info:
; codeLenInByte = 1124
; NumSgprs: 26
; NumVgprs: 28
; NumAgprs: 0
; TotalNumVgprs: 28
; ScratchSize: 0
; MemoryBound: 0
; FloatMode: 240
; IeeeMode: 1
; LDSByteSize: 0 bytes/workgroup (compile time only)
; SGPRBlocks: 3
; VGPRBlocks: 3
; NumSGPRsForWavesPerEU: 26
; NumVGPRsForWavesPerEU: 28
; AccumOffset: 28
; Occupancy: 8
; WaveLimiterHint : 1
; COMPUTE_PGM_RSRC2:SCRATCH_EN: 0
; COMPUTE_PGM_RSRC2:USER_SGPR: 2
; COMPUTE_PGM_RSRC2:TRAP_HANDLER: 0
; COMPUTE_PGM_RSRC2:TGID_X_EN: 1
; COMPUTE_PGM_RSRC2:TGID_Y_EN: 0
; COMPUTE_PGM_RSRC2:TGID_Z_EN: 0
; COMPUTE_PGM_RSRC2:TIDIG_COMP_CNT: 0
; COMPUTE_PGM_RSRC3_GFX90A:ACCUM_OFFSET: 6
; COMPUTE_PGM_RSRC3_GFX90A:TG_SPLIT: 0
	.section	.text._ZN9rocsparseL19gebsrmvn_2xn_kernelILj128ELj4ELj4EfEEvi20rocsparse_direction_NS_24const_host_device_scalarIT2_EEPKiS6_PKS3_S8_S4_PS3_21rocsparse_index_base_b,"axG",@progbits,_ZN9rocsparseL19gebsrmvn_2xn_kernelILj128ELj4ELj4EfEEvi20rocsparse_direction_NS_24const_host_device_scalarIT2_EEPKiS6_PKS3_S8_S4_PS3_21rocsparse_index_base_b,comdat
	.globl	_ZN9rocsparseL19gebsrmvn_2xn_kernelILj128ELj4ELj4EfEEvi20rocsparse_direction_NS_24const_host_device_scalarIT2_EEPKiS6_PKS3_S8_S4_PS3_21rocsparse_index_base_b ; -- Begin function _ZN9rocsparseL19gebsrmvn_2xn_kernelILj128ELj4ELj4EfEEvi20rocsparse_direction_NS_24const_host_device_scalarIT2_EEPKiS6_PKS3_S8_S4_PS3_21rocsparse_index_base_b
	.p2align	8
	.type	_ZN9rocsparseL19gebsrmvn_2xn_kernelILj128ELj4ELj4EfEEvi20rocsparse_direction_NS_24const_host_device_scalarIT2_EEPKiS6_PKS3_S8_S4_PS3_21rocsparse_index_base_b,@function
_ZN9rocsparseL19gebsrmvn_2xn_kernelILj128ELj4ELj4EfEEvi20rocsparse_direction_NS_24const_host_device_scalarIT2_EEPKiS6_PKS3_S8_S4_PS3_21rocsparse_index_base_b: ; @_ZN9rocsparseL19gebsrmvn_2xn_kernelILj128ELj4ELj4EfEEvi20rocsparse_direction_NS_24const_host_device_scalarIT2_EEPKiS6_PKS3_S8_S4_PS3_21rocsparse_index_base_b
; %bb.0:
	s_load_dwordx2 s[16:17], s[0:1], 0x40
	s_load_dwordx2 s[14:15], s[0:1], 0x8
	;; [unrolled: 1-line block ×3, first 2 shown]
	s_waitcnt lgkmcnt(0)
	s_bitcmp1_b32 s17, 0
	s_cselect_b64 s[6:7], -1, 0
	s_xor_b64 s[4:5], s[6:7], -1
	s_and_b64 vcc, exec, s[6:7]
	s_cbranch_vccnz .LBB10_2
; %bb.1:
	s_load_dword s14, s[14:15], 0x0
.LBB10_2:
	s_andn2_b64 vcc, exec, s[4:5]
	s_cbranch_vccnz .LBB10_4
; %bb.3:
	s_load_dword s12, s[12:13], 0x0
.LBB10_4:
	s_waitcnt lgkmcnt(0)
	v_cmp_eq_f32_e64 s[4:5], s14, 0
	v_cmp_eq_f32_e64 s[6:7], s12, 1.0
	s_and_b64 s[4:5], s[4:5], s[6:7]
	s_and_b64 vcc, exec, s[4:5]
	s_cbranch_vccnz .LBB10_22
; %bb.5:
	s_load_dwordx2 s[18:19], s[0:1], 0x0
	v_lshrrev_b32_e32 v1, 2, v0
	v_lshl_or_b32 v2, s2, 5, v1
	s_waitcnt lgkmcnt(0)
	v_cmp_gt_i32_e32 vcc, s18, v2
	s_and_saveexec_b64 s[2:3], vcc
	s_cbranch_execz .LBB10_22
; %bb.6:
	s_load_dwordx8 s[4:11], s[0:1], 0x10
	v_ashrrev_i32_e32 v3, 31, v2
	s_cmp_lg_u32 s19, 0
	s_waitcnt lgkmcnt(0)
	v_lshl_add_u64 v[4:5], v[2:3], 2, s[4:5]
	global_load_dwordx2 v[4:5], v[4:5], off
	v_and_b32_e32 v3, 3, v0
	s_waitcnt vmcnt(0)
	v_subrev_u32_e32 v0, s16, v4
	v_subrev_u32_e32 v10, s16, v5
	v_add_u32_e32 v0, v0, v3
	v_cmp_lt_i32_e64 s[2:3], v0, v10
	s_cbranch_scc0 .LBB10_12
; %bb.7:
	v_mov_b32_e32 v5, 0
	v_mov_b32_e32 v4, v5
	s_and_saveexec_b64 s[4:5], s[2:3]
	s_cbranch_execz .LBB10_11
; %bb.8:
	v_mov_b32_e32 v7, 0
	v_lshlrev_b32_e32 v6, 3, v0
	s_mov_b64 s[18:19], 0
	v_mov_b32_e32 v8, v0
	v_mov_b32_e32 v4, v7
	;; [unrolled: 1-line block ×3, first 2 shown]
.LBB10_9:                               ; =>This Inner Loop Header: Depth=1
	v_ashrrev_i32_e32 v9, 31, v8
	v_lshl_add_u64 v[12:13], v[8:9], 2, s[6:7]
	global_load_dword v1, v[12:13], off
	v_lshl_add_u64 v[20:21], v[6:7], 2, s[8:9]
	v_mov_b32_e32 v23, v7
	global_load_dwordx4 v[12:15], v[20:21], off offset:16
	global_load_dwordx4 v[16:19], v[20:21], off
	v_add_u32_e32 v8, 4, v8
	v_cmp_ge_i32_e32 vcc, v8, v10
	v_add_u32_e32 v6, 32, v6
	s_or_b64 s[18:19], vcc, s[18:19]
	s_waitcnt vmcnt(2)
	v_subrev_u32_e32 v1, s16, v1
	v_lshlrev_b32_e32 v22, 2, v1
	v_lshl_add_u64 v[20:21], v[22:23], 2, s[10:11]
	global_load_dwordx4 v[20:23], v[20:21], off
	s_waitcnt vmcnt(0)
	v_pk_fma_f32 v[4:5], v[16:17], v[20:21], v[4:5] op_sel_hi:[1,0,1]
	s_nop 0
	v_pk_fma_f32 v[4:5], v[18:19], v[20:21], v[4:5] op_sel:[0,1,0]
	v_mov_b32_e32 v16, v23
	v_pk_fma_f32 v[4:5], v[12:13], v[22:23], v[4:5] op_sel_hi:[1,0,1]
	s_nop 0
	v_pk_fma_f32 v[4:5], v[14:15], v[16:17], v[4:5] op_sel_hi:[1,0,1]
	s_andn2_b64 exec, exec, s[18:19]
	s_cbranch_execnz .LBB10_9
; %bb.10:
	s_or_b64 exec, exec, s[18:19]
.LBB10_11:
	s_or_b64 exec, exec, s[4:5]
	s_cbranch_execz .LBB10_13
	s_branch .LBB10_18
.LBB10_12:
                                        ; implicit-def: $vgpr5
.LBB10_13:
	v_mov_b32_e32 v5, 0
	v_mov_b32_e32 v4, v5
	s_and_saveexec_b64 s[4:5], s[2:3]
	s_cbranch_execz .LBB10_17
; %bb.14:
	v_mov_b32_e32 v7, 0
	v_lshlrev_b32_e32 v6, 3, v0
	s_mov_b64 s[2:3], 0
	v_mov_b32_e32 v4, v7
	v_mov_b32_e32 v5, v7
.LBB10_15:                              ; =>This Inner Loop Header: Depth=1
	v_ashrrev_i32_e32 v1, 31, v0
	v_lshl_add_u64 v[8:9], v[0:1], 2, s[6:7]
	global_load_dword v1, v[8:9], off
	v_lshl_add_u64 v[8:9], v[6:7], 2, s[8:9]
	v_mov_b32_e32 v21, v7
	global_load_dwordx4 v[12:15], v[8:9], off
	global_load_dwordx4 v[16:19], v[8:9], off offset:16
	v_add_u32_e32 v0, 4, v0
	v_cmp_ge_i32_e32 vcc, v0, v10
	v_add_u32_e32 v6, 32, v6
	s_or_b64 s[2:3], vcc, s[2:3]
	s_waitcnt vmcnt(2)
	v_subrev_u32_e32 v1, s16, v1
	v_lshlrev_b32_e32 v20, 2, v1
	v_lshl_add_u64 v[8:9], v[20:21], 2, s[10:11]
	global_load_dwordx4 v[20:23], v[8:9], off
	s_waitcnt vmcnt(2)
	v_mov_b32_e32 v8, v12
	s_waitcnt vmcnt(1)
	v_mov_b32_e32 v9, v16
	v_mov_b32_e32 v16, v13
	;; [unrolled: 1-line block ×5, first 2 shown]
	s_waitcnt vmcnt(0)
	v_pk_fma_f32 v[4:5], v[8:9], v[20:21], v[4:5] op_sel_hi:[1,0,1]
	s_nop 0
	v_pk_fma_f32 v[4:5], v[16:17], v[20:21], v[4:5] op_sel:[0,1,0]
	v_mov_b32_e32 v8, v23
	v_pk_fma_f32 v[4:5], v[12:13], v[22:23], v[4:5] op_sel_hi:[1,0,1]
	s_nop 0
	v_pk_fma_f32 v[4:5], v[18:19], v[8:9], v[4:5] op_sel_hi:[1,0,1]
	s_andn2_b64 exec, exec, s[2:3]
	s_cbranch_execnz .LBB10_15
; %bb.16:
	s_or_b64 exec, exec, s[2:3]
.LBB10_17:
	s_or_b64 exec, exec, s[4:5]
.LBB10_18:
	v_mov_b32_dpp v0, v4 row_shr:1 row_mask:0xf bank_mask:0xf
	v_mov_b32_dpp v1, v5 row_shr:1 row_mask:0xf bank_mask:0xf
	v_pk_add_f32 v[0:1], v[4:5], v[0:1]
	v_cmp_eq_u32_e32 vcc, 3, v3
	s_nop 0
	v_mov_b32_dpp v4, v0 row_shr:2 row_mask:0xf bank_mask:0xf
	v_mov_b32_dpp v5, v1 row_shr:2 row_mask:0xf bank_mask:0xf
	s_and_b64 exec, exec, vcc
	s_cbranch_execz .LBB10_22
; %bb.19:
	s_load_dwordx2 s[0:1], s[0:1], 0x38
	v_cmp_eq_f32_e64 s[2:3], s12, 0
	v_pk_add_f32 v[0:1], v[0:1], v[4:5]
	s_and_b64 vcc, exec, s[2:3]
	v_lshlrev_b32_e32 v2, 1, v2
	s_cbranch_vccz .LBB10_23
; %bb.20:
	v_ashrrev_i32_e32 v3, 31, v2
	s_waitcnt lgkmcnt(0)
	v_lshl_add_u64 v[4:5], v[2:3], 2, s[0:1]
	v_pk_mul_f32 v[6:7], s[14:15], v[0:1] op_sel_hi:[0,1]
	global_store_dwordx2 v[4:5], v[6:7], off
	s_cbranch_execnz .LBB10_22
.LBB10_21:
	v_ashrrev_i32_e32 v3, 31, v2
	s_waitcnt lgkmcnt(0)
	v_lshl_add_u64 v[2:3], v[2:3], 2, s[0:1]
	global_load_dwordx2 v[4:5], v[2:3], off
	v_pk_mul_f32 v[0:1], s[14:15], v[0:1] op_sel_hi:[0,1]
	s_waitcnt vmcnt(0)
	v_pk_fma_f32 v[0:1], s[12:13], v[4:5], v[0:1] op_sel_hi:[0,1,1]
	global_store_dwordx2 v[2:3], v[0:1], off
.LBB10_22:
	s_endpgm
.LBB10_23:
	s_branch .LBB10_21
	.section	.rodata,"a",@progbits
	.p2align	6, 0x0
	.amdhsa_kernel _ZN9rocsparseL19gebsrmvn_2xn_kernelILj128ELj4ELj4EfEEvi20rocsparse_direction_NS_24const_host_device_scalarIT2_EEPKiS6_PKS3_S8_S4_PS3_21rocsparse_index_base_b
		.amdhsa_group_segment_fixed_size 0
		.amdhsa_private_segment_fixed_size 0
		.amdhsa_kernarg_size 72
		.amdhsa_user_sgpr_count 2
		.amdhsa_user_sgpr_dispatch_ptr 0
		.amdhsa_user_sgpr_queue_ptr 0
		.amdhsa_user_sgpr_kernarg_segment_ptr 1
		.amdhsa_user_sgpr_dispatch_id 0
		.amdhsa_user_sgpr_kernarg_preload_length 0
		.amdhsa_user_sgpr_kernarg_preload_offset 0
		.amdhsa_user_sgpr_private_segment_size 0
		.amdhsa_uses_dynamic_stack 0
		.amdhsa_enable_private_segment 0
		.amdhsa_system_sgpr_workgroup_id_x 1
		.amdhsa_system_sgpr_workgroup_id_y 0
		.amdhsa_system_sgpr_workgroup_id_z 0
		.amdhsa_system_sgpr_workgroup_info 0
		.amdhsa_system_vgpr_workitem_id 0
		.amdhsa_next_free_vgpr 24
		.amdhsa_next_free_sgpr 20
		.amdhsa_accum_offset 24
		.amdhsa_reserve_vcc 1
		.amdhsa_float_round_mode_32 0
		.amdhsa_float_round_mode_16_64 0
		.amdhsa_float_denorm_mode_32 3
		.amdhsa_float_denorm_mode_16_64 3
		.amdhsa_dx10_clamp 1
		.amdhsa_ieee_mode 1
		.amdhsa_fp16_overflow 0
		.amdhsa_tg_split 0
		.amdhsa_exception_fp_ieee_invalid_op 0
		.amdhsa_exception_fp_denorm_src 0
		.amdhsa_exception_fp_ieee_div_zero 0
		.amdhsa_exception_fp_ieee_overflow 0
		.amdhsa_exception_fp_ieee_underflow 0
		.amdhsa_exception_fp_ieee_inexact 0
		.amdhsa_exception_int_div_zero 0
	.end_amdhsa_kernel
	.section	.text._ZN9rocsparseL19gebsrmvn_2xn_kernelILj128ELj4ELj4EfEEvi20rocsparse_direction_NS_24const_host_device_scalarIT2_EEPKiS6_PKS3_S8_S4_PS3_21rocsparse_index_base_b,"axG",@progbits,_ZN9rocsparseL19gebsrmvn_2xn_kernelILj128ELj4ELj4EfEEvi20rocsparse_direction_NS_24const_host_device_scalarIT2_EEPKiS6_PKS3_S8_S4_PS3_21rocsparse_index_base_b,comdat
.Lfunc_end10:
	.size	_ZN9rocsparseL19gebsrmvn_2xn_kernelILj128ELj4ELj4EfEEvi20rocsparse_direction_NS_24const_host_device_scalarIT2_EEPKiS6_PKS3_S8_S4_PS3_21rocsparse_index_base_b, .Lfunc_end10-_ZN9rocsparseL19gebsrmvn_2xn_kernelILj128ELj4ELj4EfEEvi20rocsparse_direction_NS_24const_host_device_scalarIT2_EEPKiS6_PKS3_S8_S4_PS3_21rocsparse_index_base_b
                                        ; -- End function
	.section	.AMDGPU.csdata,"",@progbits
; Kernel info:
; codeLenInByte = 824
; NumSgprs: 26
; NumVgprs: 24
; NumAgprs: 0
; TotalNumVgprs: 24
; ScratchSize: 0
; MemoryBound: 0
; FloatMode: 240
; IeeeMode: 1
; LDSByteSize: 0 bytes/workgroup (compile time only)
; SGPRBlocks: 3
; VGPRBlocks: 2
; NumSGPRsForWavesPerEU: 26
; NumVGPRsForWavesPerEU: 24
; AccumOffset: 24
; Occupancy: 8
; WaveLimiterHint : 1
; COMPUTE_PGM_RSRC2:SCRATCH_EN: 0
; COMPUTE_PGM_RSRC2:USER_SGPR: 2
; COMPUTE_PGM_RSRC2:TRAP_HANDLER: 0
; COMPUTE_PGM_RSRC2:TGID_X_EN: 1
; COMPUTE_PGM_RSRC2:TGID_Y_EN: 0
; COMPUTE_PGM_RSRC2:TGID_Z_EN: 0
; COMPUTE_PGM_RSRC2:TIDIG_COMP_CNT: 0
; COMPUTE_PGM_RSRC3_GFX90A:ACCUM_OFFSET: 5
; COMPUTE_PGM_RSRC3_GFX90A:TG_SPLIT: 0
	.section	.text._ZN9rocsparseL19gebsrmvn_2xn_kernelILj128ELj4ELj8EfEEvi20rocsparse_direction_NS_24const_host_device_scalarIT2_EEPKiS6_PKS3_S8_S4_PS3_21rocsparse_index_base_b,"axG",@progbits,_ZN9rocsparseL19gebsrmvn_2xn_kernelILj128ELj4ELj8EfEEvi20rocsparse_direction_NS_24const_host_device_scalarIT2_EEPKiS6_PKS3_S8_S4_PS3_21rocsparse_index_base_b,comdat
	.globl	_ZN9rocsparseL19gebsrmvn_2xn_kernelILj128ELj4ELj8EfEEvi20rocsparse_direction_NS_24const_host_device_scalarIT2_EEPKiS6_PKS3_S8_S4_PS3_21rocsparse_index_base_b ; -- Begin function _ZN9rocsparseL19gebsrmvn_2xn_kernelILj128ELj4ELj8EfEEvi20rocsparse_direction_NS_24const_host_device_scalarIT2_EEPKiS6_PKS3_S8_S4_PS3_21rocsparse_index_base_b
	.p2align	8
	.type	_ZN9rocsparseL19gebsrmvn_2xn_kernelILj128ELj4ELj8EfEEvi20rocsparse_direction_NS_24const_host_device_scalarIT2_EEPKiS6_PKS3_S8_S4_PS3_21rocsparse_index_base_b,@function
_ZN9rocsparseL19gebsrmvn_2xn_kernelILj128ELj4ELj8EfEEvi20rocsparse_direction_NS_24const_host_device_scalarIT2_EEPKiS6_PKS3_S8_S4_PS3_21rocsparse_index_base_b: ; @_ZN9rocsparseL19gebsrmvn_2xn_kernelILj128ELj4ELj8EfEEvi20rocsparse_direction_NS_24const_host_device_scalarIT2_EEPKiS6_PKS3_S8_S4_PS3_21rocsparse_index_base_b
; %bb.0:
	s_load_dwordx2 s[16:17], s[0:1], 0x40
	s_load_dwordx2 s[14:15], s[0:1], 0x8
	;; [unrolled: 1-line block ×3, first 2 shown]
	s_waitcnt lgkmcnt(0)
	s_bitcmp1_b32 s17, 0
	s_cselect_b64 s[6:7], -1, 0
	s_xor_b64 s[4:5], s[6:7], -1
	s_and_b64 vcc, exec, s[6:7]
	s_cbranch_vccnz .LBB11_2
; %bb.1:
	s_load_dword s14, s[14:15], 0x0
.LBB11_2:
	s_andn2_b64 vcc, exec, s[4:5]
	s_cbranch_vccnz .LBB11_4
; %bb.3:
	s_load_dword s12, s[12:13], 0x0
.LBB11_4:
	s_waitcnt lgkmcnt(0)
	v_cmp_eq_f32_e64 s[4:5], s14, 0
	v_cmp_eq_f32_e64 s[6:7], s12, 1.0
	s_and_b64 s[4:5], s[4:5], s[6:7]
	s_and_b64 vcc, exec, s[4:5]
	s_cbranch_vccnz .LBB11_22
; %bb.5:
	s_load_dwordx2 s[18:19], s[0:1], 0x0
	v_lshrrev_b32_e32 v1, 3, v0
	v_lshl_or_b32 v2, s2, 4, v1
	s_waitcnt lgkmcnt(0)
	v_cmp_gt_i32_e32 vcc, s18, v2
	s_and_saveexec_b64 s[2:3], vcc
	s_cbranch_execz .LBB11_22
; %bb.6:
	s_load_dwordx8 s[4:11], s[0:1], 0x10
	v_ashrrev_i32_e32 v3, 31, v2
	s_cmp_lg_u32 s19, 0
	s_waitcnt lgkmcnt(0)
	v_lshl_add_u64 v[4:5], v[2:3], 2, s[4:5]
	global_load_dwordx2 v[4:5], v[4:5], off
	v_and_b32_e32 v3, 7, v0
	s_waitcnt vmcnt(0)
	v_subrev_u32_e32 v0, s16, v4
	v_subrev_u32_e32 v10, s16, v5
	v_add_u32_e32 v0, v0, v3
	v_cmp_lt_i32_e64 s[2:3], v0, v10
	s_cbranch_scc0 .LBB11_12
; %bb.7:
	v_mov_b32_e32 v5, 0
	v_mov_b32_e32 v4, v5
	s_and_saveexec_b64 s[4:5], s[2:3]
	s_cbranch_execz .LBB11_11
; %bb.8:
	v_mov_b32_e32 v7, 0
	v_lshlrev_b32_e32 v6, 3, v0
	s_mov_b64 s[18:19], 0
	v_mov_b32_e32 v8, v0
	v_mov_b32_e32 v4, v7
	;; [unrolled: 1-line block ×3, first 2 shown]
.LBB11_9:                               ; =>This Inner Loop Header: Depth=1
	v_ashrrev_i32_e32 v9, 31, v8
	v_lshl_add_u64 v[12:13], v[8:9], 2, s[6:7]
	global_load_dword v1, v[12:13], off
	v_lshl_add_u64 v[20:21], v[6:7], 2, s[8:9]
	v_mov_b32_e32 v23, v7
	global_load_dwordx4 v[12:15], v[20:21], off offset:16
	global_load_dwordx4 v[16:19], v[20:21], off
	v_add_u32_e32 v8, 8, v8
	v_cmp_ge_i32_e32 vcc, v8, v10
	v_add_u32_e32 v6, 64, v6
	s_or_b64 s[18:19], vcc, s[18:19]
	s_waitcnt vmcnt(2)
	v_subrev_u32_e32 v1, s16, v1
	v_lshlrev_b32_e32 v22, 2, v1
	v_lshl_add_u64 v[20:21], v[22:23], 2, s[10:11]
	global_load_dwordx4 v[20:23], v[20:21], off
	s_waitcnt vmcnt(0)
	v_pk_fma_f32 v[4:5], v[16:17], v[20:21], v[4:5] op_sel_hi:[1,0,1]
	s_nop 0
	v_pk_fma_f32 v[4:5], v[18:19], v[20:21], v[4:5] op_sel:[0,1,0]
	v_mov_b32_e32 v16, v23
	v_pk_fma_f32 v[4:5], v[12:13], v[22:23], v[4:5] op_sel_hi:[1,0,1]
	s_nop 0
	v_pk_fma_f32 v[4:5], v[14:15], v[16:17], v[4:5] op_sel_hi:[1,0,1]
	s_andn2_b64 exec, exec, s[18:19]
	s_cbranch_execnz .LBB11_9
; %bb.10:
	s_or_b64 exec, exec, s[18:19]
.LBB11_11:
	s_or_b64 exec, exec, s[4:5]
	s_cbranch_execz .LBB11_13
	s_branch .LBB11_18
.LBB11_12:
                                        ; implicit-def: $vgpr5
.LBB11_13:
	v_mov_b32_e32 v5, 0
	v_mov_b32_e32 v4, v5
	s_and_saveexec_b64 s[4:5], s[2:3]
	s_cbranch_execz .LBB11_17
; %bb.14:
	v_mov_b32_e32 v7, 0
	v_lshlrev_b32_e32 v6, 3, v0
	s_mov_b64 s[2:3], 0
	v_mov_b32_e32 v4, v7
	v_mov_b32_e32 v5, v7
.LBB11_15:                              ; =>This Inner Loop Header: Depth=1
	v_ashrrev_i32_e32 v1, 31, v0
	v_lshl_add_u64 v[8:9], v[0:1], 2, s[6:7]
	global_load_dword v1, v[8:9], off
	v_lshl_add_u64 v[8:9], v[6:7], 2, s[8:9]
	v_mov_b32_e32 v21, v7
	global_load_dwordx4 v[12:15], v[8:9], off
	global_load_dwordx4 v[16:19], v[8:9], off offset:16
	v_add_u32_e32 v0, 8, v0
	v_cmp_ge_i32_e32 vcc, v0, v10
	v_add_u32_e32 v6, 64, v6
	s_or_b64 s[2:3], vcc, s[2:3]
	s_waitcnt vmcnt(2)
	v_subrev_u32_e32 v1, s16, v1
	v_lshlrev_b32_e32 v20, 2, v1
	v_lshl_add_u64 v[8:9], v[20:21], 2, s[10:11]
	global_load_dwordx4 v[20:23], v[8:9], off
	s_waitcnt vmcnt(2)
	v_mov_b32_e32 v8, v12
	s_waitcnt vmcnt(1)
	v_mov_b32_e32 v9, v16
	v_mov_b32_e32 v16, v13
	;; [unrolled: 1-line block ×5, first 2 shown]
	s_waitcnt vmcnt(0)
	v_pk_fma_f32 v[4:5], v[8:9], v[20:21], v[4:5] op_sel_hi:[1,0,1]
	s_nop 0
	v_pk_fma_f32 v[4:5], v[16:17], v[20:21], v[4:5] op_sel:[0,1,0]
	v_mov_b32_e32 v8, v23
	v_pk_fma_f32 v[4:5], v[12:13], v[22:23], v[4:5] op_sel_hi:[1,0,1]
	s_nop 0
	v_pk_fma_f32 v[4:5], v[18:19], v[8:9], v[4:5] op_sel_hi:[1,0,1]
	s_andn2_b64 exec, exec, s[2:3]
	s_cbranch_execnz .LBB11_15
; %bb.16:
	s_or_b64 exec, exec, s[2:3]
.LBB11_17:
	s_or_b64 exec, exec, s[4:5]
.LBB11_18:
	v_mov_b32_dpp v0, v4 row_shr:1 row_mask:0xf bank_mask:0xf
	v_mov_b32_dpp v1, v5 row_shr:1 row_mask:0xf bank_mask:0xf
	v_pk_add_f32 v[0:1], v[4:5], v[0:1]
	v_cmp_eq_u32_e32 vcc, 7, v3
	s_nop 0
	v_mov_b32_dpp v4, v0 row_shr:2 row_mask:0xf bank_mask:0xf
	v_mov_b32_dpp v5, v1 row_shr:2 row_mask:0xf bank_mask:0xf
	v_pk_add_f32 v[0:1], v[0:1], v[4:5]
	s_nop 1
	v_mov_b32_dpp v4, v0 row_shr:4 row_mask:0xf bank_mask:0xe
	v_mov_b32_dpp v5, v1 row_shr:4 row_mask:0xf bank_mask:0xe
	s_and_b64 exec, exec, vcc
	s_cbranch_execz .LBB11_22
; %bb.19:
	s_load_dwordx2 s[0:1], s[0:1], 0x38
	v_cmp_eq_f32_e64 s[2:3], s12, 0
	v_pk_add_f32 v[0:1], v[0:1], v[4:5]
	s_and_b64 vcc, exec, s[2:3]
	v_lshlrev_b32_e32 v2, 1, v2
	s_cbranch_vccz .LBB11_23
; %bb.20:
	v_ashrrev_i32_e32 v3, 31, v2
	s_waitcnt lgkmcnt(0)
	v_lshl_add_u64 v[4:5], v[2:3], 2, s[0:1]
	v_pk_mul_f32 v[6:7], s[14:15], v[0:1] op_sel_hi:[0,1]
	global_store_dwordx2 v[4:5], v[6:7], off
	s_cbranch_execnz .LBB11_22
.LBB11_21:
	v_ashrrev_i32_e32 v3, 31, v2
	s_waitcnt lgkmcnt(0)
	v_lshl_add_u64 v[2:3], v[2:3], 2, s[0:1]
	global_load_dwordx2 v[4:5], v[2:3], off
	v_pk_mul_f32 v[0:1], s[14:15], v[0:1] op_sel_hi:[0,1]
	s_waitcnt vmcnt(0)
	v_pk_fma_f32 v[0:1], s[12:13], v[4:5], v[0:1] op_sel_hi:[0,1,1]
	global_store_dwordx2 v[2:3], v[0:1], off
.LBB11_22:
	s_endpgm
.LBB11_23:
	s_branch .LBB11_21
	.section	.rodata,"a",@progbits
	.p2align	6, 0x0
	.amdhsa_kernel _ZN9rocsparseL19gebsrmvn_2xn_kernelILj128ELj4ELj8EfEEvi20rocsparse_direction_NS_24const_host_device_scalarIT2_EEPKiS6_PKS3_S8_S4_PS3_21rocsparse_index_base_b
		.amdhsa_group_segment_fixed_size 0
		.amdhsa_private_segment_fixed_size 0
		.amdhsa_kernarg_size 72
		.amdhsa_user_sgpr_count 2
		.amdhsa_user_sgpr_dispatch_ptr 0
		.amdhsa_user_sgpr_queue_ptr 0
		.amdhsa_user_sgpr_kernarg_segment_ptr 1
		.amdhsa_user_sgpr_dispatch_id 0
		.amdhsa_user_sgpr_kernarg_preload_length 0
		.amdhsa_user_sgpr_kernarg_preload_offset 0
		.amdhsa_user_sgpr_private_segment_size 0
		.amdhsa_uses_dynamic_stack 0
		.amdhsa_enable_private_segment 0
		.amdhsa_system_sgpr_workgroup_id_x 1
		.amdhsa_system_sgpr_workgroup_id_y 0
		.amdhsa_system_sgpr_workgroup_id_z 0
		.amdhsa_system_sgpr_workgroup_info 0
		.amdhsa_system_vgpr_workitem_id 0
		.amdhsa_next_free_vgpr 24
		.amdhsa_next_free_sgpr 20
		.amdhsa_accum_offset 24
		.amdhsa_reserve_vcc 1
		.amdhsa_float_round_mode_32 0
		.amdhsa_float_round_mode_16_64 0
		.amdhsa_float_denorm_mode_32 3
		.amdhsa_float_denorm_mode_16_64 3
		.amdhsa_dx10_clamp 1
		.amdhsa_ieee_mode 1
		.amdhsa_fp16_overflow 0
		.amdhsa_tg_split 0
		.amdhsa_exception_fp_ieee_invalid_op 0
		.amdhsa_exception_fp_denorm_src 0
		.amdhsa_exception_fp_ieee_div_zero 0
		.amdhsa_exception_fp_ieee_overflow 0
		.amdhsa_exception_fp_ieee_underflow 0
		.amdhsa_exception_fp_ieee_inexact 0
		.amdhsa_exception_int_div_zero 0
	.end_amdhsa_kernel
	.section	.text._ZN9rocsparseL19gebsrmvn_2xn_kernelILj128ELj4ELj8EfEEvi20rocsparse_direction_NS_24const_host_device_scalarIT2_EEPKiS6_PKS3_S8_S4_PS3_21rocsparse_index_base_b,"axG",@progbits,_ZN9rocsparseL19gebsrmvn_2xn_kernelILj128ELj4ELj8EfEEvi20rocsparse_direction_NS_24const_host_device_scalarIT2_EEPKiS6_PKS3_S8_S4_PS3_21rocsparse_index_base_b,comdat
.Lfunc_end11:
	.size	_ZN9rocsparseL19gebsrmvn_2xn_kernelILj128ELj4ELj8EfEEvi20rocsparse_direction_NS_24const_host_device_scalarIT2_EEPKiS6_PKS3_S8_S4_PS3_21rocsparse_index_base_b, .Lfunc_end11-_ZN9rocsparseL19gebsrmvn_2xn_kernelILj128ELj4ELj8EfEEvi20rocsparse_direction_NS_24const_host_device_scalarIT2_EEPKiS6_PKS3_S8_S4_PS3_21rocsparse_index_base_b
                                        ; -- End function
	.section	.AMDGPU.csdata,"",@progbits
; Kernel info:
; codeLenInByte = 852
; NumSgprs: 26
; NumVgprs: 24
; NumAgprs: 0
; TotalNumVgprs: 24
; ScratchSize: 0
; MemoryBound: 0
; FloatMode: 240
; IeeeMode: 1
; LDSByteSize: 0 bytes/workgroup (compile time only)
; SGPRBlocks: 3
; VGPRBlocks: 2
; NumSGPRsForWavesPerEU: 26
; NumVGPRsForWavesPerEU: 24
; AccumOffset: 24
; Occupancy: 8
; WaveLimiterHint : 1
; COMPUTE_PGM_RSRC2:SCRATCH_EN: 0
; COMPUTE_PGM_RSRC2:USER_SGPR: 2
; COMPUTE_PGM_RSRC2:TRAP_HANDLER: 0
; COMPUTE_PGM_RSRC2:TGID_X_EN: 1
; COMPUTE_PGM_RSRC2:TGID_Y_EN: 0
; COMPUTE_PGM_RSRC2:TGID_Z_EN: 0
; COMPUTE_PGM_RSRC2:TIDIG_COMP_CNT: 0
; COMPUTE_PGM_RSRC3_GFX90A:ACCUM_OFFSET: 5
; COMPUTE_PGM_RSRC3_GFX90A:TG_SPLIT: 0
	.section	.text._ZN9rocsparseL19gebsrmvn_2xn_kernelILj128ELj4ELj16EfEEvi20rocsparse_direction_NS_24const_host_device_scalarIT2_EEPKiS6_PKS3_S8_S4_PS3_21rocsparse_index_base_b,"axG",@progbits,_ZN9rocsparseL19gebsrmvn_2xn_kernelILj128ELj4ELj16EfEEvi20rocsparse_direction_NS_24const_host_device_scalarIT2_EEPKiS6_PKS3_S8_S4_PS3_21rocsparse_index_base_b,comdat
	.globl	_ZN9rocsparseL19gebsrmvn_2xn_kernelILj128ELj4ELj16EfEEvi20rocsparse_direction_NS_24const_host_device_scalarIT2_EEPKiS6_PKS3_S8_S4_PS3_21rocsparse_index_base_b ; -- Begin function _ZN9rocsparseL19gebsrmvn_2xn_kernelILj128ELj4ELj16EfEEvi20rocsparse_direction_NS_24const_host_device_scalarIT2_EEPKiS6_PKS3_S8_S4_PS3_21rocsparse_index_base_b
	.p2align	8
	.type	_ZN9rocsparseL19gebsrmvn_2xn_kernelILj128ELj4ELj16EfEEvi20rocsparse_direction_NS_24const_host_device_scalarIT2_EEPKiS6_PKS3_S8_S4_PS3_21rocsparse_index_base_b,@function
_ZN9rocsparseL19gebsrmvn_2xn_kernelILj128ELj4ELj16EfEEvi20rocsparse_direction_NS_24const_host_device_scalarIT2_EEPKiS6_PKS3_S8_S4_PS3_21rocsparse_index_base_b: ; @_ZN9rocsparseL19gebsrmvn_2xn_kernelILj128ELj4ELj16EfEEvi20rocsparse_direction_NS_24const_host_device_scalarIT2_EEPKiS6_PKS3_S8_S4_PS3_21rocsparse_index_base_b
; %bb.0:
	s_load_dwordx2 s[16:17], s[0:1], 0x40
	s_load_dwordx2 s[14:15], s[0:1], 0x8
	;; [unrolled: 1-line block ×3, first 2 shown]
	s_waitcnt lgkmcnt(0)
	s_bitcmp1_b32 s17, 0
	s_cselect_b64 s[6:7], -1, 0
	s_xor_b64 s[4:5], s[6:7], -1
	s_and_b64 vcc, exec, s[6:7]
	s_cbranch_vccnz .LBB12_2
; %bb.1:
	s_load_dword s14, s[14:15], 0x0
.LBB12_2:
	s_andn2_b64 vcc, exec, s[4:5]
	s_cbranch_vccnz .LBB12_4
; %bb.3:
	s_load_dword s12, s[12:13], 0x0
.LBB12_4:
	s_waitcnt lgkmcnt(0)
	v_cmp_eq_f32_e64 s[4:5], s14, 0
	v_cmp_eq_f32_e64 s[6:7], s12, 1.0
	s_and_b64 s[4:5], s[4:5], s[6:7]
	s_and_b64 vcc, exec, s[4:5]
	s_cbranch_vccnz .LBB12_22
; %bb.5:
	s_load_dwordx2 s[18:19], s[0:1], 0x0
	v_lshrrev_b32_e32 v1, 4, v0
	v_lshl_or_b32 v2, s2, 3, v1
	s_waitcnt lgkmcnt(0)
	v_cmp_gt_i32_e32 vcc, s18, v2
	s_and_saveexec_b64 s[2:3], vcc
	s_cbranch_execz .LBB12_22
; %bb.6:
	s_load_dwordx8 s[4:11], s[0:1], 0x10
	v_ashrrev_i32_e32 v3, 31, v2
	s_cmp_lg_u32 s19, 0
	s_waitcnt lgkmcnt(0)
	v_lshl_add_u64 v[4:5], v[2:3], 2, s[4:5]
	global_load_dwordx2 v[4:5], v[4:5], off
	v_and_b32_e32 v3, 15, v0
	s_waitcnt vmcnt(0)
	v_subrev_u32_e32 v0, s16, v4
	v_subrev_u32_e32 v10, s16, v5
	v_add_u32_e32 v0, v0, v3
	v_cmp_lt_i32_e64 s[2:3], v0, v10
	s_cbranch_scc0 .LBB12_12
; %bb.7:
	v_mov_b32_e32 v5, 0
	v_mov_b32_e32 v4, v5
	s_and_saveexec_b64 s[4:5], s[2:3]
	s_cbranch_execz .LBB12_11
; %bb.8:
	v_mov_b32_e32 v7, 0
	v_lshlrev_b32_e32 v6, 3, v0
	s_mov_b64 s[18:19], 0
	v_mov_b32_e32 v8, v0
	v_mov_b32_e32 v4, v7
	;; [unrolled: 1-line block ×3, first 2 shown]
.LBB12_9:                               ; =>This Inner Loop Header: Depth=1
	v_ashrrev_i32_e32 v9, 31, v8
	v_lshl_add_u64 v[12:13], v[8:9], 2, s[6:7]
	global_load_dword v1, v[12:13], off
	v_lshl_add_u64 v[20:21], v[6:7], 2, s[8:9]
	v_mov_b32_e32 v23, v7
	global_load_dwordx4 v[12:15], v[20:21], off offset:16
	global_load_dwordx4 v[16:19], v[20:21], off
	v_add_u32_e32 v8, 16, v8
	v_cmp_ge_i32_e32 vcc, v8, v10
	v_add_u32_e32 v6, 0x80, v6
	s_or_b64 s[18:19], vcc, s[18:19]
	s_waitcnt vmcnt(2)
	v_subrev_u32_e32 v1, s16, v1
	v_lshlrev_b32_e32 v22, 2, v1
	v_lshl_add_u64 v[20:21], v[22:23], 2, s[10:11]
	global_load_dwordx4 v[20:23], v[20:21], off
	s_waitcnt vmcnt(0)
	v_pk_fma_f32 v[4:5], v[16:17], v[20:21], v[4:5] op_sel_hi:[1,0,1]
	s_nop 0
	v_pk_fma_f32 v[4:5], v[18:19], v[20:21], v[4:5] op_sel:[0,1,0]
	v_mov_b32_e32 v16, v23
	v_pk_fma_f32 v[4:5], v[12:13], v[22:23], v[4:5] op_sel_hi:[1,0,1]
	s_nop 0
	v_pk_fma_f32 v[4:5], v[14:15], v[16:17], v[4:5] op_sel_hi:[1,0,1]
	s_andn2_b64 exec, exec, s[18:19]
	s_cbranch_execnz .LBB12_9
; %bb.10:
	s_or_b64 exec, exec, s[18:19]
.LBB12_11:
	s_or_b64 exec, exec, s[4:5]
	s_cbranch_execz .LBB12_13
	s_branch .LBB12_18
.LBB12_12:
                                        ; implicit-def: $vgpr5
.LBB12_13:
	v_mov_b32_e32 v5, 0
	v_mov_b32_e32 v4, v5
	s_and_saveexec_b64 s[4:5], s[2:3]
	s_cbranch_execz .LBB12_17
; %bb.14:
	v_mov_b32_e32 v7, 0
	v_lshlrev_b32_e32 v6, 3, v0
	s_mov_b64 s[2:3], 0
	v_mov_b32_e32 v4, v7
	v_mov_b32_e32 v5, v7
.LBB12_15:                              ; =>This Inner Loop Header: Depth=1
	v_ashrrev_i32_e32 v1, 31, v0
	v_lshl_add_u64 v[8:9], v[0:1], 2, s[6:7]
	global_load_dword v1, v[8:9], off
	v_lshl_add_u64 v[8:9], v[6:7], 2, s[8:9]
	v_mov_b32_e32 v21, v7
	global_load_dwordx4 v[12:15], v[8:9], off
	global_load_dwordx4 v[16:19], v[8:9], off offset:16
	v_add_u32_e32 v0, 16, v0
	v_cmp_ge_i32_e32 vcc, v0, v10
	v_add_u32_e32 v6, 0x80, v6
	s_or_b64 s[2:3], vcc, s[2:3]
	s_waitcnt vmcnt(2)
	v_subrev_u32_e32 v1, s16, v1
	v_lshlrev_b32_e32 v20, 2, v1
	v_lshl_add_u64 v[8:9], v[20:21], 2, s[10:11]
	global_load_dwordx4 v[20:23], v[8:9], off
	s_waitcnt vmcnt(2)
	v_mov_b32_e32 v8, v12
	s_waitcnt vmcnt(1)
	v_mov_b32_e32 v9, v16
	v_mov_b32_e32 v16, v13
	;; [unrolled: 1-line block ×5, first 2 shown]
	s_waitcnt vmcnt(0)
	v_pk_fma_f32 v[4:5], v[8:9], v[20:21], v[4:5] op_sel_hi:[1,0,1]
	s_nop 0
	v_pk_fma_f32 v[4:5], v[16:17], v[20:21], v[4:5] op_sel:[0,1,0]
	v_mov_b32_e32 v8, v23
	v_pk_fma_f32 v[4:5], v[12:13], v[22:23], v[4:5] op_sel_hi:[1,0,1]
	s_nop 0
	v_pk_fma_f32 v[4:5], v[18:19], v[8:9], v[4:5] op_sel_hi:[1,0,1]
	s_andn2_b64 exec, exec, s[2:3]
	s_cbranch_execnz .LBB12_15
; %bb.16:
	s_or_b64 exec, exec, s[2:3]
.LBB12_17:
	s_or_b64 exec, exec, s[4:5]
.LBB12_18:
	v_mov_b32_dpp v0, v4 row_shr:1 row_mask:0xf bank_mask:0xf
	v_mov_b32_dpp v1, v5 row_shr:1 row_mask:0xf bank_mask:0xf
	v_pk_add_f32 v[0:1], v[4:5], v[0:1]
	v_cmp_eq_u32_e32 vcc, 15, v3
	s_nop 0
	v_mov_b32_dpp v4, v0 row_shr:2 row_mask:0xf bank_mask:0xf
	v_mov_b32_dpp v5, v1 row_shr:2 row_mask:0xf bank_mask:0xf
	v_pk_add_f32 v[0:1], v[0:1], v[4:5]
	s_nop 1
	v_mov_b32_dpp v4, v0 row_shr:4 row_mask:0xf bank_mask:0xe
	v_mov_b32_dpp v5, v1 row_shr:4 row_mask:0xf bank_mask:0xe
	v_pk_add_f32 v[0:1], v[0:1], v[4:5]
	s_nop 1
	v_mov_b32_dpp v4, v0 row_shr:8 row_mask:0xf bank_mask:0xc
	v_mov_b32_dpp v5, v1 row_shr:8 row_mask:0xf bank_mask:0xc
	s_and_b64 exec, exec, vcc
	s_cbranch_execz .LBB12_22
; %bb.19:
	s_load_dwordx2 s[0:1], s[0:1], 0x38
	v_cmp_eq_f32_e64 s[2:3], s12, 0
	v_pk_add_f32 v[0:1], v[0:1], v[4:5]
	s_and_b64 vcc, exec, s[2:3]
	v_lshlrev_b32_e32 v2, 1, v2
	s_cbranch_vccz .LBB12_23
; %bb.20:
	v_ashrrev_i32_e32 v3, 31, v2
	s_waitcnt lgkmcnt(0)
	v_lshl_add_u64 v[4:5], v[2:3], 2, s[0:1]
	v_pk_mul_f32 v[6:7], s[14:15], v[0:1] op_sel_hi:[0,1]
	global_store_dwordx2 v[4:5], v[6:7], off
	s_cbranch_execnz .LBB12_22
.LBB12_21:
	v_ashrrev_i32_e32 v3, 31, v2
	s_waitcnt lgkmcnt(0)
	v_lshl_add_u64 v[2:3], v[2:3], 2, s[0:1]
	global_load_dwordx2 v[4:5], v[2:3], off
	v_pk_mul_f32 v[0:1], s[14:15], v[0:1] op_sel_hi:[0,1]
	s_waitcnt vmcnt(0)
	v_pk_fma_f32 v[0:1], s[12:13], v[4:5], v[0:1] op_sel_hi:[0,1,1]
	global_store_dwordx2 v[2:3], v[0:1], off
.LBB12_22:
	s_endpgm
.LBB12_23:
	s_branch .LBB12_21
	.section	.rodata,"a",@progbits
	.p2align	6, 0x0
	.amdhsa_kernel _ZN9rocsparseL19gebsrmvn_2xn_kernelILj128ELj4ELj16EfEEvi20rocsparse_direction_NS_24const_host_device_scalarIT2_EEPKiS6_PKS3_S8_S4_PS3_21rocsparse_index_base_b
		.amdhsa_group_segment_fixed_size 0
		.amdhsa_private_segment_fixed_size 0
		.amdhsa_kernarg_size 72
		.amdhsa_user_sgpr_count 2
		.amdhsa_user_sgpr_dispatch_ptr 0
		.amdhsa_user_sgpr_queue_ptr 0
		.amdhsa_user_sgpr_kernarg_segment_ptr 1
		.amdhsa_user_sgpr_dispatch_id 0
		.amdhsa_user_sgpr_kernarg_preload_length 0
		.amdhsa_user_sgpr_kernarg_preload_offset 0
		.amdhsa_user_sgpr_private_segment_size 0
		.amdhsa_uses_dynamic_stack 0
		.amdhsa_enable_private_segment 0
		.amdhsa_system_sgpr_workgroup_id_x 1
		.amdhsa_system_sgpr_workgroup_id_y 0
		.amdhsa_system_sgpr_workgroup_id_z 0
		.amdhsa_system_sgpr_workgroup_info 0
		.amdhsa_system_vgpr_workitem_id 0
		.amdhsa_next_free_vgpr 24
		.amdhsa_next_free_sgpr 20
		.amdhsa_accum_offset 24
		.amdhsa_reserve_vcc 1
		.amdhsa_float_round_mode_32 0
		.amdhsa_float_round_mode_16_64 0
		.amdhsa_float_denorm_mode_32 3
		.amdhsa_float_denorm_mode_16_64 3
		.amdhsa_dx10_clamp 1
		.amdhsa_ieee_mode 1
		.amdhsa_fp16_overflow 0
		.amdhsa_tg_split 0
		.amdhsa_exception_fp_ieee_invalid_op 0
		.amdhsa_exception_fp_denorm_src 0
		.amdhsa_exception_fp_ieee_div_zero 0
		.amdhsa_exception_fp_ieee_overflow 0
		.amdhsa_exception_fp_ieee_underflow 0
		.amdhsa_exception_fp_ieee_inexact 0
		.amdhsa_exception_int_div_zero 0
	.end_amdhsa_kernel
	.section	.text._ZN9rocsparseL19gebsrmvn_2xn_kernelILj128ELj4ELj16EfEEvi20rocsparse_direction_NS_24const_host_device_scalarIT2_EEPKiS6_PKS3_S8_S4_PS3_21rocsparse_index_base_b,"axG",@progbits,_ZN9rocsparseL19gebsrmvn_2xn_kernelILj128ELj4ELj16EfEEvi20rocsparse_direction_NS_24const_host_device_scalarIT2_EEPKiS6_PKS3_S8_S4_PS3_21rocsparse_index_base_b,comdat
.Lfunc_end12:
	.size	_ZN9rocsparseL19gebsrmvn_2xn_kernelILj128ELj4ELj16EfEEvi20rocsparse_direction_NS_24const_host_device_scalarIT2_EEPKiS6_PKS3_S8_S4_PS3_21rocsparse_index_base_b, .Lfunc_end12-_ZN9rocsparseL19gebsrmvn_2xn_kernelILj128ELj4ELj16EfEEvi20rocsparse_direction_NS_24const_host_device_scalarIT2_EEPKiS6_PKS3_S8_S4_PS3_21rocsparse_index_base_b
                                        ; -- End function
	.section	.AMDGPU.csdata,"",@progbits
; Kernel info:
; codeLenInByte = 888
; NumSgprs: 26
; NumVgprs: 24
; NumAgprs: 0
; TotalNumVgprs: 24
; ScratchSize: 0
; MemoryBound: 0
; FloatMode: 240
; IeeeMode: 1
; LDSByteSize: 0 bytes/workgroup (compile time only)
; SGPRBlocks: 3
; VGPRBlocks: 2
; NumSGPRsForWavesPerEU: 26
; NumVGPRsForWavesPerEU: 24
; AccumOffset: 24
; Occupancy: 8
; WaveLimiterHint : 1
; COMPUTE_PGM_RSRC2:SCRATCH_EN: 0
; COMPUTE_PGM_RSRC2:USER_SGPR: 2
; COMPUTE_PGM_RSRC2:TRAP_HANDLER: 0
; COMPUTE_PGM_RSRC2:TGID_X_EN: 1
; COMPUTE_PGM_RSRC2:TGID_Y_EN: 0
; COMPUTE_PGM_RSRC2:TGID_Z_EN: 0
; COMPUTE_PGM_RSRC2:TIDIG_COMP_CNT: 0
; COMPUTE_PGM_RSRC3_GFX90A:ACCUM_OFFSET: 5
; COMPUTE_PGM_RSRC3_GFX90A:TG_SPLIT: 0
	.section	.text._ZN9rocsparseL19gebsrmvn_2xn_kernelILj128ELj4ELj32EfEEvi20rocsparse_direction_NS_24const_host_device_scalarIT2_EEPKiS6_PKS3_S8_S4_PS3_21rocsparse_index_base_b,"axG",@progbits,_ZN9rocsparseL19gebsrmvn_2xn_kernelILj128ELj4ELj32EfEEvi20rocsparse_direction_NS_24const_host_device_scalarIT2_EEPKiS6_PKS3_S8_S4_PS3_21rocsparse_index_base_b,comdat
	.globl	_ZN9rocsparseL19gebsrmvn_2xn_kernelILj128ELj4ELj32EfEEvi20rocsparse_direction_NS_24const_host_device_scalarIT2_EEPKiS6_PKS3_S8_S4_PS3_21rocsparse_index_base_b ; -- Begin function _ZN9rocsparseL19gebsrmvn_2xn_kernelILj128ELj4ELj32EfEEvi20rocsparse_direction_NS_24const_host_device_scalarIT2_EEPKiS6_PKS3_S8_S4_PS3_21rocsparse_index_base_b
	.p2align	8
	.type	_ZN9rocsparseL19gebsrmvn_2xn_kernelILj128ELj4ELj32EfEEvi20rocsparse_direction_NS_24const_host_device_scalarIT2_EEPKiS6_PKS3_S8_S4_PS3_21rocsparse_index_base_b,@function
_ZN9rocsparseL19gebsrmvn_2xn_kernelILj128ELj4ELj32EfEEvi20rocsparse_direction_NS_24const_host_device_scalarIT2_EEPKiS6_PKS3_S8_S4_PS3_21rocsparse_index_base_b: ; @_ZN9rocsparseL19gebsrmvn_2xn_kernelILj128ELj4ELj32EfEEvi20rocsparse_direction_NS_24const_host_device_scalarIT2_EEPKiS6_PKS3_S8_S4_PS3_21rocsparse_index_base_b
; %bb.0:
	s_load_dwordx2 s[16:17], s[0:1], 0x40
	s_load_dwordx2 s[14:15], s[0:1], 0x8
	;; [unrolled: 1-line block ×3, first 2 shown]
	s_waitcnt lgkmcnt(0)
	s_bitcmp1_b32 s17, 0
	s_cselect_b64 s[6:7], -1, 0
	s_xor_b64 s[4:5], s[6:7], -1
	s_and_b64 vcc, exec, s[6:7]
	s_cbranch_vccnz .LBB13_2
; %bb.1:
	s_load_dword s14, s[14:15], 0x0
.LBB13_2:
	s_andn2_b64 vcc, exec, s[4:5]
	s_cbranch_vccnz .LBB13_4
; %bb.3:
	s_load_dword s12, s[12:13], 0x0
.LBB13_4:
	s_waitcnt lgkmcnt(0)
	v_cmp_eq_f32_e64 s[4:5], s14, 0
	v_cmp_eq_f32_e64 s[6:7], s12, 1.0
	s_and_b64 s[4:5], s[4:5], s[6:7]
	s_and_b64 vcc, exec, s[4:5]
	s_cbranch_vccnz .LBB13_22
; %bb.5:
	s_load_dwordx2 s[18:19], s[0:1], 0x0
	v_lshrrev_b32_e32 v1, 5, v0
	v_lshl_or_b32 v2, s2, 2, v1
	s_waitcnt lgkmcnt(0)
	v_cmp_gt_i32_e32 vcc, s18, v2
	s_and_saveexec_b64 s[2:3], vcc
	s_cbranch_execz .LBB13_22
; %bb.6:
	s_load_dwordx8 s[4:11], s[0:1], 0x10
	v_ashrrev_i32_e32 v3, 31, v2
	s_cmp_lg_u32 s19, 0
	s_waitcnt lgkmcnt(0)
	v_lshl_add_u64 v[4:5], v[2:3], 2, s[4:5]
	global_load_dwordx2 v[4:5], v[4:5], off
	v_and_b32_e32 v3, 31, v0
	s_waitcnt vmcnt(0)
	v_subrev_u32_e32 v0, s16, v4
	v_subrev_u32_e32 v10, s16, v5
	v_add_u32_e32 v0, v0, v3
	v_cmp_lt_i32_e64 s[2:3], v0, v10
	s_cbranch_scc0 .LBB13_12
; %bb.7:
	v_mov_b32_e32 v5, 0
	v_mov_b32_e32 v4, v5
	s_and_saveexec_b64 s[4:5], s[2:3]
	s_cbranch_execz .LBB13_11
; %bb.8:
	v_mov_b32_e32 v7, 0
	v_lshlrev_b32_e32 v6, 3, v0
	s_mov_b64 s[18:19], 0
	v_mov_b32_e32 v8, v0
	v_mov_b32_e32 v4, v7
	;; [unrolled: 1-line block ×3, first 2 shown]
.LBB13_9:                               ; =>This Inner Loop Header: Depth=1
	v_ashrrev_i32_e32 v9, 31, v8
	v_lshl_add_u64 v[12:13], v[8:9], 2, s[6:7]
	global_load_dword v1, v[12:13], off
	v_lshl_add_u64 v[20:21], v[6:7], 2, s[8:9]
	v_mov_b32_e32 v23, v7
	global_load_dwordx4 v[12:15], v[20:21], off offset:16
	global_load_dwordx4 v[16:19], v[20:21], off
	v_add_u32_e32 v8, 32, v8
	v_cmp_ge_i32_e32 vcc, v8, v10
	v_add_u32_e32 v6, 0x100, v6
	s_or_b64 s[18:19], vcc, s[18:19]
	s_waitcnt vmcnt(2)
	v_subrev_u32_e32 v1, s16, v1
	v_lshlrev_b32_e32 v22, 2, v1
	v_lshl_add_u64 v[20:21], v[22:23], 2, s[10:11]
	global_load_dwordx4 v[20:23], v[20:21], off
	s_waitcnt vmcnt(0)
	v_pk_fma_f32 v[4:5], v[16:17], v[20:21], v[4:5] op_sel_hi:[1,0,1]
	s_nop 0
	v_pk_fma_f32 v[4:5], v[18:19], v[20:21], v[4:5] op_sel:[0,1,0]
	v_mov_b32_e32 v16, v23
	v_pk_fma_f32 v[4:5], v[12:13], v[22:23], v[4:5] op_sel_hi:[1,0,1]
	s_nop 0
	v_pk_fma_f32 v[4:5], v[14:15], v[16:17], v[4:5] op_sel_hi:[1,0,1]
	s_andn2_b64 exec, exec, s[18:19]
	s_cbranch_execnz .LBB13_9
; %bb.10:
	s_or_b64 exec, exec, s[18:19]
.LBB13_11:
	s_or_b64 exec, exec, s[4:5]
	s_cbranch_execz .LBB13_13
	s_branch .LBB13_18
.LBB13_12:
                                        ; implicit-def: $vgpr5
.LBB13_13:
	v_mov_b32_e32 v5, 0
	v_mov_b32_e32 v4, v5
	s_and_saveexec_b64 s[4:5], s[2:3]
	s_cbranch_execz .LBB13_17
; %bb.14:
	v_mov_b32_e32 v7, 0
	v_lshlrev_b32_e32 v6, 3, v0
	s_mov_b64 s[2:3], 0
	v_mov_b32_e32 v4, v7
	v_mov_b32_e32 v5, v7
.LBB13_15:                              ; =>This Inner Loop Header: Depth=1
	v_ashrrev_i32_e32 v1, 31, v0
	v_lshl_add_u64 v[8:9], v[0:1], 2, s[6:7]
	global_load_dword v1, v[8:9], off
	v_lshl_add_u64 v[8:9], v[6:7], 2, s[8:9]
	v_mov_b32_e32 v21, v7
	global_load_dwordx4 v[12:15], v[8:9], off
	global_load_dwordx4 v[16:19], v[8:9], off offset:16
	v_add_u32_e32 v0, 32, v0
	v_cmp_ge_i32_e32 vcc, v0, v10
	v_add_u32_e32 v6, 0x100, v6
	s_or_b64 s[2:3], vcc, s[2:3]
	s_waitcnt vmcnt(2)
	v_subrev_u32_e32 v1, s16, v1
	v_lshlrev_b32_e32 v20, 2, v1
	v_lshl_add_u64 v[8:9], v[20:21], 2, s[10:11]
	global_load_dwordx4 v[20:23], v[8:9], off
	s_waitcnt vmcnt(2)
	v_mov_b32_e32 v8, v12
	s_waitcnt vmcnt(1)
	v_mov_b32_e32 v9, v16
	v_mov_b32_e32 v16, v13
	v_mov_b32_e32 v12, v14
	v_mov_b32_e32 v13, v18
	v_mov_b32_e32 v18, v15
	s_waitcnt vmcnt(0)
	v_pk_fma_f32 v[4:5], v[8:9], v[20:21], v[4:5] op_sel_hi:[1,0,1]
	s_nop 0
	v_pk_fma_f32 v[4:5], v[16:17], v[20:21], v[4:5] op_sel:[0,1,0]
	v_mov_b32_e32 v8, v23
	v_pk_fma_f32 v[4:5], v[12:13], v[22:23], v[4:5] op_sel_hi:[1,0,1]
	s_nop 0
	v_pk_fma_f32 v[4:5], v[18:19], v[8:9], v[4:5] op_sel_hi:[1,0,1]
	s_andn2_b64 exec, exec, s[2:3]
	s_cbranch_execnz .LBB13_15
; %bb.16:
	s_or_b64 exec, exec, s[2:3]
.LBB13_17:
	s_or_b64 exec, exec, s[4:5]
.LBB13_18:
	v_mov_b32_dpp v0, v4 row_shr:1 row_mask:0xf bank_mask:0xf
	v_mov_b32_dpp v1, v5 row_shr:1 row_mask:0xf bank_mask:0xf
	v_pk_add_f32 v[0:1], v[4:5], v[0:1]
	v_cmp_eq_u32_e32 vcc, 31, v3
	s_nop 0
	v_mov_b32_dpp v4, v0 row_shr:2 row_mask:0xf bank_mask:0xf
	v_mov_b32_dpp v5, v1 row_shr:2 row_mask:0xf bank_mask:0xf
	v_pk_add_f32 v[0:1], v[0:1], v[4:5]
	s_nop 1
	v_mov_b32_dpp v4, v0 row_shr:4 row_mask:0xf bank_mask:0xe
	v_mov_b32_dpp v5, v1 row_shr:4 row_mask:0xf bank_mask:0xe
	v_pk_add_f32 v[0:1], v[0:1], v[4:5]
	s_nop 1
	v_mov_b32_dpp v4, v0 row_shr:8 row_mask:0xf bank_mask:0xc
	v_mov_b32_dpp v5, v1 row_shr:8 row_mask:0xf bank_mask:0xc
	v_pk_add_f32 v[0:1], v[0:1], v[4:5]
	s_nop 1
	v_mov_b32_dpp v4, v0 row_bcast:15 row_mask:0xa bank_mask:0xf
	v_mov_b32_dpp v5, v1 row_bcast:15 row_mask:0xa bank_mask:0xf
	s_and_b64 exec, exec, vcc
	s_cbranch_execz .LBB13_22
; %bb.19:
	s_load_dwordx2 s[0:1], s[0:1], 0x38
	v_cmp_eq_f32_e64 s[2:3], s12, 0
	v_pk_add_f32 v[0:1], v[0:1], v[4:5]
	s_and_b64 vcc, exec, s[2:3]
	v_lshlrev_b32_e32 v2, 1, v2
	s_cbranch_vccz .LBB13_23
; %bb.20:
	v_ashrrev_i32_e32 v3, 31, v2
	s_waitcnt lgkmcnt(0)
	v_lshl_add_u64 v[4:5], v[2:3], 2, s[0:1]
	v_pk_mul_f32 v[6:7], s[14:15], v[0:1] op_sel_hi:[0,1]
	global_store_dwordx2 v[4:5], v[6:7], off
	s_cbranch_execnz .LBB13_22
.LBB13_21:
	v_ashrrev_i32_e32 v3, 31, v2
	s_waitcnt lgkmcnt(0)
	v_lshl_add_u64 v[2:3], v[2:3], 2, s[0:1]
	global_load_dwordx2 v[4:5], v[2:3], off
	v_pk_mul_f32 v[0:1], s[14:15], v[0:1] op_sel_hi:[0,1]
	s_waitcnt vmcnt(0)
	v_pk_fma_f32 v[0:1], s[12:13], v[4:5], v[0:1] op_sel_hi:[0,1,1]
	global_store_dwordx2 v[2:3], v[0:1], off
.LBB13_22:
	s_endpgm
.LBB13_23:
	s_branch .LBB13_21
	.section	.rodata,"a",@progbits
	.p2align	6, 0x0
	.amdhsa_kernel _ZN9rocsparseL19gebsrmvn_2xn_kernelILj128ELj4ELj32EfEEvi20rocsparse_direction_NS_24const_host_device_scalarIT2_EEPKiS6_PKS3_S8_S4_PS3_21rocsparse_index_base_b
		.amdhsa_group_segment_fixed_size 0
		.amdhsa_private_segment_fixed_size 0
		.amdhsa_kernarg_size 72
		.amdhsa_user_sgpr_count 2
		.amdhsa_user_sgpr_dispatch_ptr 0
		.amdhsa_user_sgpr_queue_ptr 0
		.amdhsa_user_sgpr_kernarg_segment_ptr 1
		.amdhsa_user_sgpr_dispatch_id 0
		.amdhsa_user_sgpr_kernarg_preload_length 0
		.amdhsa_user_sgpr_kernarg_preload_offset 0
		.amdhsa_user_sgpr_private_segment_size 0
		.amdhsa_uses_dynamic_stack 0
		.amdhsa_enable_private_segment 0
		.amdhsa_system_sgpr_workgroup_id_x 1
		.amdhsa_system_sgpr_workgroup_id_y 0
		.amdhsa_system_sgpr_workgroup_id_z 0
		.amdhsa_system_sgpr_workgroup_info 0
		.amdhsa_system_vgpr_workitem_id 0
		.amdhsa_next_free_vgpr 24
		.amdhsa_next_free_sgpr 20
		.amdhsa_accum_offset 24
		.amdhsa_reserve_vcc 1
		.amdhsa_float_round_mode_32 0
		.amdhsa_float_round_mode_16_64 0
		.amdhsa_float_denorm_mode_32 3
		.amdhsa_float_denorm_mode_16_64 3
		.amdhsa_dx10_clamp 1
		.amdhsa_ieee_mode 1
		.amdhsa_fp16_overflow 0
		.amdhsa_tg_split 0
		.amdhsa_exception_fp_ieee_invalid_op 0
		.amdhsa_exception_fp_denorm_src 0
		.amdhsa_exception_fp_ieee_div_zero 0
		.amdhsa_exception_fp_ieee_overflow 0
		.amdhsa_exception_fp_ieee_underflow 0
		.amdhsa_exception_fp_ieee_inexact 0
		.amdhsa_exception_int_div_zero 0
	.end_amdhsa_kernel
	.section	.text._ZN9rocsparseL19gebsrmvn_2xn_kernelILj128ELj4ELj32EfEEvi20rocsparse_direction_NS_24const_host_device_scalarIT2_EEPKiS6_PKS3_S8_S4_PS3_21rocsparse_index_base_b,"axG",@progbits,_ZN9rocsparseL19gebsrmvn_2xn_kernelILj128ELj4ELj32EfEEvi20rocsparse_direction_NS_24const_host_device_scalarIT2_EEPKiS6_PKS3_S8_S4_PS3_21rocsparse_index_base_b,comdat
.Lfunc_end13:
	.size	_ZN9rocsparseL19gebsrmvn_2xn_kernelILj128ELj4ELj32EfEEvi20rocsparse_direction_NS_24const_host_device_scalarIT2_EEPKiS6_PKS3_S8_S4_PS3_21rocsparse_index_base_b, .Lfunc_end13-_ZN9rocsparseL19gebsrmvn_2xn_kernelILj128ELj4ELj32EfEEvi20rocsparse_direction_NS_24const_host_device_scalarIT2_EEPKiS6_PKS3_S8_S4_PS3_21rocsparse_index_base_b
                                        ; -- End function
	.section	.AMDGPU.csdata,"",@progbits
; Kernel info:
; codeLenInByte = 916
; NumSgprs: 26
; NumVgprs: 24
; NumAgprs: 0
; TotalNumVgprs: 24
; ScratchSize: 0
; MemoryBound: 0
; FloatMode: 240
; IeeeMode: 1
; LDSByteSize: 0 bytes/workgroup (compile time only)
; SGPRBlocks: 3
; VGPRBlocks: 2
; NumSGPRsForWavesPerEU: 26
; NumVGPRsForWavesPerEU: 24
; AccumOffset: 24
; Occupancy: 8
; WaveLimiterHint : 1
; COMPUTE_PGM_RSRC2:SCRATCH_EN: 0
; COMPUTE_PGM_RSRC2:USER_SGPR: 2
; COMPUTE_PGM_RSRC2:TRAP_HANDLER: 0
; COMPUTE_PGM_RSRC2:TGID_X_EN: 1
; COMPUTE_PGM_RSRC2:TGID_Y_EN: 0
; COMPUTE_PGM_RSRC2:TGID_Z_EN: 0
; COMPUTE_PGM_RSRC2:TIDIG_COMP_CNT: 0
; COMPUTE_PGM_RSRC3_GFX90A:ACCUM_OFFSET: 5
; COMPUTE_PGM_RSRC3_GFX90A:TG_SPLIT: 0
	.section	.text._ZN9rocsparseL19gebsrmvn_2xn_kernelILj128ELj4ELj64EfEEvi20rocsparse_direction_NS_24const_host_device_scalarIT2_EEPKiS6_PKS3_S8_S4_PS3_21rocsparse_index_base_b,"axG",@progbits,_ZN9rocsparseL19gebsrmvn_2xn_kernelILj128ELj4ELj64EfEEvi20rocsparse_direction_NS_24const_host_device_scalarIT2_EEPKiS6_PKS3_S8_S4_PS3_21rocsparse_index_base_b,comdat
	.globl	_ZN9rocsparseL19gebsrmvn_2xn_kernelILj128ELj4ELj64EfEEvi20rocsparse_direction_NS_24const_host_device_scalarIT2_EEPKiS6_PKS3_S8_S4_PS3_21rocsparse_index_base_b ; -- Begin function _ZN9rocsparseL19gebsrmvn_2xn_kernelILj128ELj4ELj64EfEEvi20rocsparse_direction_NS_24const_host_device_scalarIT2_EEPKiS6_PKS3_S8_S4_PS3_21rocsparse_index_base_b
	.p2align	8
	.type	_ZN9rocsparseL19gebsrmvn_2xn_kernelILj128ELj4ELj64EfEEvi20rocsparse_direction_NS_24const_host_device_scalarIT2_EEPKiS6_PKS3_S8_S4_PS3_21rocsparse_index_base_b,@function
_ZN9rocsparseL19gebsrmvn_2xn_kernelILj128ELj4ELj64EfEEvi20rocsparse_direction_NS_24const_host_device_scalarIT2_EEPKiS6_PKS3_S8_S4_PS3_21rocsparse_index_base_b: ; @_ZN9rocsparseL19gebsrmvn_2xn_kernelILj128ELj4ELj64EfEEvi20rocsparse_direction_NS_24const_host_device_scalarIT2_EEPKiS6_PKS3_S8_S4_PS3_21rocsparse_index_base_b
; %bb.0:
	s_load_dwordx2 s[16:17], s[0:1], 0x40
	s_load_dwordx2 s[14:15], s[0:1], 0x8
	;; [unrolled: 1-line block ×3, first 2 shown]
	s_waitcnt lgkmcnt(0)
	s_bitcmp1_b32 s17, 0
	s_cselect_b64 s[6:7], -1, 0
	s_xor_b64 s[4:5], s[6:7], -1
	s_and_b64 vcc, exec, s[6:7]
	s_cbranch_vccnz .LBB14_2
; %bb.1:
	s_load_dword s14, s[14:15], 0x0
.LBB14_2:
	s_andn2_b64 vcc, exec, s[4:5]
	s_cbranch_vccnz .LBB14_4
; %bb.3:
	s_load_dword s12, s[12:13], 0x0
.LBB14_4:
	s_waitcnt lgkmcnt(0)
	v_cmp_eq_f32_e64 s[4:5], s14, 0
	v_cmp_eq_f32_e64 s[6:7], s12, 1.0
	s_and_b64 s[4:5], s[4:5], s[6:7]
	s_and_b64 vcc, exec, s[4:5]
	s_cbranch_vccnz .LBB14_22
; %bb.5:
	s_load_dwordx2 s[18:19], s[0:1], 0x0
	v_lshrrev_b32_e32 v1, 6, v0
	v_lshl_or_b32 v2, s2, 1, v1
	s_waitcnt lgkmcnt(0)
	v_cmp_gt_i32_e32 vcc, s18, v2
	s_and_saveexec_b64 s[2:3], vcc
	s_cbranch_execz .LBB14_22
; %bb.6:
	s_load_dwordx8 s[4:11], s[0:1], 0x10
	v_ashrrev_i32_e32 v3, 31, v2
	s_cmp_lg_u32 s19, 0
	s_waitcnt lgkmcnt(0)
	v_lshl_add_u64 v[4:5], v[2:3], 2, s[4:5]
	global_load_dwordx2 v[4:5], v[4:5], off
	v_and_b32_e32 v3, 63, v0
	s_waitcnt vmcnt(0)
	v_subrev_u32_e32 v0, s16, v4
	v_subrev_u32_e32 v10, s16, v5
	v_add_u32_e32 v0, v0, v3
	v_cmp_lt_i32_e64 s[2:3], v0, v10
	s_cbranch_scc0 .LBB14_12
; %bb.7:
	v_mov_b32_e32 v5, 0
	v_mov_b32_e32 v4, v5
	s_and_saveexec_b64 s[4:5], s[2:3]
	s_cbranch_execz .LBB14_11
; %bb.8:
	v_mov_b32_e32 v7, 0
	v_lshlrev_b32_e32 v6, 3, v0
	s_mov_b64 s[18:19], 0
	v_mov_b32_e32 v8, v0
	v_mov_b32_e32 v4, v7
	v_mov_b32_e32 v5, v7
.LBB14_9:                               ; =>This Inner Loop Header: Depth=1
	v_ashrrev_i32_e32 v9, 31, v8
	v_lshl_add_u64 v[12:13], v[8:9], 2, s[6:7]
	global_load_dword v1, v[12:13], off
	v_lshl_add_u64 v[20:21], v[6:7], 2, s[8:9]
	v_mov_b32_e32 v23, v7
	global_load_dwordx4 v[12:15], v[20:21], off offset:16
	global_load_dwordx4 v[16:19], v[20:21], off
	v_add_u32_e32 v8, 64, v8
	v_cmp_ge_i32_e32 vcc, v8, v10
	v_add_u32_e32 v6, 0x200, v6
	s_or_b64 s[18:19], vcc, s[18:19]
	s_waitcnt vmcnt(2)
	v_subrev_u32_e32 v1, s16, v1
	v_lshlrev_b32_e32 v22, 2, v1
	v_lshl_add_u64 v[20:21], v[22:23], 2, s[10:11]
	global_load_dwordx4 v[20:23], v[20:21], off
	s_waitcnt vmcnt(0)
	v_pk_fma_f32 v[4:5], v[16:17], v[20:21], v[4:5] op_sel_hi:[1,0,1]
	s_nop 0
	v_pk_fma_f32 v[4:5], v[18:19], v[20:21], v[4:5] op_sel:[0,1,0]
	v_mov_b32_e32 v16, v23
	v_pk_fma_f32 v[4:5], v[12:13], v[22:23], v[4:5] op_sel_hi:[1,0,1]
	s_nop 0
	v_pk_fma_f32 v[4:5], v[14:15], v[16:17], v[4:5] op_sel_hi:[1,0,1]
	s_andn2_b64 exec, exec, s[18:19]
	s_cbranch_execnz .LBB14_9
; %bb.10:
	s_or_b64 exec, exec, s[18:19]
.LBB14_11:
	s_or_b64 exec, exec, s[4:5]
	s_cbranch_execz .LBB14_13
	s_branch .LBB14_18
.LBB14_12:
                                        ; implicit-def: $vgpr5
.LBB14_13:
	v_mov_b32_e32 v5, 0
	v_mov_b32_e32 v4, v5
	s_and_saveexec_b64 s[4:5], s[2:3]
	s_cbranch_execz .LBB14_17
; %bb.14:
	v_mov_b32_e32 v7, 0
	v_lshlrev_b32_e32 v6, 3, v0
	s_mov_b64 s[2:3], 0
	v_mov_b32_e32 v4, v7
	v_mov_b32_e32 v5, v7
.LBB14_15:                              ; =>This Inner Loop Header: Depth=1
	v_ashrrev_i32_e32 v1, 31, v0
	v_lshl_add_u64 v[8:9], v[0:1], 2, s[6:7]
	global_load_dword v1, v[8:9], off
	v_lshl_add_u64 v[8:9], v[6:7], 2, s[8:9]
	v_mov_b32_e32 v21, v7
	global_load_dwordx4 v[12:15], v[8:9], off
	global_load_dwordx4 v[16:19], v[8:9], off offset:16
	v_add_u32_e32 v0, 64, v0
	v_cmp_ge_i32_e32 vcc, v0, v10
	v_add_u32_e32 v6, 0x200, v6
	s_or_b64 s[2:3], vcc, s[2:3]
	s_waitcnt vmcnt(2)
	v_subrev_u32_e32 v1, s16, v1
	v_lshlrev_b32_e32 v20, 2, v1
	v_lshl_add_u64 v[8:9], v[20:21], 2, s[10:11]
	global_load_dwordx4 v[20:23], v[8:9], off
	s_waitcnt vmcnt(2)
	v_mov_b32_e32 v8, v12
	s_waitcnt vmcnt(1)
	v_mov_b32_e32 v9, v16
	v_mov_b32_e32 v16, v13
	;; [unrolled: 1-line block ×5, first 2 shown]
	s_waitcnt vmcnt(0)
	v_pk_fma_f32 v[4:5], v[8:9], v[20:21], v[4:5] op_sel_hi:[1,0,1]
	s_nop 0
	v_pk_fma_f32 v[4:5], v[16:17], v[20:21], v[4:5] op_sel:[0,1,0]
	v_mov_b32_e32 v8, v23
	v_pk_fma_f32 v[4:5], v[12:13], v[22:23], v[4:5] op_sel_hi:[1,0,1]
	s_nop 0
	v_pk_fma_f32 v[4:5], v[18:19], v[8:9], v[4:5] op_sel_hi:[1,0,1]
	s_andn2_b64 exec, exec, s[2:3]
	s_cbranch_execnz .LBB14_15
; %bb.16:
	s_or_b64 exec, exec, s[2:3]
.LBB14_17:
	s_or_b64 exec, exec, s[4:5]
.LBB14_18:
	v_mov_b32_dpp v0, v4 row_shr:1 row_mask:0xf bank_mask:0xf
	v_mov_b32_dpp v1, v5 row_shr:1 row_mask:0xf bank_mask:0xf
	v_pk_add_f32 v[0:1], v[4:5], v[0:1]
	v_cmp_eq_u32_e32 vcc, 63, v3
	s_nop 0
	v_mov_b32_dpp v4, v0 row_shr:2 row_mask:0xf bank_mask:0xf
	v_mov_b32_dpp v5, v1 row_shr:2 row_mask:0xf bank_mask:0xf
	v_pk_add_f32 v[0:1], v[0:1], v[4:5]
	s_nop 1
	v_mov_b32_dpp v4, v0 row_shr:4 row_mask:0xf bank_mask:0xe
	v_mov_b32_dpp v5, v1 row_shr:4 row_mask:0xf bank_mask:0xe
	v_pk_add_f32 v[0:1], v[0:1], v[4:5]
	;; [unrolled: 4-line block ×3, first 2 shown]
	s_nop 1
	v_mov_b32_dpp v4, v0 row_bcast:15 row_mask:0xa bank_mask:0xf
	v_mov_b32_dpp v5, v1 row_bcast:15 row_mask:0xa bank_mask:0xf
	v_pk_add_f32 v[0:1], v[0:1], v[4:5]
	s_nop 1
	v_mov_b32_dpp v4, v0 row_bcast:31 row_mask:0xc bank_mask:0xf
	v_mov_b32_dpp v5, v1 row_bcast:31 row_mask:0xc bank_mask:0xf
	s_and_b64 exec, exec, vcc
	s_cbranch_execz .LBB14_22
; %bb.19:
	s_load_dwordx2 s[0:1], s[0:1], 0x38
	v_cmp_eq_f32_e64 s[2:3], s12, 0
	v_pk_add_f32 v[0:1], v[0:1], v[4:5]
	s_and_b64 vcc, exec, s[2:3]
	v_lshlrev_b32_e32 v2, 1, v2
	s_cbranch_vccz .LBB14_23
; %bb.20:
	v_ashrrev_i32_e32 v3, 31, v2
	s_waitcnt lgkmcnt(0)
	v_lshl_add_u64 v[4:5], v[2:3], 2, s[0:1]
	v_pk_mul_f32 v[6:7], s[14:15], v[0:1] op_sel_hi:[0,1]
	global_store_dwordx2 v[4:5], v[6:7], off
	s_cbranch_execnz .LBB14_22
.LBB14_21:
	v_ashrrev_i32_e32 v3, 31, v2
	s_waitcnt lgkmcnt(0)
	v_lshl_add_u64 v[2:3], v[2:3], 2, s[0:1]
	global_load_dwordx2 v[4:5], v[2:3], off
	v_pk_mul_f32 v[0:1], s[14:15], v[0:1] op_sel_hi:[0,1]
	s_waitcnt vmcnt(0)
	v_pk_fma_f32 v[0:1], s[12:13], v[4:5], v[0:1] op_sel_hi:[0,1,1]
	global_store_dwordx2 v[2:3], v[0:1], off
.LBB14_22:
	s_endpgm
.LBB14_23:
	s_branch .LBB14_21
	.section	.rodata,"a",@progbits
	.p2align	6, 0x0
	.amdhsa_kernel _ZN9rocsparseL19gebsrmvn_2xn_kernelILj128ELj4ELj64EfEEvi20rocsparse_direction_NS_24const_host_device_scalarIT2_EEPKiS6_PKS3_S8_S4_PS3_21rocsparse_index_base_b
		.amdhsa_group_segment_fixed_size 0
		.amdhsa_private_segment_fixed_size 0
		.amdhsa_kernarg_size 72
		.amdhsa_user_sgpr_count 2
		.amdhsa_user_sgpr_dispatch_ptr 0
		.amdhsa_user_sgpr_queue_ptr 0
		.amdhsa_user_sgpr_kernarg_segment_ptr 1
		.amdhsa_user_sgpr_dispatch_id 0
		.amdhsa_user_sgpr_kernarg_preload_length 0
		.amdhsa_user_sgpr_kernarg_preload_offset 0
		.amdhsa_user_sgpr_private_segment_size 0
		.amdhsa_uses_dynamic_stack 0
		.amdhsa_enable_private_segment 0
		.amdhsa_system_sgpr_workgroup_id_x 1
		.amdhsa_system_sgpr_workgroup_id_y 0
		.amdhsa_system_sgpr_workgroup_id_z 0
		.amdhsa_system_sgpr_workgroup_info 0
		.amdhsa_system_vgpr_workitem_id 0
		.amdhsa_next_free_vgpr 24
		.amdhsa_next_free_sgpr 20
		.amdhsa_accum_offset 24
		.amdhsa_reserve_vcc 1
		.amdhsa_float_round_mode_32 0
		.amdhsa_float_round_mode_16_64 0
		.amdhsa_float_denorm_mode_32 3
		.amdhsa_float_denorm_mode_16_64 3
		.amdhsa_dx10_clamp 1
		.amdhsa_ieee_mode 1
		.amdhsa_fp16_overflow 0
		.amdhsa_tg_split 0
		.amdhsa_exception_fp_ieee_invalid_op 0
		.amdhsa_exception_fp_denorm_src 0
		.amdhsa_exception_fp_ieee_div_zero 0
		.amdhsa_exception_fp_ieee_overflow 0
		.amdhsa_exception_fp_ieee_underflow 0
		.amdhsa_exception_fp_ieee_inexact 0
		.amdhsa_exception_int_div_zero 0
	.end_amdhsa_kernel
	.section	.text._ZN9rocsparseL19gebsrmvn_2xn_kernelILj128ELj4ELj64EfEEvi20rocsparse_direction_NS_24const_host_device_scalarIT2_EEPKiS6_PKS3_S8_S4_PS3_21rocsparse_index_base_b,"axG",@progbits,_ZN9rocsparseL19gebsrmvn_2xn_kernelILj128ELj4ELj64EfEEvi20rocsparse_direction_NS_24const_host_device_scalarIT2_EEPKiS6_PKS3_S8_S4_PS3_21rocsparse_index_base_b,comdat
.Lfunc_end14:
	.size	_ZN9rocsparseL19gebsrmvn_2xn_kernelILj128ELj4ELj64EfEEvi20rocsparse_direction_NS_24const_host_device_scalarIT2_EEPKiS6_PKS3_S8_S4_PS3_21rocsparse_index_base_b, .Lfunc_end14-_ZN9rocsparseL19gebsrmvn_2xn_kernelILj128ELj4ELj64EfEEvi20rocsparse_direction_NS_24const_host_device_scalarIT2_EEPKiS6_PKS3_S8_S4_PS3_21rocsparse_index_base_b
                                        ; -- End function
	.section	.AMDGPU.csdata,"",@progbits
; Kernel info:
; codeLenInByte = 944
; NumSgprs: 26
; NumVgprs: 24
; NumAgprs: 0
; TotalNumVgprs: 24
; ScratchSize: 0
; MemoryBound: 0
; FloatMode: 240
; IeeeMode: 1
; LDSByteSize: 0 bytes/workgroup (compile time only)
; SGPRBlocks: 3
; VGPRBlocks: 2
; NumSGPRsForWavesPerEU: 26
; NumVGPRsForWavesPerEU: 24
; AccumOffset: 24
; Occupancy: 8
; WaveLimiterHint : 1
; COMPUTE_PGM_RSRC2:SCRATCH_EN: 0
; COMPUTE_PGM_RSRC2:USER_SGPR: 2
; COMPUTE_PGM_RSRC2:TRAP_HANDLER: 0
; COMPUTE_PGM_RSRC2:TGID_X_EN: 1
; COMPUTE_PGM_RSRC2:TGID_Y_EN: 0
; COMPUTE_PGM_RSRC2:TGID_Z_EN: 0
; COMPUTE_PGM_RSRC2:TIDIG_COMP_CNT: 0
; COMPUTE_PGM_RSRC3_GFX90A:ACCUM_OFFSET: 5
; COMPUTE_PGM_RSRC3_GFX90A:TG_SPLIT: 0
	.section	.text._ZN9rocsparseL19gebsrmvn_2xn_kernelILj128ELj5ELj4EfEEvi20rocsparse_direction_NS_24const_host_device_scalarIT2_EEPKiS6_PKS3_S8_S4_PS3_21rocsparse_index_base_b,"axG",@progbits,_ZN9rocsparseL19gebsrmvn_2xn_kernelILj128ELj5ELj4EfEEvi20rocsparse_direction_NS_24const_host_device_scalarIT2_EEPKiS6_PKS3_S8_S4_PS3_21rocsparse_index_base_b,comdat
	.globl	_ZN9rocsparseL19gebsrmvn_2xn_kernelILj128ELj5ELj4EfEEvi20rocsparse_direction_NS_24const_host_device_scalarIT2_EEPKiS6_PKS3_S8_S4_PS3_21rocsparse_index_base_b ; -- Begin function _ZN9rocsparseL19gebsrmvn_2xn_kernelILj128ELj5ELj4EfEEvi20rocsparse_direction_NS_24const_host_device_scalarIT2_EEPKiS6_PKS3_S8_S4_PS3_21rocsparse_index_base_b
	.p2align	8
	.type	_ZN9rocsparseL19gebsrmvn_2xn_kernelILj128ELj5ELj4EfEEvi20rocsparse_direction_NS_24const_host_device_scalarIT2_EEPKiS6_PKS3_S8_S4_PS3_21rocsparse_index_base_b,@function
_ZN9rocsparseL19gebsrmvn_2xn_kernelILj128ELj5ELj4EfEEvi20rocsparse_direction_NS_24const_host_device_scalarIT2_EEPKiS6_PKS3_S8_S4_PS3_21rocsparse_index_base_b: ; @_ZN9rocsparseL19gebsrmvn_2xn_kernelILj128ELj5ELj4EfEEvi20rocsparse_direction_NS_24const_host_device_scalarIT2_EEPKiS6_PKS3_S8_S4_PS3_21rocsparse_index_base_b
; %bb.0:
	s_load_dwordx2 s[16:17], s[0:1], 0x40
	s_load_dwordx2 s[14:15], s[0:1], 0x8
	;; [unrolled: 1-line block ×3, first 2 shown]
	s_waitcnt lgkmcnt(0)
	s_bitcmp1_b32 s17, 0
	s_cselect_b64 s[6:7], -1, 0
	s_xor_b64 s[4:5], s[6:7], -1
	s_and_b64 vcc, exec, s[6:7]
	s_cbranch_vccnz .LBB15_2
; %bb.1:
	s_load_dword s14, s[14:15], 0x0
.LBB15_2:
	s_andn2_b64 vcc, exec, s[4:5]
	s_cbranch_vccnz .LBB15_4
; %bb.3:
	s_load_dword s12, s[12:13], 0x0
.LBB15_4:
	s_waitcnt lgkmcnt(0)
	v_cmp_eq_f32_e64 s[4:5], s14, 0
	v_cmp_eq_f32_e64 s[6:7], s12, 1.0
	s_and_b64 s[4:5], s[4:5], s[6:7]
	s_and_b64 vcc, exec, s[4:5]
	s_cbranch_vccnz .LBB15_22
; %bb.5:
	s_load_dwordx2 s[18:19], s[0:1], 0x0
	v_lshrrev_b32_e32 v1, 2, v0
	v_lshl_or_b32 v2, s2, 5, v1
	s_waitcnt lgkmcnt(0)
	v_cmp_gt_i32_e32 vcc, s18, v2
	s_and_saveexec_b64 s[2:3], vcc
	s_cbranch_execz .LBB15_22
; %bb.6:
	s_load_dwordx8 s[4:11], s[0:1], 0x10
	v_ashrrev_i32_e32 v3, 31, v2
	s_cmp_lg_u32 s19, 0
	s_waitcnt lgkmcnt(0)
	v_lshl_add_u64 v[4:5], v[2:3], 2, s[4:5]
	global_load_dwordx2 v[4:5], v[4:5], off
	v_and_b32_e32 v3, 3, v0
	s_waitcnt vmcnt(0)
	v_subrev_u32_e32 v0, s16, v4
	v_subrev_u32_e32 v12, s16, v5
	v_add_u32_e32 v0, v0, v3
	v_cmp_lt_i32_e64 s[2:3], v0, v12
	s_cbranch_scc0 .LBB15_12
; %bb.7:
	v_mov_b32_e32 v5, 0
	v_mov_b32_e32 v4, v5
	s_and_saveexec_b64 s[4:5], s[2:3]
	s_cbranch_execz .LBB15_11
; %bb.8:
	v_mad_u64_u32 v[6:7], s[18:19], v0, 10, 8
	v_mov_b32_e32 v9, 0
	s_mov_b64 s[18:19], 0
	v_mov_b32_e32 v10, v0
	v_mov_b32_e32 v4, v9
	;; [unrolled: 1-line block ×3, first 2 shown]
.LBB15_9:                               ; =>This Inner Loop Header: Depth=1
	v_ashrrev_i32_e32 v11, 31, v10
	v_lshl_add_u64 v[14:15], v[10:11], 2, s[6:7]
	global_load_dword v1, v[14:15], off
	v_add_u32_e32 v8, -8, v6
	v_mov_b32_e32 v7, v9
	v_lshl_add_u64 v[16:17], v[8:9], 2, s[8:9]
	v_add_u32_e32 v8, -6, v6
	v_lshl_add_u64 v[18:19], v[6:7], 2, s[8:9]
	v_lshl_add_u64 v[20:21], v[8:9], 2, s[8:9]
	v_mov_b32_e32 v15, v9
	global_load_dwordx2 v[16:17], v[16:17], off
	s_nop 0
	global_load_dwordx2 v[22:23], v[18:19], off
	global_load_dwordx2 v[24:25], v[20:21], off
	v_add_u32_e32 v10, 4, v10
	v_cmp_ge_i32_e32 vcc, v10, v12
	s_or_b64 s[18:19], vcc, s[18:19]
	s_waitcnt vmcnt(3)
	v_subrev_u32_e32 v1, s16, v1
	v_lshl_add_u32 v14, v1, 2, v1
	v_add_u32_e32 v8, 1, v14
	v_lshl_add_u64 v[20:21], v[8:9], 2, s[10:11]
	v_add_u32_e32 v8, -4, v6
	v_lshl_add_u64 v[18:19], v[14:15], 2, s[10:11]
	v_lshl_add_u64 v[26:27], v[8:9], 2, s[8:9]
	v_add_u32_e32 v8, 2, v14
	global_load_dword v18, v[18:19], off
	v_lshl_add_u64 v[28:29], v[8:9], 2, s[10:11]
	global_load_dword v20, v[20:21], off
	v_add_u32_e32 v8, -2, v6
	v_lshl_add_u64 v[30:31], v[8:9], 2, s[8:9]
	v_add_u32_e32 v8, 3, v14
	global_load_dwordx2 v[26:27], v[26:27], off
	v_lshl_add_u64 v[32:33], v[8:9], 2, s[10:11]
	global_load_dword v28, v[28:29], off
	v_add_u32_e32 v8, 4, v14
	global_load_dwordx2 v[30:31], v[30:31], off
	v_add_u32_e32 v6, 40, v6
	global_load_dword v14, v[32:33], off
	v_lshl_add_u64 v[32:33], v[8:9], 2, s[10:11]
	global_load_dword v8, v[32:33], off
	s_waitcnt vmcnt(6)
	v_pk_fma_f32 v[4:5], v[16:17], v[18:19], v[4:5] op_sel_hi:[1,0,1]
	s_waitcnt vmcnt(5)
	v_pk_fma_f32 v[4:5], v[24:25], v[20:21], v[4:5] op_sel_hi:[1,0,1]
	;; [unrolled: 2-line block ×5, first 2 shown]
	s_andn2_b64 exec, exec, s[18:19]
	s_cbranch_execnz .LBB15_9
; %bb.10:
	s_or_b64 exec, exec, s[18:19]
.LBB15_11:
	s_or_b64 exec, exec, s[4:5]
	s_cbranch_execz .LBB15_13
	s_branch .LBB15_18
.LBB15_12:
                                        ; implicit-def: $vgpr5
.LBB15_13:
	v_mov_b32_e32 v5, 0
	v_mov_b32_e32 v4, v5
	s_and_saveexec_b64 s[4:5], s[2:3]
	s_cbranch_execz .LBB15_17
; %bb.14:
	v_mad_u64_u32 v[6:7], s[2:3], v0, 10, 9
	v_mov_b32_e32 v9, 0
	s_mov_b64 s[2:3], 0
	v_mov_b32_e32 v4, v9
	v_mov_b32_e32 v5, v9
.LBB15_15:                              ; =>This Inner Loop Header: Depth=1
	v_ashrrev_i32_e32 v1, 31, v0
	v_lshl_add_u64 v[10:11], v[0:1], 2, s[6:7]
	global_load_dword v1, v[10:11], off
	v_add_u32_e32 v8, -9, v6
	v_add_u32_e32 v10, -4, v6
	v_mov_b32_e32 v11, v9
	v_mov_b32_e32 v7, v9
	v_lshl_add_u64 v[16:17], v[8:9], 2, s[8:9]
	v_lshl_add_u64 v[10:11], v[10:11], 2, s[8:9]
	v_lshl_add_u64 v[18:19], v[6:7], 2, s[8:9]
	global_load_dwordx2 v[20:21], v[16:17], off
	global_load_dword v23, v[10:11], off
	global_load_dword v25, v[18:19], off
	v_mov_b32_e32 v15, v9
	v_add_u32_e32 v0, 4, v0
	v_cmp_ge_i32_e32 vcc, v0, v12
	s_or_b64 s[2:3], vcc, s[2:3]
	s_waitcnt vmcnt(3)
	v_subrev_u32_e32 v1, s16, v1
	v_lshl_add_u32 v14, v1, 2, v1
	v_add_u32_e32 v8, 1, v14
	v_lshl_add_u64 v[16:17], v[8:9], 2, s[10:11]
	v_add_u32_e32 v8, -3, v6
	v_lshl_add_u64 v[18:19], v[8:9], 2, s[8:9]
	v_add_u32_e32 v8, -7, v6
	v_lshl_add_u64 v[10:11], v[14:15], 2, s[10:11]
	v_lshl_add_u64 v[26:27], v[8:9], 2, s[8:9]
	v_add_u32_e32 v8, 2, v14
	global_load_dword v10, v[10:11], off
	s_waitcnt vmcnt(3)
	v_mov_b32_e32 v22, v20
	global_load_dword v16, v[16:17], off
	s_nop 0
	global_load_dword v15, v[18:19], off
	global_load_dword v28, v[26:27], off
	v_lshl_add_u64 v[18:19], v[8:9], 2, s[10:11]
	v_add_u32_e32 v8, -2, v6
	v_lshl_add_u64 v[26:27], v[8:9], 2, s[8:9]
	v_add_u32_e32 v8, -6, v6
	v_lshl_add_u64 v[30:31], v[8:9], 2, s[8:9]
	v_add_u32_e32 v8, 3, v14
	global_load_dword v18, v[18:19], off
	s_nop 0
	global_load_dword v29, v[26:27], off
	global_load_dword v32, v[30:31], off
	v_lshl_add_u64 v[26:27], v[8:9], 2, s[10:11]
	v_add_u32_e32 v8, -1, v6
	v_lshl_add_u64 v[30:31], v[8:9], 2, s[8:9]
	v_add_u32_e32 v8, -5, v6
	v_lshl_add_u64 v[34:35], v[8:9], 2, s[8:9]
	v_add_u32_e32 v8, 4, v14
	global_load_dword v26, v[26:27], off
	s_nop 0
	global_load_dword v33, v[30:31], off
	global_load_dword v24, v[34:35], off
	v_lshl_add_u64 v[30:31], v[8:9], 2, s[10:11]
	global_load_dword v8, v[30:31], off
	v_mov_b32_e32 v14, v21
	v_add_u32_e32 v6, 40, v6
	s_waitcnt vmcnt(10)
	v_pk_fma_f32 v[4:5], v[22:23], v[10:11], v[4:5] op_sel_hi:[1,0,1]
	s_waitcnt vmcnt(8)
	v_pk_fma_f32 v[4:5], v[14:15], v[16:17], v[4:5] op_sel_hi:[1,0,1]
	;; [unrolled: 2-line block ×5, first 2 shown]
	s_andn2_b64 exec, exec, s[2:3]
	s_cbranch_execnz .LBB15_15
; %bb.16:
	s_or_b64 exec, exec, s[2:3]
.LBB15_17:
	s_or_b64 exec, exec, s[4:5]
.LBB15_18:
	v_mov_b32_dpp v0, v4 row_shr:1 row_mask:0xf bank_mask:0xf
	v_mov_b32_dpp v1, v5 row_shr:1 row_mask:0xf bank_mask:0xf
	v_pk_add_f32 v[0:1], v[4:5], v[0:1]
	v_cmp_eq_u32_e32 vcc, 3, v3
	s_nop 0
	v_mov_b32_dpp v4, v0 row_shr:2 row_mask:0xf bank_mask:0xf
	v_mov_b32_dpp v5, v1 row_shr:2 row_mask:0xf bank_mask:0xf
	s_and_b64 exec, exec, vcc
	s_cbranch_execz .LBB15_22
; %bb.19:
	s_load_dwordx2 s[0:1], s[0:1], 0x38
	v_cmp_eq_f32_e64 s[2:3], s12, 0
	v_pk_add_f32 v[0:1], v[0:1], v[4:5]
	s_and_b64 vcc, exec, s[2:3]
	v_lshlrev_b32_e32 v2, 1, v2
	s_cbranch_vccz .LBB15_23
; %bb.20:
	v_ashrrev_i32_e32 v3, 31, v2
	s_waitcnt lgkmcnt(0)
	v_lshl_add_u64 v[4:5], v[2:3], 2, s[0:1]
	v_pk_mul_f32 v[6:7], s[14:15], v[0:1] op_sel_hi:[0,1]
	global_store_dwordx2 v[4:5], v[6:7], off
	s_cbranch_execnz .LBB15_22
.LBB15_21:
	v_ashrrev_i32_e32 v3, 31, v2
	s_waitcnt lgkmcnt(0)
	v_lshl_add_u64 v[2:3], v[2:3], 2, s[0:1]
	global_load_dwordx2 v[4:5], v[2:3], off
	v_pk_mul_f32 v[0:1], s[14:15], v[0:1] op_sel_hi:[0,1]
	s_waitcnt vmcnt(0)
	v_pk_fma_f32 v[0:1], s[12:13], v[4:5], v[0:1] op_sel_hi:[0,1,1]
	global_store_dwordx2 v[2:3], v[0:1], off
.LBB15_22:
	s_endpgm
.LBB15_23:
	s_branch .LBB15_21
	.section	.rodata,"a",@progbits
	.p2align	6, 0x0
	.amdhsa_kernel _ZN9rocsparseL19gebsrmvn_2xn_kernelILj128ELj5ELj4EfEEvi20rocsparse_direction_NS_24const_host_device_scalarIT2_EEPKiS6_PKS3_S8_S4_PS3_21rocsparse_index_base_b
		.amdhsa_group_segment_fixed_size 0
		.amdhsa_private_segment_fixed_size 0
		.amdhsa_kernarg_size 72
		.amdhsa_user_sgpr_count 2
		.amdhsa_user_sgpr_dispatch_ptr 0
		.amdhsa_user_sgpr_queue_ptr 0
		.amdhsa_user_sgpr_kernarg_segment_ptr 1
		.amdhsa_user_sgpr_dispatch_id 0
		.amdhsa_user_sgpr_kernarg_preload_length 0
		.amdhsa_user_sgpr_kernarg_preload_offset 0
		.amdhsa_user_sgpr_private_segment_size 0
		.amdhsa_uses_dynamic_stack 0
		.amdhsa_enable_private_segment 0
		.amdhsa_system_sgpr_workgroup_id_x 1
		.amdhsa_system_sgpr_workgroup_id_y 0
		.amdhsa_system_sgpr_workgroup_id_z 0
		.amdhsa_system_sgpr_workgroup_info 0
		.amdhsa_system_vgpr_workitem_id 0
		.amdhsa_next_free_vgpr 36
		.amdhsa_next_free_sgpr 20
		.amdhsa_accum_offset 36
		.amdhsa_reserve_vcc 1
		.amdhsa_float_round_mode_32 0
		.amdhsa_float_round_mode_16_64 0
		.amdhsa_float_denorm_mode_32 3
		.amdhsa_float_denorm_mode_16_64 3
		.amdhsa_dx10_clamp 1
		.amdhsa_ieee_mode 1
		.amdhsa_fp16_overflow 0
		.amdhsa_tg_split 0
		.amdhsa_exception_fp_ieee_invalid_op 0
		.amdhsa_exception_fp_denorm_src 0
		.amdhsa_exception_fp_ieee_div_zero 0
		.amdhsa_exception_fp_ieee_overflow 0
		.amdhsa_exception_fp_ieee_underflow 0
		.amdhsa_exception_fp_ieee_inexact 0
		.amdhsa_exception_int_div_zero 0
	.end_amdhsa_kernel
	.section	.text._ZN9rocsparseL19gebsrmvn_2xn_kernelILj128ELj5ELj4EfEEvi20rocsparse_direction_NS_24const_host_device_scalarIT2_EEPKiS6_PKS3_S8_S4_PS3_21rocsparse_index_base_b,"axG",@progbits,_ZN9rocsparseL19gebsrmvn_2xn_kernelILj128ELj5ELj4EfEEvi20rocsparse_direction_NS_24const_host_device_scalarIT2_EEPKiS6_PKS3_S8_S4_PS3_21rocsparse_index_base_b,comdat
.Lfunc_end15:
	.size	_ZN9rocsparseL19gebsrmvn_2xn_kernelILj128ELj5ELj4EfEEvi20rocsparse_direction_NS_24const_host_device_scalarIT2_EEPKiS6_PKS3_S8_S4_PS3_21rocsparse_index_base_b, .Lfunc_end15-_ZN9rocsparseL19gebsrmvn_2xn_kernelILj128ELj5ELj4EfEEvi20rocsparse_direction_NS_24const_host_device_scalarIT2_EEPKiS6_PKS3_S8_S4_PS3_21rocsparse_index_base_b
                                        ; -- End function
	.section	.AMDGPU.csdata,"",@progbits
; Kernel info:
; codeLenInByte = 1256
; NumSgprs: 26
; NumVgprs: 36
; NumAgprs: 0
; TotalNumVgprs: 36
; ScratchSize: 0
; MemoryBound: 0
; FloatMode: 240
; IeeeMode: 1
; LDSByteSize: 0 bytes/workgroup (compile time only)
; SGPRBlocks: 3
; VGPRBlocks: 4
; NumSGPRsForWavesPerEU: 26
; NumVGPRsForWavesPerEU: 36
; AccumOffset: 36
; Occupancy: 8
; WaveLimiterHint : 1
; COMPUTE_PGM_RSRC2:SCRATCH_EN: 0
; COMPUTE_PGM_RSRC2:USER_SGPR: 2
; COMPUTE_PGM_RSRC2:TRAP_HANDLER: 0
; COMPUTE_PGM_RSRC2:TGID_X_EN: 1
; COMPUTE_PGM_RSRC2:TGID_Y_EN: 0
; COMPUTE_PGM_RSRC2:TGID_Z_EN: 0
; COMPUTE_PGM_RSRC2:TIDIG_COMP_CNT: 0
; COMPUTE_PGM_RSRC3_GFX90A:ACCUM_OFFSET: 8
; COMPUTE_PGM_RSRC3_GFX90A:TG_SPLIT: 0
	.section	.text._ZN9rocsparseL19gebsrmvn_2xn_kernelILj128ELj5ELj8EfEEvi20rocsparse_direction_NS_24const_host_device_scalarIT2_EEPKiS6_PKS3_S8_S4_PS3_21rocsparse_index_base_b,"axG",@progbits,_ZN9rocsparseL19gebsrmvn_2xn_kernelILj128ELj5ELj8EfEEvi20rocsparse_direction_NS_24const_host_device_scalarIT2_EEPKiS6_PKS3_S8_S4_PS3_21rocsparse_index_base_b,comdat
	.globl	_ZN9rocsparseL19gebsrmvn_2xn_kernelILj128ELj5ELj8EfEEvi20rocsparse_direction_NS_24const_host_device_scalarIT2_EEPKiS6_PKS3_S8_S4_PS3_21rocsparse_index_base_b ; -- Begin function _ZN9rocsparseL19gebsrmvn_2xn_kernelILj128ELj5ELj8EfEEvi20rocsparse_direction_NS_24const_host_device_scalarIT2_EEPKiS6_PKS3_S8_S4_PS3_21rocsparse_index_base_b
	.p2align	8
	.type	_ZN9rocsparseL19gebsrmvn_2xn_kernelILj128ELj5ELj8EfEEvi20rocsparse_direction_NS_24const_host_device_scalarIT2_EEPKiS6_PKS3_S8_S4_PS3_21rocsparse_index_base_b,@function
_ZN9rocsparseL19gebsrmvn_2xn_kernelILj128ELj5ELj8EfEEvi20rocsparse_direction_NS_24const_host_device_scalarIT2_EEPKiS6_PKS3_S8_S4_PS3_21rocsparse_index_base_b: ; @_ZN9rocsparseL19gebsrmvn_2xn_kernelILj128ELj5ELj8EfEEvi20rocsparse_direction_NS_24const_host_device_scalarIT2_EEPKiS6_PKS3_S8_S4_PS3_21rocsparse_index_base_b
; %bb.0:
	s_load_dwordx2 s[16:17], s[0:1], 0x40
	s_load_dwordx2 s[14:15], s[0:1], 0x8
	;; [unrolled: 1-line block ×3, first 2 shown]
	s_waitcnt lgkmcnt(0)
	s_bitcmp1_b32 s17, 0
	s_cselect_b64 s[6:7], -1, 0
	s_xor_b64 s[4:5], s[6:7], -1
	s_and_b64 vcc, exec, s[6:7]
	s_cbranch_vccnz .LBB16_2
; %bb.1:
	s_load_dword s14, s[14:15], 0x0
.LBB16_2:
	s_andn2_b64 vcc, exec, s[4:5]
	s_cbranch_vccnz .LBB16_4
; %bb.3:
	s_load_dword s12, s[12:13], 0x0
.LBB16_4:
	s_waitcnt lgkmcnt(0)
	v_cmp_eq_f32_e64 s[4:5], s14, 0
	v_cmp_eq_f32_e64 s[6:7], s12, 1.0
	s_and_b64 s[4:5], s[4:5], s[6:7]
	s_and_b64 vcc, exec, s[4:5]
	s_cbranch_vccnz .LBB16_22
; %bb.5:
	s_load_dwordx2 s[18:19], s[0:1], 0x0
	v_lshrrev_b32_e32 v1, 3, v0
	v_lshl_or_b32 v2, s2, 4, v1
	s_waitcnt lgkmcnt(0)
	v_cmp_gt_i32_e32 vcc, s18, v2
	s_and_saveexec_b64 s[2:3], vcc
	s_cbranch_execz .LBB16_22
; %bb.6:
	s_load_dwordx8 s[4:11], s[0:1], 0x10
	v_ashrrev_i32_e32 v3, 31, v2
	s_cmp_lg_u32 s19, 0
	s_waitcnt lgkmcnt(0)
	v_lshl_add_u64 v[4:5], v[2:3], 2, s[4:5]
	global_load_dwordx2 v[4:5], v[4:5], off
	v_and_b32_e32 v3, 7, v0
	s_waitcnt vmcnt(0)
	v_subrev_u32_e32 v0, s16, v4
	v_subrev_u32_e32 v12, s16, v5
	v_add_u32_e32 v0, v0, v3
	v_cmp_lt_i32_e64 s[2:3], v0, v12
	s_cbranch_scc0 .LBB16_12
; %bb.7:
	v_mov_b32_e32 v5, 0
	v_mov_b32_e32 v4, v5
	s_and_saveexec_b64 s[4:5], s[2:3]
	s_cbranch_execz .LBB16_11
; %bb.8:
	v_mad_u64_u32 v[6:7], s[18:19], v0, 10, 8
	v_mov_b32_e32 v9, 0
	s_mov_b64 s[18:19], 0
	v_mov_b32_e32 v10, v0
	v_mov_b32_e32 v4, v9
	;; [unrolled: 1-line block ×3, first 2 shown]
.LBB16_9:                               ; =>This Inner Loop Header: Depth=1
	v_ashrrev_i32_e32 v11, 31, v10
	v_lshl_add_u64 v[14:15], v[10:11], 2, s[6:7]
	global_load_dword v1, v[14:15], off
	v_add_u32_e32 v8, -8, v6
	v_mov_b32_e32 v7, v9
	v_lshl_add_u64 v[16:17], v[8:9], 2, s[8:9]
	v_add_u32_e32 v8, -6, v6
	v_lshl_add_u64 v[18:19], v[6:7], 2, s[8:9]
	v_lshl_add_u64 v[20:21], v[8:9], 2, s[8:9]
	v_mov_b32_e32 v15, v9
	global_load_dwordx2 v[16:17], v[16:17], off
	s_nop 0
	global_load_dwordx2 v[22:23], v[18:19], off
	global_load_dwordx2 v[24:25], v[20:21], off
	v_add_u32_e32 v10, 8, v10
	v_cmp_ge_i32_e32 vcc, v10, v12
	s_or_b64 s[18:19], vcc, s[18:19]
	s_waitcnt vmcnt(3)
	v_subrev_u32_e32 v1, s16, v1
	v_lshl_add_u32 v14, v1, 2, v1
	v_add_u32_e32 v8, 1, v14
	v_lshl_add_u64 v[20:21], v[8:9], 2, s[10:11]
	v_add_u32_e32 v8, -4, v6
	v_lshl_add_u64 v[18:19], v[14:15], 2, s[10:11]
	v_lshl_add_u64 v[26:27], v[8:9], 2, s[8:9]
	v_add_u32_e32 v8, 2, v14
	global_load_dword v18, v[18:19], off
	v_lshl_add_u64 v[28:29], v[8:9], 2, s[10:11]
	global_load_dword v20, v[20:21], off
	v_add_u32_e32 v8, -2, v6
	v_lshl_add_u64 v[30:31], v[8:9], 2, s[8:9]
	v_add_u32_e32 v8, 3, v14
	global_load_dwordx2 v[26:27], v[26:27], off
	v_lshl_add_u64 v[32:33], v[8:9], 2, s[10:11]
	global_load_dword v28, v[28:29], off
	v_add_u32_e32 v8, 4, v14
	global_load_dwordx2 v[30:31], v[30:31], off
	v_add_u32_e32 v6, 0x50, v6
	global_load_dword v14, v[32:33], off
	v_lshl_add_u64 v[32:33], v[8:9], 2, s[10:11]
	global_load_dword v8, v[32:33], off
	s_waitcnt vmcnt(6)
	v_pk_fma_f32 v[4:5], v[16:17], v[18:19], v[4:5] op_sel_hi:[1,0,1]
	s_waitcnt vmcnt(5)
	v_pk_fma_f32 v[4:5], v[24:25], v[20:21], v[4:5] op_sel_hi:[1,0,1]
	;; [unrolled: 2-line block ×5, first 2 shown]
	s_andn2_b64 exec, exec, s[18:19]
	s_cbranch_execnz .LBB16_9
; %bb.10:
	s_or_b64 exec, exec, s[18:19]
.LBB16_11:
	s_or_b64 exec, exec, s[4:5]
	s_cbranch_execz .LBB16_13
	s_branch .LBB16_18
.LBB16_12:
                                        ; implicit-def: $vgpr5
.LBB16_13:
	v_mov_b32_e32 v5, 0
	v_mov_b32_e32 v4, v5
	s_and_saveexec_b64 s[4:5], s[2:3]
	s_cbranch_execz .LBB16_17
; %bb.14:
	v_mad_u64_u32 v[6:7], s[2:3], v0, 10, 9
	v_mov_b32_e32 v9, 0
	s_mov_b64 s[2:3], 0
	v_mov_b32_e32 v4, v9
	v_mov_b32_e32 v5, v9
.LBB16_15:                              ; =>This Inner Loop Header: Depth=1
	v_ashrrev_i32_e32 v1, 31, v0
	v_lshl_add_u64 v[10:11], v[0:1], 2, s[6:7]
	global_load_dword v1, v[10:11], off
	v_add_u32_e32 v8, -9, v6
	v_add_u32_e32 v10, -4, v6
	v_mov_b32_e32 v11, v9
	v_mov_b32_e32 v7, v9
	v_lshl_add_u64 v[16:17], v[8:9], 2, s[8:9]
	v_lshl_add_u64 v[10:11], v[10:11], 2, s[8:9]
	;; [unrolled: 1-line block ×3, first 2 shown]
	global_load_dwordx2 v[20:21], v[16:17], off
	global_load_dword v23, v[10:11], off
	global_load_dword v25, v[18:19], off
	v_mov_b32_e32 v15, v9
	v_add_u32_e32 v0, 8, v0
	v_cmp_ge_i32_e32 vcc, v0, v12
	s_or_b64 s[2:3], vcc, s[2:3]
	s_waitcnt vmcnt(3)
	v_subrev_u32_e32 v1, s16, v1
	v_lshl_add_u32 v14, v1, 2, v1
	v_add_u32_e32 v8, 1, v14
	v_lshl_add_u64 v[16:17], v[8:9], 2, s[10:11]
	v_add_u32_e32 v8, -3, v6
	v_lshl_add_u64 v[18:19], v[8:9], 2, s[8:9]
	v_add_u32_e32 v8, -7, v6
	v_lshl_add_u64 v[10:11], v[14:15], 2, s[10:11]
	v_lshl_add_u64 v[26:27], v[8:9], 2, s[8:9]
	v_add_u32_e32 v8, 2, v14
	global_load_dword v10, v[10:11], off
	s_waitcnt vmcnt(3)
	v_mov_b32_e32 v22, v20
	global_load_dword v16, v[16:17], off
	s_nop 0
	global_load_dword v15, v[18:19], off
	global_load_dword v28, v[26:27], off
	v_lshl_add_u64 v[18:19], v[8:9], 2, s[10:11]
	v_add_u32_e32 v8, -2, v6
	v_lshl_add_u64 v[26:27], v[8:9], 2, s[8:9]
	v_add_u32_e32 v8, -6, v6
	v_lshl_add_u64 v[30:31], v[8:9], 2, s[8:9]
	v_add_u32_e32 v8, 3, v14
	global_load_dword v18, v[18:19], off
	s_nop 0
	global_load_dword v29, v[26:27], off
	global_load_dword v32, v[30:31], off
	v_lshl_add_u64 v[26:27], v[8:9], 2, s[10:11]
	v_add_u32_e32 v8, -1, v6
	v_lshl_add_u64 v[30:31], v[8:9], 2, s[8:9]
	v_add_u32_e32 v8, -5, v6
	v_lshl_add_u64 v[34:35], v[8:9], 2, s[8:9]
	v_add_u32_e32 v8, 4, v14
	global_load_dword v26, v[26:27], off
	s_nop 0
	global_load_dword v33, v[30:31], off
	global_load_dword v24, v[34:35], off
	v_lshl_add_u64 v[30:31], v[8:9], 2, s[10:11]
	global_load_dword v8, v[30:31], off
	v_mov_b32_e32 v14, v21
	v_add_u32_e32 v6, 0x50, v6
	s_waitcnt vmcnt(10)
	v_pk_fma_f32 v[4:5], v[22:23], v[10:11], v[4:5] op_sel_hi:[1,0,1]
	s_waitcnt vmcnt(8)
	v_pk_fma_f32 v[4:5], v[14:15], v[16:17], v[4:5] op_sel_hi:[1,0,1]
	s_waitcnt vmcnt(5)
	v_pk_fma_f32 v[4:5], v[28:29], v[18:19], v[4:5] op_sel_hi:[1,0,1]
	s_waitcnt vmcnt(2)
	v_pk_fma_f32 v[4:5], v[32:33], v[26:27], v[4:5] op_sel_hi:[1,0,1]
	s_waitcnt vmcnt(0)
	v_pk_fma_f32 v[4:5], v[24:25], v[8:9], v[4:5] op_sel_hi:[1,0,1]
	s_andn2_b64 exec, exec, s[2:3]
	s_cbranch_execnz .LBB16_15
; %bb.16:
	s_or_b64 exec, exec, s[2:3]
.LBB16_17:
	s_or_b64 exec, exec, s[4:5]
.LBB16_18:
	v_mov_b32_dpp v0, v4 row_shr:1 row_mask:0xf bank_mask:0xf
	v_mov_b32_dpp v1, v5 row_shr:1 row_mask:0xf bank_mask:0xf
	v_pk_add_f32 v[0:1], v[4:5], v[0:1]
	v_cmp_eq_u32_e32 vcc, 7, v3
	s_nop 0
	v_mov_b32_dpp v4, v0 row_shr:2 row_mask:0xf bank_mask:0xf
	v_mov_b32_dpp v5, v1 row_shr:2 row_mask:0xf bank_mask:0xf
	v_pk_add_f32 v[0:1], v[0:1], v[4:5]
	s_nop 1
	v_mov_b32_dpp v4, v0 row_shr:4 row_mask:0xf bank_mask:0xe
	v_mov_b32_dpp v5, v1 row_shr:4 row_mask:0xf bank_mask:0xe
	s_and_b64 exec, exec, vcc
	s_cbranch_execz .LBB16_22
; %bb.19:
	s_load_dwordx2 s[0:1], s[0:1], 0x38
	v_cmp_eq_f32_e64 s[2:3], s12, 0
	v_pk_add_f32 v[0:1], v[0:1], v[4:5]
	s_and_b64 vcc, exec, s[2:3]
	v_lshlrev_b32_e32 v2, 1, v2
	s_cbranch_vccz .LBB16_23
; %bb.20:
	v_ashrrev_i32_e32 v3, 31, v2
	s_waitcnt lgkmcnt(0)
	v_lshl_add_u64 v[4:5], v[2:3], 2, s[0:1]
	v_pk_mul_f32 v[6:7], s[14:15], v[0:1] op_sel_hi:[0,1]
	global_store_dwordx2 v[4:5], v[6:7], off
	s_cbranch_execnz .LBB16_22
.LBB16_21:
	v_ashrrev_i32_e32 v3, 31, v2
	s_waitcnt lgkmcnt(0)
	v_lshl_add_u64 v[2:3], v[2:3], 2, s[0:1]
	global_load_dwordx2 v[4:5], v[2:3], off
	v_pk_mul_f32 v[0:1], s[14:15], v[0:1] op_sel_hi:[0,1]
	s_waitcnt vmcnt(0)
	v_pk_fma_f32 v[0:1], s[12:13], v[4:5], v[0:1] op_sel_hi:[0,1,1]
	global_store_dwordx2 v[2:3], v[0:1], off
.LBB16_22:
	s_endpgm
.LBB16_23:
	s_branch .LBB16_21
	.section	.rodata,"a",@progbits
	.p2align	6, 0x0
	.amdhsa_kernel _ZN9rocsparseL19gebsrmvn_2xn_kernelILj128ELj5ELj8EfEEvi20rocsparse_direction_NS_24const_host_device_scalarIT2_EEPKiS6_PKS3_S8_S4_PS3_21rocsparse_index_base_b
		.amdhsa_group_segment_fixed_size 0
		.amdhsa_private_segment_fixed_size 0
		.amdhsa_kernarg_size 72
		.amdhsa_user_sgpr_count 2
		.amdhsa_user_sgpr_dispatch_ptr 0
		.amdhsa_user_sgpr_queue_ptr 0
		.amdhsa_user_sgpr_kernarg_segment_ptr 1
		.amdhsa_user_sgpr_dispatch_id 0
		.amdhsa_user_sgpr_kernarg_preload_length 0
		.amdhsa_user_sgpr_kernarg_preload_offset 0
		.amdhsa_user_sgpr_private_segment_size 0
		.amdhsa_uses_dynamic_stack 0
		.amdhsa_enable_private_segment 0
		.amdhsa_system_sgpr_workgroup_id_x 1
		.amdhsa_system_sgpr_workgroup_id_y 0
		.amdhsa_system_sgpr_workgroup_id_z 0
		.amdhsa_system_sgpr_workgroup_info 0
		.amdhsa_system_vgpr_workitem_id 0
		.amdhsa_next_free_vgpr 36
		.amdhsa_next_free_sgpr 20
		.amdhsa_accum_offset 36
		.amdhsa_reserve_vcc 1
		.amdhsa_float_round_mode_32 0
		.amdhsa_float_round_mode_16_64 0
		.amdhsa_float_denorm_mode_32 3
		.amdhsa_float_denorm_mode_16_64 3
		.amdhsa_dx10_clamp 1
		.amdhsa_ieee_mode 1
		.amdhsa_fp16_overflow 0
		.amdhsa_tg_split 0
		.amdhsa_exception_fp_ieee_invalid_op 0
		.amdhsa_exception_fp_denorm_src 0
		.amdhsa_exception_fp_ieee_div_zero 0
		.amdhsa_exception_fp_ieee_overflow 0
		.amdhsa_exception_fp_ieee_underflow 0
		.amdhsa_exception_fp_ieee_inexact 0
		.amdhsa_exception_int_div_zero 0
	.end_amdhsa_kernel
	.section	.text._ZN9rocsparseL19gebsrmvn_2xn_kernelILj128ELj5ELj8EfEEvi20rocsparse_direction_NS_24const_host_device_scalarIT2_EEPKiS6_PKS3_S8_S4_PS3_21rocsparse_index_base_b,"axG",@progbits,_ZN9rocsparseL19gebsrmvn_2xn_kernelILj128ELj5ELj8EfEEvi20rocsparse_direction_NS_24const_host_device_scalarIT2_EEPKiS6_PKS3_S8_S4_PS3_21rocsparse_index_base_b,comdat
.Lfunc_end16:
	.size	_ZN9rocsparseL19gebsrmvn_2xn_kernelILj128ELj5ELj8EfEEvi20rocsparse_direction_NS_24const_host_device_scalarIT2_EEPKiS6_PKS3_S8_S4_PS3_21rocsparse_index_base_b, .Lfunc_end16-_ZN9rocsparseL19gebsrmvn_2xn_kernelILj128ELj5ELj8EfEEvi20rocsparse_direction_NS_24const_host_device_scalarIT2_EEPKiS6_PKS3_S8_S4_PS3_21rocsparse_index_base_b
                                        ; -- End function
	.section	.AMDGPU.csdata,"",@progbits
; Kernel info:
; codeLenInByte = 1292
; NumSgprs: 26
; NumVgprs: 36
; NumAgprs: 0
; TotalNumVgprs: 36
; ScratchSize: 0
; MemoryBound: 0
; FloatMode: 240
; IeeeMode: 1
; LDSByteSize: 0 bytes/workgroup (compile time only)
; SGPRBlocks: 3
; VGPRBlocks: 4
; NumSGPRsForWavesPerEU: 26
; NumVGPRsForWavesPerEU: 36
; AccumOffset: 36
; Occupancy: 8
; WaveLimiterHint : 1
; COMPUTE_PGM_RSRC2:SCRATCH_EN: 0
; COMPUTE_PGM_RSRC2:USER_SGPR: 2
; COMPUTE_PGM_RSRC2:TRAP_HANDLER: 0
; COMPUTE_PGM_RSRC2:TGID_X_EN: 1
; COMPUTE_PGM_RSRC2:TGID_Y_EN: 0
; COMPUTE_PGM_RSRC2:TGID_Z_EN: 0
; COMPUTE_PGM_RSRC2:TIDIG_COMP_CNT: 0
; COMPUTE_PGM_RSRC3_GFX90A:ACCUM_OFFSET: 8
; COMPUTE_PGM_RSRC3_GFX90A:TG_SPLIT: 0
	.section	.text._ZN9rocsparseL19gebsrmvn_2xn_kernelILj128ELj5ELj16EfEEvi20rocsparse_direction_NS_24const_host_device_scalarIT2_EEPKiS6_PKS3_S8_S4_PS3_21rocsparse_index_base_b,"axG",@progbits,_ZN9rocsparseL19gebsrmvn_2xn_kernelILj128ELj5ELj16EfEEvi20rocsparse_direction_NS_24const_host_device_scalarIT2_EEPKiS6_PKS3_S8_S4_PS3_21rocsparse_index_base_b,comdat
	.globl	_ZN9rocsparseL19gebsrmvn_2xn_kernelILj128ELj5ELj16EfEEvi20rocsparse_direction_NS_24const_host_device_scalarIT2_EEPKiS6_PKS3_S8_S4_PS3_21rocsparse_index_base_b ; -- Begin function _ZN9rocsparseL19gebsrmvn_2xn_kernelILj128ELj5ELj16EfEEvi20rocsparse_direction_NS_24const_host_device_scalarIT2_EEPKiS6_PKS3_S8_S4_PS3_21rocsparse_index_base_b
	.p2align	8
	.type	_ZN9rocsparseL19gebsrmvn_2xn_kernelILj128ELj5ELj16EfEEvi20rocsparse_direction_NS_24const_host_device_scalarIT2_EEPKiS6_PKS3_S8_S4_PS3_21rocsparse_index_base_b,@function
_ZN9rocsparseL19gebsrmvn_2xn_kernelILj128ELj5ELj16EfEEvi20rocsparse_direction_NS_24const_host_device_scalarIT2_EEPKiS6_PKS3_S8_S4_PS3_21rocsparse_index_base_b: ; @_ZN9rocsparseL19gebsrmvn_2xn_kernelILj128ELj5ELj16EfEEvi20rocsparse_direction_NS_24const_host_device_scalarIT2_EEPKiS6_PKS3_S8_S4_PS3_21rocsparse_index_base_b
; %bb.0:
	s_load_dwordx2 s[16:17], s[0:1], 0x40
	s_load_dwordx2 s[14:15], s[0:1], 0x8
	;; [unrolled: 1-line block ×3, first 2 shown]
	s_waitcnt lgkmcnt(0)
	s_bitcmp1_b32 s17, 0
	s_cselect_b64 s[6:7], -1, 0
	s_xor_b64 s[4:5], s[6:7], -1
	s_and_b64 vcc, exec, s[6:7]
	s_cbranch_vccnz .LBB17_2
; %bb.1:
	s_load_dword s14, s[14:15], 0x0
.LBB17_2:
	s_andn2_b64 vcc, exec, s[4:5]
	s_cbranch_vccnz .LBB17_4
; %bb.3:
	s_load_dword s12, s[12:13], 0x0
.LBB17_4:
	s_waitcnt lgkmcnt(0)
	v_cmp_eq_f32_e64 s[4:5], s14, 0
	v_cmp_eq_f32_e64 s[6:7], s12, 1.0
	s_and_b64 s[4:5], s[4:5], s[6:7]
	s_and_b64 vcc, exec, s[4:5]
	s_cbranch_vccnz .LBB17_22
; %bb.5:
	s_load_dwordx2 s[18:19], s[0:1], 0x0
	v_lshrrev_b32_e32 v1, 4, v0
	v_lshl_or_b32 v2, s2, 3, v1
	s_waitcnt lgkmcnt(0)
	v_cmp_gt_i32_e32 vcc, s18, v2
	s_and_saveexec_b64 s[2:3], vcc
	s_cbranch_execz .LBB17_22
; %bb.6:
	s_load_dwordx8 s[4:11], s[0:1], 0x10
	v_ashrrev_i32_e32 v3, 31, v2
	s_cmp_lg_u32 s19, 0
	s_waitcnt lgkmcnt(0)
	v_lshl_add_u64 v[4:5], v[2:3], 2, s[4:5]
	global_load_dwordx2 v[4:5], v[4:5], off
	v_and_b32_e32 v3, 15, v0
	s_waitcnt vmcnt(0)
	v_subrev_u32_e32 v0, s16, v4
	v_subrev_u32_e32 v12, s16, v5
	v_add_u32_e32 v0, v0, v3
	v_cmp_lt_i32_e64 s[2:3], v0, v12
	s_cbranch_scc0 .LBB17_12
; %bb.7:
	v_mov_b32_e32 v5, 0
	v_mov_b32_e32 v4, v5
	s_and_saveexec_b64 s[4:5], s[2:3]
	s_cbranch_execz .LBB17_11
; %bb.8:
	v_mad_u64_u32 v[6:7], s[18:19], v0, 10, 8
	v_mov_b32_e32 v9, 0
	s_mov_b64 s[18:19], 0
	v_mov_b32_e32 v10, v0
	v_mov_b32_e32 v4, v9
	;; [unrolled: 1-line block ×3, first 2 shown]
.LBB17_9:                               ; =>This Inner Loop Header: Depth=1
	v_ashrrev_i32_e32 v11, 31, v10
	v_lshl_add_u64 v[14:15], v[10:11], 2, s[6:7]
	global_load_dword v1, v[14:15], off
	v_add_u32_e32 v8, -8, v6
	v_mov_b32_e32 v7, v9
	v_lshl_add_u64 v[16:17], v[8:9], 2, s[8:9]
	v_add_u32_e32 v8, -6, v6
	v_lshl_add_u64 v[18:19], v[6:7], 2, s[8:9]
	v_lshl_add_u64 v[20:21], v[8:9], 2, s[8:9]
	v_mov_b32_e32 v15, v9
	global_load_dwordx2 v[16:17], v[16:17], off
	s_nop 0
	global_load_dwordx2 v[22:23], v[18:19], off
	global_load_dwordx2 v[24:25], v[20:21], off
	v_add_u32_e32 v10, 16, v10
	v_cmp_ge_i32_e32 vcc, v10, v12
	s_or_b64 s[18:19], vcc, s[18:19]
	s_waitcnt vmcnt(3)
	v_subrev_u32_e32 v1, s16, v1
	v_lshl_add_u32 v14, v1, 2, v1
	v_add_u32_e32 v8, 1, v14
	v_lshl_add_u64 v[20:21], v[8:9], 2, s[10:11]
	v_add_u32_e32 v8, -4, v6
	v_lshl_add_u64 v[18:19], v[14:15], 2, s[10:11]
	v_lshl_add_u64 v[26:27], v[8:9], 2, s[8:9]
	v_add_u32_e32 v8, 2, v14
	global_load_dword v18, v[18:19], off
	v_lshl_add_u64 v[28:29], v[8:9], 2, s[10:11]
	global_load_dword v20, v[20:21], off
	v_add_u32_e32 v8, -2, v6
	v_lshl_add_u64 v[30:31], v[8:9], 2, s[8:9]
	v_add_u32_e32 v8, 3, v14
	global_load_dwordx2 v[26:27], v[26:27], off
	v_lshl_add_u64 v[32:33], v[8:9], 2, s[10:11]
	global_load_dword v28, v[28:29], off
	v_add_u32_e32 v8, 4, v14
	global_load_dwordx2 v[30:31], v[30:31], off
	v_add_u32_e32 v6, 0xa0, v6
	global_load_dword v14, v[32:33], off
	v_lshl_add_u64 v[32:33], v[8:9], 2, s[10:11]
	global_load_dword v8, v[32:33], off
	s_waitcnt vmcnt(6)
	v_pk_fma_f32 v[4:5], v[16:17], v[18:19], v[4:5] op_sel_hi:[1,0,1]
	s_waitcnt vmcnt(5)
	v_pk_fma_f32 v[4:5], v[24:25], v[20:21], v[4:5] op_sel_hi:[1,0,1]
	;; [unrolled: 2-line block ×5, first 2 shown]
	s_andn2_b64 exec, exec, s[18:19]
	s_cbranch_execnz .LBB17_9
; %bb.10:
	s_or_b64 exec, exec, s[18:19]
.LBB17_11:
	s_or_b64 exec, exec, s[4:5]
	s_cbranch_execz .LBB17_13
	s_branch .LBB17_18
.LBB17_12:
                                        ; implicit-def: $vgpr5
.LBB17_13:
	v_mov_b32_e32 v5, 0
	v_mov_b32_e32 v4, v5
	s_and_saveexec_b64 s[4:5], s[2:3]
	s_cbranch_execz .LBB17_17
; %bb.14:
	v_mad_u64_u32 v[6:7], s[2:3], v0, 10, 9
	v_mov_b32_e32 v9, 0
	s_mov_b64 s[2:3], 0
	v_mov_b32_e32 v4, v9
	v_mov_b32_e32 v5, v9
.LBB17_15:                              ; =>This Inner Loop Header: Depth=1
	v_ashrrev_i32_e32 v1, 31, v0
	v_lshl_add_u64 v[10:11], v[0:1], 2, s[6:7]
	global_load_dword v1, v[10:11], off
	v_add_u32_e32 v8, -9, v6
	v_add_u32_e32 v10, -4, v6
	v_mov_b32_e32 v11, v9
	v_mov_b32_e32 v7, v9
	v_lshl_add_u64 v[16:17], v[8:9], 2, s[8:9]
	v_lshl_add_u64 v[10:11], v[10:11], 2, s[8:9]
	;; [unrolled: 1-line block ×3, first 2 shown]
	global_load_dwordx2 v[20:21], v[16:17], off
	global_load_dword v23, v[10:11], off
	global_load_dword v25, v[18:19], off
	v_mov_b32_e32 v15, v9
	v_add_u32_e32 v0, 16, v0
	v_cmp_ge_i32_e32 vcc, v0, v12
	s_or_b64 s[2:3], vcc, s[2:3]
	s_waitcnt vmcnt(3)
	v_subrev_u32_e32 v1, s16, v1
	v_lshl_add_u32 v14, v1, 2, v1
	v_add_u32_e32 v8, 1, v14
	v_lshl_add_u64 v[16:17], v[8:9], 2, s[10:11]
	v_add_u32_e32 v8, -3, v6
	v_lshl_add_u64 v[18:19], v[8:9], 2, s[8:9]
	v_add_u32_e32 v8, -7, v6
	v_lshl_add_u64 v[10:11], v[14:15], 2, s[10:11]
	v_lshl_add_u64 v[26:27], v[8:9], 2, s[8:9]
	v_add_u32_e32 v8, 2, v14
	global_load_dword v10, v[10:11], off
	s_waitcnt vmcnt(3)
	v_mov_b32_e32 v22, v20
	global_load_dword v16, v[16:17], off
	s_nop 0
	global_load_dword v15, v[18:19], off
	global_load_dword v28, v[26:27], off
	v_lshl_add_u64 v[18:19], v[8:9], 2, s[10:11]
	v_add_u32_e32 v8, -2, v6
	v_lshl_add_u64 v[26:27], v[8:9], 2, s[8:9]
	v_add_u32_e32 v8, -6, v6
	v_lshl_add_u64 v[30:31], v[8:9], 2, s[8:9]
	v_add_u32_e32 v8, 3, v14
	global_load_dword v18, v[18:19], off
	s_nop 0
	global_load_dword v29, v[26:27], off
	global_load_dword v32, v[30:31], off
	v_lshl_add_u64 v[26:27], v[8:9], 2, s[10:11]
	v_add_u32_e32 v8, -1, v6
	v_lshl_add_u64 v[30:31], v[8:9], 2, s[8:9]
	v_add_u32_e32 v8, -5, v6
	v_lshl_add_u64 v[34:35], v[8:9], 2, s[8:9]
	v_add_u32_e32 v8, 4, v14
	global_load_dword v26, v[26:27], off
	s_nop 0
	global_load_dword v33, v[30:31], off
	global_load_dword v24, v[34:35], off
	v_lshl_add_u64 v[30:31], v[8:9], 2, s[10:11]
	global_load_dword v8, v[30:31], off
	v_mov_b32_e32 v14, v21
	v_add_u32_e32 v6, 0xa0, v6
	s_waitcnt vmcnt(10)
	v_pk_fma_f32 v[4:5], v[22:23], v[10:11], v[4:5] op_sel_hi:[1,0,1]
	s_waitcnt vmcnt(8)
	v_pk_fma_f32 v[4:5], v[14:15], v[16:17], v[4:5] op_sel_hi:[1,0,1]
	;; [unrolled: 2-line block ×5, first 2 shown]
	s_andn2_b64 exec, exec, s[2:3]
	s_cbranch_execnz .LBB17_15
; %bb.16:
	s_or_b64 exec, exec, s[2:3]
.LBB17_17:
	s_or_b64 exec, exec, s[4:5]
.LBB17_18:
	v_mov_b32_dpp v0, v4 row_shr:1 row_mask:0xf bank_mask:0xf
	v_mov_b32_dpp v1, v5 row_shr:1 row_mask:0xf bank_mask:0xf
	v_pk_add_f32 v[0:1], v[4:5], v[0:1]
	v_cmp_eq_u32_e32 vcc, 15, v3
	s_nop 0
	v_mov_b32_dpp v4, v0 row_shr:2 row_mask:0xf bank_mask:0xf
	v_mov_b32_dpp v5, v1 row_shr:2 row_mask:0xf bank_mask:0xf
	v_pk_add_f32 v[0:1], v[0:1], v[4:5]
	s_nop 1
	v_mov_b32_dpp v4, v0 row_shr:4 row_mask:0xf bank_mask:0xe
	v_mov_b32_dpp v5, v1 row_shr:4 row_mask:0xf bank_mask:0xe
	v_pk_add_f32 v[0:1], v[0:1], v[4:5]
	s_nop 1
	v_mov_b32_dpp v4, v0 row_shr:8 row_mask:0xf bank_mask:0xc
	v_mov_b32_dpp v5, v1 row_shr:8 row_mask:0xf bank_mask:0xc
	s_and_b64 exec, exec, vcc
	s_cbranch_execz .LBB17_22
; %bb.19:
	s_load_dwordx2 s[0:1], s[0:1], 0x38
	v_cmp_eq_f32_e64 s[2:3], s12, 0
	v_pk_add_f32 v[0:1], v[0:1], v[4:5]
	s_and_b64 vcc, exec, s[2:3]
	v_lshlrev_b32_e32 v2, 1, v2
	s_cbranch_vccz .LBB17_23
; %bb.20:
	v_ashrrev_i32_e32 v3, 31, v2
	s_waitcnt lgkmcnt(0)
	v_lshl_add_u64 v[4:5], v[2:3], 2, s[0:1]
	v_pk_mul_f32 v[6:7], s[14:15], v[0:1] op_sel_hi:[0,1]
	global_store_dwordx2 v[4:5], v[6:7], off
	s_cbranch_execnz .LBB17_22
.LBB17_21:
	v_ashrrev_i32_e32 v3, 31, v2
	s_waitcnt lgkmcnt(0)
	v_lshl_add_u64 v[2:3], v[2:3], 2, s[0:1]
	global_load_dwordx2 v[4:5], v[2:3], off
	v_pk_mul_f32 v[0:1], s[14:15], v[0:1] op_sel_hi:[0,1]
	s_waitcnt vmcnt(0)
	v_pk_fma_f32 v[0:1], s[12:13], v[4:5], v[0:1] op_sel_hi:[0,1,1]
	global_store_dwordx2 v[2:3], v[0:1], off
.LBB17_22:
	s_endpgm
.LBB17_23:
	s_branch .LBB17_21
	.section	.rodata,"a",@progbits
	.p2align	6, 0x0
	.amdhsa_kernel _ZN9rocsparseL19gebsrmvn_2xn_kernelILj128ELj5ELj16EfEEvi20rocsparse_direction_NS_24const_host_device_scalarIT2_EEPKiS6_PKS3_S8_S4_PS3_21rocsparse_index_base_b
		.amdhsa_group_segment_fixed_size 0
		.amdhsa_private_segment_fixed_size 0
		.amdhsa_kernarg_size 72
		.amdhsa_user_sgpr_count 2
		.amdhsa_user_sgpr_dispatch_ptr 0
		.amdhsa_user_sgpr_queue_ptr 0
		.amdhsa_user_sgpr_kernarg_segment_ptr 1
		.amdhsa_user_sgpr_dispatch_id 0
		.amdhsa_user_sgpr_kernarg_preload_length 0
		.amdhsa_user_sgpr_kernarg_preload_offset 0
		.amdhsa_user_sgpr_private_segment_size 0
		.amdhsa_uses_dynamic_stack 0
		.amdhsa_enable_private_segment 0
		.amdhsa_system_sgpr_workgroup_id_x 1
		.amdhsa_system_sgpr_workgroup_id_y 0
		.amdhsa_system_sgpr_workgroup_id_z 0
		.amdhsa_system_sgpr_workgroup_info 0
		.amdhsa_system_vgpr_workitem_id 0
		.amdhsa_next_free_vgpr 36
		.amdhsa_next_free_sgpr 20
		.amdhsa_accum_offset 36
		.amdhsa_reserve_vcc 1
		.amdhsa_float_round_mode_32 0
		.amdhsa_float_round_mode_16_64 0
		.amdhsa_float_denorm_mode_32 3
		.amdhsa_float_denorm_mode_16_64 3
		.amdhsa_dx10_clamp 1
		.amdhsa_ieee_mode 1
		.amdhsa_fp16_overflow 0
		.amdhsa_tg_split 0
		.amdhsa_exception_fp_ieee_invalid_op 0
		.amdhsa_exception_fp_denorm_src 0
		.amdhsa_exception_fp_ieee_div_zero 0
		.amdhsa_exception_fp_ieee_overflow 0
		.amdhsa_exception_fp_ieee_underflow 0
		.amdhsa_exception_fp_ieee_inexact 0
		.amdhsa_exception_int_div_zero 0
	.end_amdhsa_kernel
	.section	.text._ZN9rocsparseL19gebsrmvn_2xn_kernelILj128ELj5ELj16EfEEvi20rocsparse_direction_NS_24const_host_device_scalarIT2_EEPKiS6_PKS3_S8_S4_PS3_21rocsparse_index_base_b,"axG",@progbits,_ZN9rocsparseL19gebsrmvn_2xn_kernelILj128ELj5ELj16EfEEvi20rocsparse_direction_NS_24const_host_device_scalarIT2_EEPKiS6_PKS3_S8_S4_PS3_21rocsparse_index_base_b,comdat
.Lfunc_end17:
	.size	_ZN9rocsparseL19gebsrmvn_2xn_kernelILj128ELj5ELj16EfEEvi20rocsparse_direction_NS_24const_host_device_scalarIT2_EEPKiS6_PKS3_S8_S4_PS3_21rocsparse_index_base_b, .Lfunc_end17-_ZN9rocsparseL19gebsrmvn_2xn_kernelILj128ELj5ELj16EfEEvi20rocsparse_direction_NS_24const_host_device_scalarIT2_EEPKiS6_PKS3_S8_S4_PS3_21rocsparse_index_base_b
                                        ; -- End function
	.section	.AMDGPU.csdata,"",@progbits
; Kernel info:
; codeLenInByte = 1320
; NumSgprs: 26
; NumVgprs: 36
; NumAgprs: 0
; TotalNumVgprs: 36
; ScratchSize: 0
; MemoryBound: 0
; FloatMode: 240
; IeeeMode: 1
; LDSByteSize: 0 bytes/workgroup (compile time only)
; SGPRBlocks: 3
; VGPRBlocks: 4
; NumSGPRsForWavesPerEU: 26
; NumVGPRsForWavesPerEU: 36
; AccumOffset: 36
; Occupancy: 8
; WaveLimiterHint : 1
; COMPUTE_PGM_RSRC2:SCRATCH_EN: 0
; COMPUTE_PGM_RSRC2:USER_SGPR: 2
; COMPUTE_PGM_RSRC2:TRAP_HANDLER: 0
; COMPUTE_PGM_RSRC2:TGID_X_EN: 1
; COMPUTE_PGM_RSRC2:TGID_Y_EN: 0
; COMPUTE_PGM_RSRC2:TGID_Z_EN: 0
; COMPUTE_PGM_RSRC2:TIDIG_COMP_CNT: 0
; COMPUTE_PGM_RSRC3_GFX90A:ACCUM_OFFSET: 8
; COMPUTE_PGM_RSRC3_GFX90A:TG_SPLIT: 0
	.section	.text._ZN9rocsparseL19gebsrmvn_2xn_kernelILj128ELj5ELj32EfEEvi20rocsparse_direction_NS_24const_host_device_scalarIT2_EEPKiS6_PKS3_S8_S4_PS3_21rocsparse_index_base_b,"axG",@progbits,_ZN9rocsparseL19gebsrmvn_2xn_kernelILj128ELj5ELj32EfEEvi20rocsparse_direction_NS_24const_host_device_scalarIT2_EEPKiS6_PKS3_S8_S4_PS3_21rocsparse_index_base_b,comdat
	.globl	_ZN9rocsparseL19gebsrmvn_2xn_kernelILj128ELj5ELj32EfEEvi20rocsparse_direction_NS_24const_host_device_scalarIT2_EEPKiS6_PKS3_S8_S4_PS3_21rocsparse_index_base_b ; -- Begin function _ZN9rocsparseL19gebsrmvn_2xn_kernelILj128ELj5ELj32EfEEvi20rocsparse_direction_NS_24const_host_device_scalarIT2_EEPKiS6_PKS3_S8_S4_PS3_21rocsparse_index_base_b
	.p2align	8
	.type	_ZN9rocsparseL19gebsrmvn_2xn_kernelILj128ELj5ELj32EfEEvi20rocsparse_direction_NS_24const_host_device_scalarIT2_EEPKiS6_PKS3_S8_S4_PS3_21rocsparse_index_base_b,@function
_ZN9rocsparseL19gebsrmvn_2xn_kernelILj128ELj5ELj32EfEEvi20rocsparse_direction_NS_24const_host_device_scalarIT2_EEPKiS6_PKS3_S8_S4_PS3_21rocsparse_index_base_b: ; @_ZN9rocsparseL19gebsrmvn_2xn_kernelILj128ELj5ELj32EfEEvi20rocsparse_direction_NS_24const_host_device_scalarIT2_EEPKiS6_PKS3_S8_S4_PS3_21rocsparse_index_base_b
; %bb.0:
	s_load_dwordx2 s[16:17], s[0:1], 0x40
	s_load_dwordx2 s[14:15], s[0:1], 0x8
	;; [unrolled: 1-line block ×3, first 2 shown]
	s_waitcnt lgkmcnt(0)
	s_bitcmp1_b32 s17, 0
	s_cselect_b64 s[6:7], -1, 0
	s_xor_b64 s[4:5], s[6:7], -1
	s_and_b64 vcc, exec, s[6:7]
	s_cbranch_vccnz .LBB18_2
; %bb.1:
	s_load_dword s14, s[14:15], 0x0
.LBB18_2:
	s_andn2_b64 vcc, exec, s[4:5]
	s_cbranch_vccnz .LBB18_4
; %bb.3:
	s_load_dword s12, s[12:13], 0x0
.LBB18_4:
	s_waitcnt lgkmcnt(0)
	v_cmp_eq_f32_e64 s[4:5], s14, 0
	v_cmp_eq_f32_e64 s[6:7], s12, 1.0
	s_and_b64 s[4:5], s[4:5], s[6:7]
	s_and_b64 vcc, exec, s[4:5]
	s_cbranch_vccnz .LBB18_22
; %bb.5:
	s_load_dwordx2 s[18:19], s[0:1], 0x0
	v_lshrrev_b32_e32 v1, 5, v0
	v_lshl_or_b32 v2, s2, 2, v1
	s_waitcnt lgkmcnt(0)
	v_cmp_gt_i32_e32 vcc, s18, v2
	s_and_saveexec_b64 s[2:3], vcc
	s_cbranch_execz .LBB18_22
; %bb.6:
	s_load_dwordx8 s[4:11], s[0:1], 0x10
	v_ashrrev_i32_e32 v3, 31, v2
	s_cmp_lg_u32 s19, 0
	s_waitcnt lgkmcnt(0)
	v_lshl_add_u64 v[4:5], v[2:3], 2, s[4:5]
	global_load_dwordx2 v[4:5], v[4:5], off
	v_and_b32_e32 v3, 31, v0
	s_waitcnt vmcnt(0)
	v_subrev_u32_e32 v0, s16, v4
	v_subrev_u32_e32 v12, s16, v5
	v_add_u32_e32 v0, v0, v3
	v_cmp_lt_i32_e64 s[2:3], v0, v12
	s_cbranch_scc0 .LBB18_12
; %bb.7:
	v_mov_b32_e32 v5, 0
	v_mov_b32_e32 v4, v5
	s_and_saveexec_b64 s[4:5], s[2:3]
	s_cbranch_execz .LBB18_11
; %bb.8:
	v_mad_u64_u32 v[6:7], s[18:19], v0, 10, 8
	v_mov_b32_e32 v9, 0
	s_mov_b64 s[18:19], 0
	v_mov_b32_e32 v10, v0
	v_mov_b32_e32 v4, v9
	;; [unrolled: 1-line block ×3, first 2 shown]
.LBB18_9:                               ; =>This Inner Loop Header: Depth=1
	v_ashrrev_i32_e32 v11, 31, v10
	v_lshl_add_u64 v[14:15], v[10:11], 2, s[6:7]
	global_load_dword v1, v[14:15], off
	v_add_u32_e32 v8, -8, v6
	v_mov_b32_e32 v7, v9
	v_lshl_add_u64 v[16:17], v[8:9], 2, s[8:9]
	v_add_u32_e32 v8, -6, v6
	v_lshl_add_u64 v[18:19], v[6:7], 2, s[8:9]
	v_lshl_add_u64 v[20:21], v[8:9], 2, s[8:9]
	v_mov_b32_e32 v15, v9
	global_load_dwordx2 v[16:17], v[16:17], off
	s_nop 0
	global_load_dwordx2 v[22:23], v[18:19], off
	global_load_dwordx2 v[24:25], v[20:21], off
	v_add_u32_e32 v10, 32, v10
	v_cmp_ge_i32_e32 vcc, v10, v12
	s_or_b64 s[18:19], vcc, s[18:19]
	s_waitcnt vmcnt(3)
	v_subrev_u32_e32 v1, s16, v1
	v_lshl_add_u32 v14, v1, 2, v1
	v_add_u32_e32 v8, 1, v14
	v_lshl_add_u64 v[20:21], v[8:9], 2, s[10:11]
	v_add_u32_e32 v8, -4, v6
	v_lshl_add_u64 v[18:19], v[14:15], 2, s[10:11]
	v_lshl_add_u64 v[26:27], v[8:9], 2, s[8:9]
	v_add_u32_e32 v8, 2, v14
	global_load_dword v18, v[18:19], off
	v_lshl_add_u64 v[28:29], v[8:9], 2, s[10:11]
	global_load_dword v20, v[20:21], off
	v_add_u32_e32 v8, -2, v6
	v_lshl_add_u64 v[30:31], v[8:9], 2, s[8:9]
	v_add_u32_e32 v8, 3, v14
	global_load_dwordx2 v[26:27], v[26:27], off
	v_lshl_add_u64 v[32:33], v[8:9], 2, s[10:11]
	global_load_dword v28, v[28:29], off
	v_add_u32_e32 v8, 4, v14
	global_load_dwordx2 v[30:31], v[30:31], off
	v_add_u32_e32 v6, 0x140, v6
	global_load_dword v14, v[32:33], off
	v_lshl_add_u64 v[32:33], v[8:9], 2, s[10:11]
	global_load_dword v8, v[32:33], off
	s_waitcnt vmcnt(6)
	v_pk_fma_f32 v[4:5], v[16:17], v[18:19], v[4:5] op_sel_hi:[1,0,1]
	s_waitcnt vmcnt(5)
	v_pk_fma_f32 v[4:5], v[24:25], v[20:21], v[4:5] op_sel_hi:[1,0,1]
	;; [unrolled: 2-line block ×5, first 2 shown]
	s_andn2_b64 exec, exec, s[18:19]
	s_cbranch_execnz .LBB18_9
; %bb.10:
	s_or_b64 exec, exec, s[18:19]
.LBB18_11:
	s_or_b64 exec, exec, s[4:5]
	s_cbranch_execz .LBB18_13
	s_branch .LBB18_18
.LBB18_12:
                                        ; implicit-def: $vgpr5
.LBB18_13:
	v_mov_b32_e32 v5, 0
	v_mov_b32_e32 v4, v5
	s_and_saveexec_b64 s[4:5], s[2:3]
	s_cbranch_execz .LBB18_17
; %bb.14:
	v_mad_u64_u32 v[6:7], s[2:3], v0, 10, 9
	v_mov_b32_e32 v9, 0
	s_mov_b64 s[2:3], 0
	v_mov_b32_e32 v4, v9
	v_mov_b32_e32 v5, v9
.LBB18_15:                              ; =>This Inner Loop Header: Depth=1
	v_ashrrev_i32_e32 v1, 31, v0
	v_lshl_add_u64 v[10:11], v[0:1], 2, s[6:7]
	global_load_dword v1, v[10:11], off
	v_add_u32_e32 v8, -9, v6
	v_add_u32_e32 v10, -4, v6
	v_mov_b32_e32 v11, v9
	v_mov_b32_e32 v7, v9
	v_lshl_add_u64 v[16:17], v[8:9], 2, s[8:9]
	v_lshl_add_u64 v[10:11], v[10:11], 2, s[8:9]
	;; [unrolled: 1-line block ×3, first 2 shown]
	global_load_dwordx2 v[20:21], v[16:17], off
	global_load_dword v23, v[10:11], off
	global_load_dword v25, v[18:19], off
	v_mov_b32_e32 v15, v9
	v_add_u32_e32 v0, 32, v0
	v_cmp_ge_i32_e32 vcc, v0, v12
	s_or_b64 s[2:3], vcc, s[2:3]
	s_waitcnt vmcnt(3)
	v_subrev_u32_e32 v1, s16, v1
	v_lshl_add_u32 v14, v1, 2, v1
	v_add_u32_e32 v8, 1, v14
	v_lshl_add_u64 v[16:17], v[8:9], 2, s[10:11]
	v_add_u32_e32 v8, -3, v6
	v_lshl_add_u64 v[18:19], v[8:9], 2, s[8:9]
	v_add_u32_e32 v8, -7, v6
	v_lshl_add_u64 v[10:11], v[14:15], 2, s[10:11]
	v_lshl_add_u64 v[26:27], v[8:9], 2, s[8:9]
	v_add_u32_e32 v8, 2, v14
	global_load_dword v10, v[10:11], off
	s_waitcnt vmcnt(3)
	v_mov_b32_e32 v22, v20
	global_load_dword v16, v[16:17], off
	s_nop 0
	global_load_dword v15, v[18:19], off
	global_load_dword v28, v[26:27], off
	v_lshl_add_u64 v[18:19], v[8:9], 2, s[10:11]
	v_add_u32_e32 v8, -2, v6
	v_lshl_add_u64 v[26:27], v[8:9], 2, s[8:9]
	v_add_u32_e32 v8, -6, v6
	v_lshl_add_u64 v[30:31], v[8:9], 2, s[8:9]
	v_add_u32_e32 v8, 3, v14
	global_load_dword v18, v[18:19], off
	s_nop 0
	global_load_dword v29, v[26:27], off
	global_load_dword v32, v[30:31], off
	v_lshl_add_u64 v[26:27], v[8:9], 2, s[10:11]
	v_add_u32_e32 v8, -1, v6
	v_lshl_add_u64 v[30:31], v[8:9], 2, s[8:9]
	v_add_u32_e32 v8, -5, v6
	v_lshl_add_u64 v[34:35], v[8:9], 2, s[8:9]
	v_add_u32_e32 v8, 4, v14
	global_load_dword v26, v[26:27], off
	s_nop 0
	global_load_dword v33, v[30:31], off
	global_load_dword v24, v[34:35], off
	v_lshl_add_u64 v[30:31], v[8:9], 2, s[10:11]
	global_load_dword v8, v[30:31], off
	v_mov_b32_e32 v14, v21
	v_add_u32_e32 v6, 0x140, v6
	s_waitcnt vmcnt(10)
	v_pk_fma_f32 v[4:5], v[22:23], v[10:11], v[4:5] op_sel_hi:[1,0,1]
	s_waitcnt vmcnt(8)
	v_pk_fma_f32 v[4:5], v[14:15], v[16:17], v[4:5] op_sel_hi:[1,0,1]
	;; [unrolled: 2-line block ×5, first 2 shown]
	s_andn2_b64 exec, exec, s[2:3]
	s_cbranch_execnz .LBB18_15
; %bb.16:
	s_or_b64 exec, exec, s[2:3]
.LBB18_17:
	s_or_b64 exec, exec, s[4:5]
.LBB18_18:
	v_mov_b32_dpp v0, v4 row_shr:1 row_mask:0xf bank_mask:0xf
	v_mov_b32_dpp v1, v5 row_shr:1 row_mask:0xf bank_mask:0xf
	v_pk_add_f32 v[0:1], v[4:5], v[0:1]
	v_cmp_eq_u32_e32 vcc, 31, v3
	s_nop 0
	v_mov_b32_dpp v4, v0 row_shr:2 row_mask:0xf bank_mask:0xf
	v_mov_b32_dpp v5, v1 row_shr:2 row_mask:0xf bank_mask:0xf
	v_pk_add_f32 v[0:1], v[0:1], v[4:5]
	s_nop 1
	v_mov_b32_dpp v4, v0 row_shr:4 row_mask:0xf bank_mask:0xe
	v_mov_b32_dpp v5, v1 row_shr:4 row_mask:0xf bank_mask:0xe
	v_pk_add_f32 v[0:1], v[0:1], v[4:5]
	;; [unrolled: 4-line block ×3, first 2 shown]
	s_nop 1
	v_mov_b32_dpp v4, v0 row_bcast:15 row_mask:0xa bank_mask:0xf
	v_mov_b32_dpp v5, v1 row_bcast:15 row_mask:0xa bank_mask:0xf
	s_and_b64 exec, exec, vcc
	s_cbranch_execz .LBB18_22
; %bb.19:
	s_load_dwordx2 s[0:1], s[0:1], 0x38
	v_cmp_eq_f32_e64 s[2:3], s12, 0
	v_pk_add_f32 v[0:1], v[0:1], v[4:5]
	s_and_b64 vcc, exec, s[2:3]
	v_lshlrev_b32_e32 v2, 1, v2
	s_cbranch_vccz .LBB18_23
; %bb.20:
	v_ashrrev_i32_e32 v3, 31, v2
	s_waitcnt lgkmcnt(0)
	v_lshl_add_u64 v[4:5], v[2:3], 2, s[0:1]
	v_pk_mul_f32 v[6:7], s[14:15], v[0:1] op_sel_hi:[0,1]
	global_store_dwordx2 v[4:5], v[6:7], off
	s_cbranch_execnz .LBB18_22
.LBB18_21:
	v_ashrrev_i32_e32 v3, 31, v2
	s_waitcnt lgkmcnt(0)
	v_lshl_add_u64 v[2:3], v[2:3], 2, s[0:1]
	global_load_dwordx2 v[4:5], v[2:3], off
	v_pk_mul_f32 v[0:1], s[14:15], v[0:1] op_sel_hi:[0,1]
	s_waitcnt vmcnt(0)
	v_pk_fma_f32 v[0:1], s[12:13], v[4:5], v[0:1] op_sel_hi:[0,1,1]
	global_store_dwordx2 v[2:3], v[0:1], off
.LBB18_22:
	s_endpgm
.LBB18_23:
	s_branch .LBB18_21
	.section	.rodata,"a",@progbits
	.p2align	6, 0x0
	.amdhsa_kernel _ZN9rocsparseL19gebsrmvn_2xn_kernelILj128ELj5ELj32EfEEvi20rocsparse_direction_NS_24const_host_device_scalarIT2_EEPKiS6_PKS3_S8_S4_PS3_21rocsparse_index_base_b
		.amdhsa_group_segment_fixed_size 0
		.amdhsa_private_segment_fixed_size 0
		.amdhsa_kernarg_size 72
		.amdhsa_user_sgpr_count 2
		.amdhsa_user_sgpr_dispatch_ptr 0
		.amdhsa_user_sgpr_queue_ptr 0
		.amdhsa_user_sgpr_kernarg_segment_ptr 1
		.amdhsa_user_sgpr_dispatch_id 0
		.amdhsa_user_sgpr_kernarg_preload_length 0
		.amdhsa_user_sgpr_kernarg_preload_offset 0
		.amdhsa_user_sgpr_private_segment_size 0
		.amdhsa_uses_dynamic_stack 0
		.amdhsa_enable_private_segment 0
		.amdhsa_system_sgpr_workgroup_id_x 1
		.amdhsa_system_sgpr_workgroup_id_y 0
		.amdhsa_system_sgpr_workgroup_id_z 0
		.amdhsa_system_sgpr_workgroup_info 0
		.amdhsa_system_vgpr_workitem_id 0
		.amdhsa_next_free_vgpr 36
		.amdhsa_next_free_sgpr 20
		.amdhsa_accum_offset 36
		.amdhsa_reserve_vcc 1
		.amdhsa_float_round_mode_32 0
		.amdhsa_float_round_mode_16_64 0
		.amdhsa_float_denorm_mode_32 3
		.amdhsa_float_denorm_mode_16_64 3
		.amdhsa_dx10_clamp 1
		.amdhsa_ieee_mode 1
		.amdhsa_fp16_overflow 0
		.amdhsa_tg_split 0
		.amdhsa_exception_fp_ieee_invalid_op 0
		.amdhsa_exception_fp_denorm_src 0
		.amdhsa_exception_fp_ieee_div_zero 0
		.amdhsa_exception_fp_ieee_overflow 0
		.amdhsa_exception_fp_ieee_underflow 0
		.amdhsa_exception_fp_ieee_inexact 0
		.amdhsa_exception_int_div_zero 0
	.end_amdhsa_kernel
	.section	.text._ZN9rocsparseL19gebsrmvn_2xn_kernelILj128ELj5ELj32EfEEvi20rocsparse_direction_NS_24const_host_device_scalarIT2_EEPKiS6_PKS3_S8_S4_PS3_21rocsparse_index_base_b,"axG",@progbits,_ZN9rocsparseL19gebsrmvn_2xn_kernelILj128ELj5ELj32EfEEvi20rocsparse_direction_NS_24const_host_device_scalarIT2_EEPKiS6_PKS3_S8_S4_PS3_21rocsparse_index_base_b,comdat
.Lfunc_end18:
	.size	_ZN9rocsparseL19gebsrmvn_2xn_kernelILj128ELj5ELj32EfEEvi20rocsparse_direction_NS_24const_host_device_scalarIT2_EEPKiS6_PKS3_S8_S4_PS3_21rocsparse_index_base_b, .Lfunc_end18-_ZN9rocsparseL19gebsrmvn_2xn_kernelILj128ELj5ELj32EfEEvi20rocsparse_direction_NS_24const_host_device_scalarIT2_EEPKiS6_PKS3_S8_S4_PS3_21rocsparse_index_base_b
                                        ; -- End function
	.section	.AMDGPU.csdata,"",@progbits
; Kernel info:
; codeLenInByte = 1348
; NumSgprs: 26
; NumVgprs: 36
; NumAgprs: 0
; TotalNumVgprs: 36
; ScratchSize: 0
; MemoryBound: 0
; FloatMode: 240
; IeeeMode: 1
; LDSByteSize: 0 bytes/workgroup (compile time only)
; SGPRBlocks: 3
; VGPRBlocks: 4
; NumSGPRsForWavesPerEU: 26
; NumVGPRsForWavesPerEU: 36
; AccumOffset: 36
; Occupancy: 8
; WaveLimiterHint : 1
; COMPUTE_PGM_RSRC2:SCRATCH_EN: 0
; COMPUTE_PGM_RSRC2:USER_SGPR: 2
; COMPUTE_PGM_RSRC2:TRAP_HANDLER: 0
; COMPUTE_PGM_RSRC2:TGID_X_EN: 1
; COMPUTE_PGM_RSRC2:TGID_Y_EN: 0
; COMPUTE_PGM_RSRC2:TGID_Z_EN: 0
; COMPUTE_PGM_RSRC2:TIDIG_COMP_CNT: 0
; COMPUTE_PGM_RSRC3_GFX90A:ACCUM_OFFSET: 8
; COMPUTE_PGM_RSRC3_GFX90A:TG_SPLIT: 0
	.section	.text._ZN9rocsparseL19gebsrmvn_2xn_kernelILj128ELj5ELj64EfEEvi20rocsparse_direction_NS_24const_host_device_scalarIT2_EEPKiS6_PKS3_S8_S4_PS3_21rocsparse_index_base_b,"axG",@progbits,_ZN9rocsparseL19gebsrmvn_2xn_kernelILj128ELj5ELj64EfEEvi20rocsparse_direction_NS_24const_host_device_scalarIT2_EEPKiS6_PKS3_S8_S4_PS3_21rocsparse_index_base_b,comdat
	.globl	_ZN9rocsparseL19gebsrmvn_2xn_kernelILj128ELj5ELj64EfEEvi20rocsparse_direction_NS_24const_host_device_scalarIT2_EEPKiS6_PKS3_S8_S4_PS3_21rocsparse_index_base_b ; -- Begin function _ZN9rocsparseL19gebsrmvn_2xn_kernelILj128ELj5ELj64EfEEvi20rocsparse_direction_NS_24const_host_device_scalarIT2_EEPKiS6_PKS3_S8_S4_PS3_21rocsparse_index_base_b
	.p2align	8
	.type	_ZN9rocsparseL19gebsrmvn_2xn_kernelILj128ELj5ELj64EfEEvi20rocsparse_direction_NS_24const_host_device_scalarIT2_EEPKiS6_PKS3_S8_S4_PS3_21rocsparse_index_base_b,@function
_ZN9rocsparseL19gebsrmvn_2xn_kernelILj128ELj5ELj64EfEEvi20rocsparse_direction_NS_24const_host_device_scalarIT2_EEPKiS6_PKS3_S8_S4_PS3_21rocsparse_index_base_b: ; @_ZN9rocsparseL19gebsrmvn_2xn_kernelILj128ELj5ELj64EfEEvi20rocsparse_direction_NS_24const_host_device_scalarIT2_EEPKiS6_PKS3_S8_S4_PS3_21rocsparse_index_base_b
; %bb.0:
	s_load_dwordx2 s[16:17], s[0:1], 0x40
	s_load_dwordx2 s[14:15], s[0:1], 0x8
	;; [unrolled: 1-line block ×3, first 2 shown]
	s_waitcnt lgkmcnt(0)
	s_bitcmp1_b32 s17, 0
	s_cselect_b64 s[6:7], -1, 0
	s_xor_b64 s[4:5], s[6:7], -1
	s_and_b64 vcc, exec, s[6:7]
	s_cbranch_vccnz .LBB19_2
; %bb.1:
	s_load_dword s14, s[14:15], 0x0
.LBB19_2:
	s_andn2_b64 vcc, exec, s[4:5]
	s_cbranch_vccnz .LBB19_4
; %bb.3:
	s_load_dword s12, s[12:13], 0x0
.LBB19_4:
	s_waitcnt lgkmcnt(0)
	v_cmp_eq_f32_e64 s[4:5], s14, 0
	v_cmp_eq_f32_e64 s[6:7], s12, 1.0
	s_and_b64 s[4:5], s[4:5], s[6:7]
	s_and_b64 vcc, exec, s[4:5]
	s_cbranch_vccnz .LBB19_22
; %bb.5:
	s_load_dwordx2 s[18:19], s[0:1], 0x0
	v_lshrrev_b32_e32 v1, 6, v0
	v_lshl_or_b32 v2, s2, 1, v1
	s_waitcnt lgkmcnt(0)
	v_cmp_gt_i32_e32 vcc, s18, v2
	s_and_saveexec_b64 s[2:3], vcc
	s_cbranch_execz .LBB19_22
; %bb.6:
	s_load_dwordx8 s[4:11], s[0:1], 0x10
	v_ashrrev_i32_e32 v3, 31, v2
	s_cmp_lg_u32 s19, 0
	s_waitcnt lgkmcnt(0)
	v_lshl_add_u64 v[4:5], v[2:3], 2, s[4:5]
	global_load_dwordx2 v[4:5], v[4:5], off
	v_and_b32_e32 v3, 63, v0
	s_waitcnt vmcnt(0)
	v_subrev_u32_e32 v0, s16, v4
	v_subrev_u32_e32 v12, s16, v5
	v_add_u32_e32 v0, v0, v3
	v_cmp_lt_i32_e64 s[2:3], v0, v12
	s_cbranch_scc0 .LBB19_12
; %bb.7:
	v_mov_b32_e32 v5, 0
	v_mov_b32_e32 v4, v5
	s_and_saveexec_b64 s[4:5], s[2:3]
	s_cbranch_execz .LBB19_11
; %bb.8:
	v_mad_u64_u32 v[6:7], s[18:19], v0, 10, 8
	v_mov_b32_e32 v9, 0
	s_mov_b64 s[18:19], 0
	v_mov_b32_e32 v10, v0
	v_mov_b32_e32 v4, v9
	;; [unrolled: 1-line block ×3, first 2 shown]
.LBB19_9:                               ; =>This Inner Loop Header: Depth=1
	v_ashrrev_i32_e32 v11, 31, v10
	v_lshl_add_u64 v[14:15], v[10:11], 2, s[6:7]
	global_load_dword v1, v[14:15], off
	v_add_u32_e32 v8, -8, v6
	v_mov_b32_e32 v7, v9
	v_lshl_add_u64 v[16:17], v[8:9], 2, s[8:9]
	v_add_u32_e32 v8, -6, v6
	v_lshl_add_u64 v[18:19], v[6:7], 2, s[8:9]
	v_lshl_add_u64 v[20:21], v[8:9], 2, s[8:9]
	v_mov_b32_e32 v15, v9
	global_load_dwordx2 v[16:17], v[16:17], off
	s_nop 0
	global_load_dwordx2 v[22:23], v[18:19], off
	global_load_dwordx2 v[24:25], v[20:21], off
	v_add_u32_e32 v10, 64, v10
	v_cmp_ge_i32_e32 vcc, v10, v12
	s_or_b64 s[18:19], vcc, s[18:19]
	s_waitcnt vmcnt(3)
	v_subrev_u32_e32 v1, s16, v1
	v_lshl_add_u32 v14, v1, 2, v1
	v_add_u32_e32 v8, 1, v14
	v_lshl_add_u64 v[20:21], v[8:9], 2, s[10:11]
	v_add_u32_e32 v8, -4, v6
	v_lshl_add_u64 v[18:19], v[14:15], 2, s[10:11]
	v_lshl_add_u64 v[26:27], v[8:9], 2, s[8:9]
	v_add_u32_e32 v8, 2, v14
	global_load_dword v18, v[18:19], off
	v_lshl_add_u64 v[28:29], v[8:9], 2, s[10:11]
	global_load_dword v20, v[20:21], off
	v_add_u32_e32 v8, -2, v6
	v_lshl_add_u64 v[30:31], v[8:9], 2, s[8:9]
	v_add_u32_e32 v8, 3, v14
	global_load_dwordx2 v[26:27], v[26:27], off
	v_lshl_add_u64 v[32:33], v[8:9], 2, s[10:11]
	global_load_dword v28, v[28:29], off
	v_add_u32_e32 v8, 4, v14
	global_load_dwordx2 v[30:31], v[30:31], off
	v_add_u32_e32 v6, 0x280, v6
	global_load_dword v14, v[32:33], off
	v_lshl_add_u64 v[32:33], v[8:9], 2, s[10:11]
	global_load_dword v8, v[32:33], off
	s_waitcnt vmcnt(6)
	v_pk_fma_f32 v[4:5], v[16:17], v[18:19], v[4:5] op_sel_hi:[1,0,1]
	s_waitcnt vmcnt(5)
	v_pk_fma_f32 v[4:5], v[24:25], v[20:21], v[4:5] op_sel_hi:[1,0,1]
	;; [unrolled: 2-line block ×5, first 2 shown]
	s_andn2_b64 exec, exec, s[18:19]
	s_cbranch_execnz .LBB19_9
; %bb.10:
	s_or_b64 exec, exec, s[18:19]
.LBB19_11:
	s_or_b64 exec, exec, s[4:5]
	s_cbranch_execz .LBB19_13
	s_branch .LBB19_18
.LBB19_12:
                                        ; implicit-def: $vgpr5
.LBB19_13:
	v_mov_b32_e32 v5, 0
	v_mov_b32_e32 v4, v5
	s_and_saveexec_b64 s[4:5], s[2:3]
	s_cbranch_execz .LBB19_17
; %bb.14:
	v_mad_u64_u32 v[6:7], s[2:3], v0, 10, 9
	v_mov_b32_e32 v9, 0
	s_mov_b64 s[2:3], 0
	v_mov_b32_e32 v4, v9
	v_mov_b32_e32 v5, v9
.LBB19_15:                              ; =>This Inner Loop Header: Depth=1
	v_ashrrev_i32_e32 v1, 31, v0
	v_lshl_add_u64 v[10:11], v[0:1], 2, s[6:7]
	global_load_dword v1, v[10:11], off
	v_add_u32_e32 v8, -9, v6
	v_add_u32_e32 v10, -4, v6
	v_mov_b32_e32 v11, v9
	v_mov_b32_e32 v7, v9
	v_lshl_add_u64 v[16:17], v[8:9], 2, s[8:9]
	v_lshl_add_u64 v[10:11], v[10:11], 2, s[8:9]
	;; [unrolled: 1-line block ×3, first 2 shown]
	global_load_dwordx2 v[20:21], v[16:17], off
	global_load_dword v23, v[10:11], off
	global_load_dword v25, v[18:19], off
	v_mov_b32_e32 v15, v9
	v_add_u32_e32 v0, 64, v0
	v_cmp_ge_i32_e32 vcc, v0, v12
	s_or_b64 s[2:3], vcc, s[2:3]
	s_waitcnt vmcnt(3)
	v_subrev_u32_e32 v1, s16, v1
	v_lshl_add_u32 v14, v1, 2, v1
	v_add_u32_e32 v8, 1, v14
	v_lshl_add_u64 v[16:17], v[8:9], 2, s[10:11]
	v_add_u32_e32 v8, -3, v6
	v_lshl_add_u64 v[18:19], v[8:9], 2, s[8:9]
	v_add_u32_e32 v8, -7, v6
	v_lshl_add_u64 v[10:11], v[14:15], 2, s[10:11]
	v_lshl_add_u64 v[26:27], v[8:9], 2, s[8:9]
	v_add_u32_e32 v8, 2, v14
	global_load_dword v10, v[10:11], off
	s_waitcnt vmcnt(3)
	v_mov_b32_e32 v22, v20
	global_load_dword v16, v[16:17], off
	s_nop 0
	global_load_dword v15, v[18:19], off
	global_load_dword v28, v[26:27], off
	v_lshl_add_u64 v[18:19], v[8:9], 2, s[10:11]
	v_add_u32_e32 v8, -2, v6
	v_lshl_add_u64 v[26:27], v[8:9], 2, s[8:9]
	v_add_u32_e32 v8, -6, v6
	v_lshl_add_u64 v[30:31], v[8:9], 2, s[8:9]
	v_add_u32_e32 v8, 3, v14
	global_load_dword v18, v[18:19], off
	s_nop 0
	global_load_dword v29, v[26:27], off
	global_load_dword v32, v[30:31], off
	v_lshl_add_u64 v[26:27], v[8:9], 2, s[10:11]
	v_add_u32_e32 v8, -1, v6
	v_lshl_add_u64 v[30:31], v[8:9], 2, s[8:9]
	v_add_u32_e32 v8, -5, v6
	v_lshl_add_u64 v[34:35], v[8:9], 2, s[8:9]
	v_add_u32_e32 v8, 4, v14
	global_load_dword v26, v[26:27], off
	s_nop 0
	global_load_dword v33, v[30:31], off
	global_load_dword v24, v[34:35], off
	v_lshl_add_u64 v[30:31], v[8:9], 2, s[10:11]
	global_load_dword v8, v[30:31], off
	v_mov_b32_e32 v14, v21
	v_add_u32_e32 v6, 0x280, v6
	s_waitcnt vmcnt(10)
	v_pk_fma_f32 v[4:5], v[22:23], v[10:11], v[4:5] op_sel_hi:[1,0,1]
	s_waitcnt vmcnt(8)
	v_pk_fma_f32 v[4:5], v[14:15], v[16:17], v[4:5] op_sel_hi:[1,0,1]
	;; [unrolled: 2-line block ×5, first 2 shown]
	s_andn2_b64 exec, exec, s[2:3]
	s_cbranch_execnz .LBB19_15
; %bb.16:
	s_or_b64 exec, exec, s[2:3]
.LBB19_17:
	s_or_b64 exec, exec, s[4:5]
.LBB19_18:
	v_mov_b32_dpp v0, v4 row_shr:1 row_mask:0xf bank_mask:0xf
	v_mov_b32_dpp v1, v5 row_shr:1 row_mask:0xf bank_mask:0xf
	v_pk_add_f32 v[0:1], v[4:5], v[0:1]
	v_cmp_eq_u32_e32 vcc, 63, v3
	s_nop 0
	v_mov_b32_dpp v4, v0 row_shr:2 row_mask:0xf bank_mask:0xf
	v_mov_b32_dpp v5, v1 row_shr:2 row_mask:0xf bank_mask:0xf
	v_pk_add_f32 v[0:1], v[0:1], v[4:5]
	s_nop 1
	v_mov_b32_dpp v4, v0 row_shr:4 row_mask:0xf bank_mask:0xe
	v_mov_b32_dpp v5, v1 row_shr:4 row_mask:0xf bank_mask:0xe
	v_pk_add_f32 v[0:1], v[0:1], v[4:5]
	;; [unrolled: 4-line block ×3, first 2 shown]
	s_nop 1
	v_mov_b32_dpp v4, v0 row_bcast:15 row_mask:0xa bank_mask:0xf
	v_mov_b32_dpp v5, v1 row_bcast:15 row_mask:0xa bank_mask:0xf
	v_pk_add_f32 v[0:1], v[0:1], v[4:5]
	s_nop 1
	v_mov_b32_dpp v4, v0 row_bcast:31 row_mask:0xc bank_mask:0xf
	v_mov_b32_dpp v5, v1 row_bcast:31 row_mask:0xc bank_mask:0xf
	s_and_b64 exec, exec, vcc
	s_cbranch_execz .LBB19_22
; %bb.19:
	s_load_dwordx2 s[0:1], s[0:1], 0x38
	v_cmp_eq_f32_e64 s[2:3], s12, 0
	v_pk_add_f32 v[0:1], v[0:1], v[4:5]
	s_and_b64 vcc, exec, s[2:3]
	v_lshlrev_b32_e32 v2, 1, v2
	s_cbranch_vccz .LBB19_23
; %bb.20:
	v_ashrrev_i32_e32 v3, 31, v2
	s_waitcnt lgkmcnt(0)
	v_lshl_add_u64 v[4:5], v[2:3], 2, s[0:1]
	v_pk_mul_f32 v[6:7], s[14:15], v[0:1] op_sel_hi:[0,1]
	global_store_dwordx2 v[4:5], v[6:7], off
	s_cbranch_execnz .LBB19_22
.LBB19_21:
	v_ashrrev_i32_e32 v3, 31, v2
	s_waitcnt lgkmcnt(0)
	v_lshl_add_u64 v[2:3], v[2:3], 2, s[0:1]
	global_load_dwordx2 v[4:5], v[2:3], off
	v_pk_mul_f32 v[0:1], s[14:15], v[0:1] op_sel_hi:[0,1]
	s_waitcnt vmcnt(0)
	v_pk_fma_f32 v[0:1], s[12:13], v[4:5], v[0:1] op_sel_hi:[0,1,1]
	global_store_dwordx2 v[2:3], v[0:1], off
.LBB19_22:
	s_endpgm
.LBB19_23:
	s_branch .LBB19_21
	.section	.rodata,"a",@progbits
	.p2align	6, 0x0
	.amdhsa_kernel _ZN9rocsparseL19gebsrmvn_2xn_kernelILj128ELj5ELj64EfEEvi20rocsparse_direction_NS_24const_host_device_scalarIT2_EEPKiS6_PKS3_S8_S4_PS3_21rocsparse_index_base_b
		.amdhsa_group_segment_fixed_size 0
		.amdhsa_private_segment_fixed_size 0
		.amdhsa_kernarg_size 72
		.amdhsa_user_sgpr_count 2
		.amdhsa_user_sgpr_dispatch_ptr 0
		.amdhsa_user_sgpr_queue_ptr 0
		.amdhsa_user_sgpr_kernarg_segment_ptr 1
		.amdhsa_user_sgpr_dispatch_id 0
		.amdhsa_user_sgpr_kernarg_preload_length 0
		.amdhsa_user_sgpr_kernarg_preload_offset 0
		.amdhsa_user_sgpr_private_segment_size 0
		.amdhsa_uses_dynamic_stack 0
		.amdhsa_enable_private_segment 0
		.amdhsa_system_sgpr_workgroup_id_x 1
		.amdhsa_system_sgpr_workgroup_id_y 0
		.amdhsa_system_sgpr_workgroup_id_z 0
		.amdhsa_system_sgpr_workgroup_info 0
		.amdhsa_system_vgpr_workitem_id 0
		.amdhsa_next_free_vgpr 36
		.amdhsa_next_free_sgpr 20
		.amdhsa_accum_offset 36
		.amdhsa_reserve_vcc 1
		.amdhsa_float_round_mode_32 0
		.amdhsa_float_round_mode_16_64 0
		.amdhsa_float_denorm_mode_32 3
		.amdhsa_float_denorm_mode_16_64 3
		.amdhsa_dx10_clamp 1
		.amdhsa_ieee_mode 1
		.amdhsa_fp16_overflow 0
		.amdhsa_tg_split 0
		.amdhsa_exception_fp_ieee_invalid_op 0
		.amdhsa_exception_fp_denorm_src 0
		.amdhsa_exception_fp_ieee_div_zero 0
		.amdhsa_exception_fp_ieee_overflow 0
		.amdhsa_exception_fp_ieee_underflow 0
		.amdhsa_exception_fp_ieee_inexact 0
		.amdhsa_exception_int_div_zero 0
	.end_amdhsa_kernel
	.section	.text._ZN9rocsparseL19gebsrmvn_2xn_kernelILj128ELj5ELj64EfEEvi20rocsparse_direction_NS_24const_host_device_scalarIT2_EEPKiS6_PKS3_S8_S4_PS3_21rocsparse_index_base_b,"axG",@progbits,_ZN9rocsparseL19gebsrmvn_2xn_kernelILj128ELj5ELj64EfEEvi20rocsparse_direction_NS_24const_host_device_scalarIT2_EEPKiS6_PKS3_S8_S4_PS3_21rocsparse_index_base_b,comdat
.Lfunc_end19:
	.size	_ZN9rocsparseL19gebsrmvn_2xn_kernelILj128ELj5ELj64EfEEvi20rocsparse_direction_NS_24const_host_device_scalarIT2_EEPKiS6_PKS3_S8_S4_PS3_21rocsparse_index_base_b, .Lfunc_end19-_ZN9rocsparseL19gebsrmvn_2xn_kernelILj128ELj5ELj64EfEEvi20rocsparse_direction_NS_24const_host_device_scalarIT2_EEPKiS6_PKS3_S8_S4_PS3_21rocsparse_index_base_b
                                        ; -- End function
	.section	.AMDGPU.csdata,"",@progbits
; Kernel info:
; codeLenInByte = 1376
; NumSgprs: 26
; NumVgprs: 36
; NumAgprs: 0
; TotalNumVgprs: 36
; ScratchSize: 0
; MemoryBound: 0
; FloatMode: 240
; IeeeMode: 1
; LDSByteSize: 0 bytes/workgroup (compile time only)
; SGPRBlocks: 3
; VGPRBlocks: 4
; NumSGPRsForWavesPerEU: 26
; NumVGPRsForWavesPerEU: 36
; AccumOffset: 36
; Occupancy: 8
; WaveLimiterHint : 1
; COMPUTE_PGM_RSRC2:SCRATCH_EN: 0
; COMPUTE_PGM_RSRC2:USER_SGPR: 2
; COMPUTE_PGM_RSRC2:TRAP_HANDLER: 0
; COMPUTE_PGM_RSRC2:TGID_X_EN: 1
; COMPUTE_PGM_RSRC2:TGID_Y_EN: 0
; COMPUTE_PGM_RSRC2:TGID_Z_EN: 0
; COMPUTE_PGM_RSRC2:TIDIG_COMP_CNT: 0
; COMPUTE_PGM_RSRC3_GFX90A:ACCUM_OFFSET: 8
; COMPUTE_PGM_RSRC3_GFX90A:TG_SPLIT: 0
	.section	.text._ZN9rocsparseL19gebsrmvn_2xn_kernelILj128ELj6ELj4EfEEvi20rocsparse_direction_NS_24const_host_device_scalarIT2_EEPKiS6_PKS3_S8_S4_PS3_21rocsparse_index_base_b,"axG",@progbits,_ZN9rocsparseL19gebsrmvn_2xn_kernelILj128ELj6ELj4EfEEvi20rocsparse_direction_NS_24const_host_device_scalarIT2_EEPKiS6_PKS3_S8_S4_PS3_21rocsparse_index_base_b,comdat
	.globl	_ZN9rocsparseL19gebsrmvn_2xn_kernelILj128ELj6ELj4EfEEvi20rocsparse_direction_NS_24const_host_device_scalarIT2_EEPKiS6_PKS3_S8_S4_PS3_21rocsparse_index_base_b ; -- Begin function _ZN9rocsparseL19gebsrmvn_2xn_kernelILj128ELj6ELj4EfEEvi20rocsparse_direction_NS_24const_host_device_scalarIT2_EEPKiS6_PKS3_S8_S4_PS3_21rocsparse_index_base_b
	.p2align	8
	.type	_ZN9rocsparseL19gebsrmvn_2xn_kernelILj128ELj6ELj4EfEEvi20rocsparse_direction_NS_24const_host_device_scalarIT2_EEPKiS6_PKS3_S8_S4_PS3_21rocsparse_index_base_b,@function
_ZN9rocsparseL19gebsrmvn_2xn_kernelILj128ELj6ELj4EfEEvi20rocsparse_direction_NS_24const_host_device_scalarIT2_EEPKiS6_PKS3_S8_S4_PS3_21rocsparse_index_base_b: ; @_ZN9rocsparseL19gebsrmvn_2xn_kernelILj128ELj6ELj4EfEEvi20rocsparse_direction_NS_24const_host_device_scalarIT2_EEPKiS6_PKS3_S8_S4_PS3_21rocsparse_index_base_b
; %bb.0:
	s_load_dwordx2 s[16:17], s[0:1], 0x40
	s_load_dwordx2 s[14:15], s[0:1], 0x8
	;; [unrolled: 1-line block ×3, first 2 shown]
	s_waitcnt lgkmcnt(0)
	s_bitcmp1_b32 s17, 0
	s_cselect_b64 s[6:7], -1, 0
	s_xor_b64 s[4:5], s[6:7], -1
	s_and_b64 vcc, exec, s[6:7]
	s_cbranch_vccnz .LBB20_2
; %bb.1:
	s_load_dword s14, s[14:15], 0x0
.LBB20_2:
	s_andn2_b64 vcc, exec, s[4:5]
	s_cbranch_vccnz .LBB20_4
; %bb.3:
	s_load_dword s12, s[12:13], 0x0
.LBB20_4:
	s_waitcnt lgkmcnt(0)
	v_cmp_eq_f32_e64 s[4:5], s14, 0
	v_cmp_eq_f32_e64 s[6:7], s12, 1.0
	s_and_b64 s[4:5], s[4:5], s[6:7]
	s_and_b64 vcc, exec, s[4:5]
	s_cbranch_vccnz .LBB20_22
; %bb.5:
	s_load_dwordx2 s[18:19], s[0:1], 0x0
	v_lshrrev_b32_e32 v1, 2, v0
	v_lshl_or_b32 v2, s2, 5, v1
	s_waitcnt lgkmcnt(0)
	v_cmp_gt_i32_e32 vcc, s18, v2
	s_and_saveexec_b64 s[2:3], vcc
	s_cbranch_execz .LBB20_22
; %bb.6:
	s_load_dwordx8 s[4:11], s[0:1], 0x10
	v_ashrrev_i32_e32 v3, 31, v2
	s_cmp_lg_u32 s19, 0
	s_waitcnt lgkmcnt(0)
	v_lshl_add_u64 v[4:5], v[2:3], 2, s[4:5]
	global_load_dwordx2 v[4:5], v[4:5], off
	v_and_b32_e32 v3, 3, v0
	s_waitcnt vmcnt(0)
	v_subrev_u32_e32 v0, s16, v4
	v_subrev_u32_e32 v12, s16, v5
	v_add_u32_e32 v0, v0, v3
	v_cmp_lt_i32_e64 s[2:3], v0, v12
	s_cbranch_scc0 .LBB20_12
; %bb.7:
	v_mov_b32_e32 v5, 0
	v_mov_b32_e32 v4, v5
	s_and_saveexec_b64 s[4:5], s[2:3]
	s_cbranch_execz .LBB20_11
; %bb.8:
	v_mad_u64_u32 v[6:7], s[18:19], v0, 12, 10
	v_mov_b32_e32 v9, 0
	s_mov_b64 s[18:19], 0
	v_mov_b32_e32 v10, v0
	v_mov_b32_e32 v4, v9
	;; [unrolled: 1-line block ×3, first 2 shown]
.LBB20_9:                               ; =>This Inner Loop Header: Depth=1
	v_ashrrev_i32_e32 v11, 31, v10
	v_lshl_add_u64 v[14:15], v[10:11], 2, s[6:7]
	global_load_dword v1, v[14:15], off
	v_add_u32_e32 v8, -10, v6
	v_mov_b32_e32 v19, v9
	v_lshl_add_u64 v[14:15], v[8:9], 2, s[8:9]
	v_add_u32_e32 v8, -6, v6
	global_load_dwordx4 v[14:17], v[14:15], off
	v_lshl_add_u64 v[22:23], v[8:9], 2, s[8:9]
	global_load_dwordx2 v[22:23], v[22:23], off
	v_mov_b32_e32 v7, v9
	v_lshl_add_u64 v[20:21], v[6:7], 2, s[8:9]
	v_add_u32_e32 v10, 4, v10
	v_cmp_ge_i32_e32 vcc, v10, v12
	s_or_b64 s[18:19], vcc, s[18:19]
	s_waitcnt vmcnt(2)
	v_subrev_u32_e32 v1, s16, v1
	v_mul_lo_u32 v18, v1, 6
	v_lshl_add_u64 v[24:25], v[18:19], 2, s[10:11]
	v_add_u32_e32 v8, 2, v18
	global_load_dwordx2 v[24:25], v[24:25], off
	v_lshl_add_u64 v[26:27], v[8:9], 2, s[10:11]
	global_load_dwordx2 v[26:27], v[26:27], off
	v_add_u32_e32 v8, -4, v6
	v_lshl_add_u64 v[28:29], v[8:9], 2, s[8:9]
	v_add_u32_e32 v8, -2, v6
	v_lshl_add_u64 v[30:31], v[8:9], 2, s[8:9]
	v_add_u32_e32 v8, 4, v18
	global_load_dwordx2 v[18:19], v[28:29], off
	global_load_dwordx2 v[32:33], v[30:31], off
	v_lshl_add_u64 v[28:29], v[8:9], 2, s[10:11]
	global_load_dwordx2 v[30:31], v[28:29], off
	global_load_dwordx2 v[34:35], v[20:21], off
	v_add_u32_e32 v6, 48, v6
	s_waitcnt vmcnt(5)
	v_pk_fma_f32 v[4:5], v[14:15], v[24:25], v[4:5] op_sel_hi:[1,0,1]
	s_nop 0
	v_pk_fma_f32 v[4:5], v[16:17], v[24:25], v[4:5] op_sel:[0,1,0]
	s_waitcnt vmcnt(4)
	v_pk_fma_f32 v[4:5], v[22:23], v[26:27], v[4:5] op_sel_hi:[1,0,1]
	s_waitcnt vmcnt(3)
	v_pk_fma_f32 v[4:5], v[18:19], v[26:27], v[4:5] op_sel:[0,1,0]
	s_waitcnt vmcnt(1)
	v_pk_fma_f32 v[4:5], v[32:33], v[30:31], v[4:5] op_sel_hi:[1,0,1]
	s_waitcnt vmcnt(0)
	v_pk_fma_f32 v[4:5], v[34:35], v[30:31], v[4:5] op_sel:[0,1,0]
	s_andn2_b64 exec, exec, s[18:19]
	s_cbranch_execnz .LBB20_9
; %bb.10:
	s_or_b64 exec, exec, s[18:19]
.LBB20_11:
	s_or_b64 exec, exec, s[4:5]
	s_cbranch_execz .LBB20_13
	s_branch .LBB20_18
.LBB20_12:
                                        ; implicit-def: $vgpr5
.LBB20_13:
	v_mov_b32_e32 v5, 0
	v_mov_b32_e32 v4, v5
	s_and_saveexec_b64 s[4:5], s[2:3]
	s_cbranch_execz .LBB20_17
; %bb.14:
	v_mad_u64_u32 v[6:7], s[2:3], v0, 12, 11
	v_mov_b32_e32 v9, 0
	s_mov_b64 s[2:3], 0
	v_mov_b32_e32 v4, v9
	v_mov_b32_e32 v5, v9
.LBB20_15:                              ; =>This Inner Loop Header: Depth=1
	v_ashrrev_i32_e32 v1, 31, v0
	v_lshl_add_u64 v[10:11], v[0:1], 2, s[6:7]
	global_load_dword v1, v[10:11], off
	v_add_u32_e32 v8, -11, v6
	v_add_u32_e32 v10, -5, v6
	v_mov_b32_e32 v11, v9
	v_lshl_add_u64 v[14:15], v[8:9], 2, s[8:9]
	v_add_u32_e32 v8, -4, v6
	v_mov_b32_e32 v19, v9
	v_lshl_add_u64 v[10:11], v[10:11], 2, s[8:9]
	v_lshl_add_u64 v[22:23], v[8:9], 2, s[8:9]
	global_load_dwordx4 v[14:17], v[14:15], off
	s_nop 0
	global_load_dword v25, v[10:11], off
	global_load_dword v27, v[22:23], off
	v_mov_b32_e32 v7, v9
	v_lshl_add_u64 v[20:21], v[6:7], 2, s[8:9]
	v_add_u32_e32 v0, 4, v0
	v_cmp_ge_i32_e32 vcc, v0, v12
	s_or_b64 s[2:3], vcc, s[2:3]
	s_waitcnt vmcnt(3)
	v_subrev_u32_e32 v1, s16, v1
	v_mul_lo_u32 v18, v1, 6
	v_add_u32_e32 v8, 2, v18
	v_lshl_add_u64 v[10:11], v[18:19], 2, s[10:11]
	v_lshl_add_u64 v[22:23], v[8:9], 2, s[10:11]
	v_add_u32_e32 v8, -3, v6
	global_load_dwordx2 v[10:11], v[10:11], off
	v_lshl_add_u64 v[28:29], v[8:9], 2, s[8:9]
	global_load_dwordx2 v[22:23], v[22:23], off
	v_add_u32_e32 v8, -2, v6
	v_lshl_add_u64 v[30:31], v[8:9], 2, s[8:9]
	v_add_u32_e32 v8, -7, v6
	global_load_dword v19, v[28:29], off
	v_lshl_add_u64 v[28:29], v[8:9], 2, s[8:9]
	v_add_u32_e32 v8, 4, v18
	global_load_dword v33, v[30:31], off
	global_load_dword v34, v[28:29], off
	v_lshl_add_u64 v[28:29], v[8:9], 2, s[10:11]
	v_add_u32_e32 v8, -1, v6
	global_load_dwordx2 v[28:29], v[28:29], off
	v_lshl_add_u64 v[30:31], v[8:9], 2, s[8:9]
	v_add_u32_e32 v8, -6, v6
	v_lshl_add_u64 v[36:37], v[8:9], 2, s[8:9]
	global_load_dword v35, v[30:31], off
	global_load_dword v38, v[36:37], off
	;; [unrolled: 1-line block ×3, first 2 shown]
	s_waitcnt vmcnt(11)
	v_mov_b32_e32 v24, v14
	v_mov_b32_e32 v26, v15
	;; [unrolled: 1-line block ×4, first 2 shown]
	v_add_u32_e32 v6, 48, v6
	s_waitcnt vmcnt(8)
	v_pk_fma_f32 v[4:5], v[24:25], v[10:11], v[4:5] op_sel_hi:[1,0,1]
	s_nop 0
	v_pk_fma_f32 v[4:5], v[26:27], v[10:11], v[4:5] op_sel:[0,1,0]
	s_waitcnt vmcnt(6)
	v_pk_fma_f32 v[4:5], v[18:19], v[22:23], v[4:5] op_sel_hi:[1,0,1]
	s_waitcnt vmcnt(5)
	v_pk_fma_f32 v[4:5], v[32:33], v[22:23], v[4:5] op_sel:[0,1,0]
	s_waitcnt vmcnt(2)
	v_pk_fma_f32 v[4:5], v[34:35], v[28:29], v[4:5] op_sel_hi:[1,0,1]
	s_waitcnt vmcnt(0)
	v_pk_fma_f32 v[4:5], v[38:39], v[28:29], v[4:5] op_sel:[0,1,0]
	s_andn2_b64 exec, exec, s[2:3]
	s_cbranch_execnz .LBB20_15
; %bb.16:
	s_or_b64 exec, exec, s[2:3]
.LBB20_17:
	s_or_b64 exec, exec, s[4:5]
.LBB20_18:
	v_mov_b32_dpp v0, v4 row_shr:1 row_mask:0xf bank_mask:0xf
	v_mov_b32_dpp v1, v5 row_shr:1 row_mask:0xf bank_mask:0xf
	v_pk_add_f32 v[0:1], v[4:5], v[0:1]
	v_cmp_eq_u32_e32 vcc, 3, v3
	s_nop 0
	v_mov_b32_dpp v4, v0 row_shr:2 row_mask:0xf bank_mask:0xf
	v_mov_b32_dpp v5, v1 row_shr:2 row_mask:0xf bank_mask:0xf
	s_and_b64 exec, exec, vcc
	s_cbranch_execz .LBB20_22
; %bb.19:
	s_load_dwordx2 s[0:1], s[0:1], 0x38
	v_cmp_eq_f32_e64 s[2:3], s12, 0
	v_pk_add_f32 v[0:1], v[0:1], v[4:5]
	s_and_b64 vcc, exec, s[2:3]
	v_lshlrev_b32_e32 v2, 1, v2
	s_cbranch_vccz .LBB20_23
; %bb.20:
	v_ashrrev_i32_e32 v3, 31, v2
	s_waitcnt lgkmcnt(0)
	v_lshl_add_u64 v[4:5], v[2:3], 2, s[0:1]
	v_pk_mul_f32 v[6:7], s[14:15], v[0:1] op_sel_hi:[0,1]
	global_store_dwordx2 v[4:5], v[6:7], off
	s_cbranch_execnz .LBB20_22
.LBB20_21:
	v_ashrrev_i32_e32 v3, 31, v2
	s_waitcnt lgkmcnt(0)
	v_lshl_add_u64 v[2:3], v[2:3], 2, s[0:1]
	global_load_dwordx2 v[4:5], v[2:3], off
	v_pk_mul_f32 v[0:1], s[14:15], v[0:1] op_sel_hi:[0,1]
	s_waitcnt vmcnt(0)
	v_pk_fma_f32 v[0:1], s[12:13], v[4:5], v[0:1] op_sel_hi:[0,1,1]
	global_store_dwordx2 v[2:3], v[0:1], off
.LBB20_22:
	s_endpgm
.LBB20_23:
	s_branch .LBB20_21
	.section	.rodata,"a",@progbits
	.p2align	6, 0x0
	.amdhsa_kernel _ZN9rocsparseL19gebsrmvn_2xn_kernelILj128ELj6ELj4EfEEvi20rocsparse_direction_NS_24const_host_device_scalarIT2_EEPKiS6_PKS3_S8_S4_PS3_21rocsparse_index_base_b
		.amdhsa_group_segment_fixed_size 0
		.amdhsa_private_segment_fixed_size 0
		.amdhsa_kernarg_size 72
		.amdhsa_user_sgpr_count 2
		.amdhsa_user_sgpr_dispatch_ptr 0
		.amdhsa_user_sgpr_queue_ptr 0
		.amdhsa_user_sgpr_kernarg_segment_ptr 1
		.amdhsa_user_sgpr_dispatch_id 0
		.amdhsa_user_sgpr_kernarg_preload_length 0
		.amdhsa_user_sgpr_kernarg_preload_offset 0
		.amdhsa_user_sgpr_private_segment_size 0
		.amdhsa_uses_dynamic_stack 0
		.amdhsa_enable_private_segment 0
		.amdhsa_system_sgpr_workgroup_id_x 1
		.amdhsa_system_sgpr_workgroup_id_y 0
		.amdhsa_system_sgpr_workgroup_id_z 0
		.amdhsa_system_sgpr_workgroup_info 0
		.amdhsa_system_vgpr_workitem_id 0
		.amdhsa_next_free_vgpr 40
		.amdhsa_next_free_sgpr 20
		.amdhsa_accum_offset 40
		.amdhsa_reserve_vcc 1
		.amdhsa_float_round_mode_32 0
		.amdhsa_float_round_mode_16_64 0
		.amdhsa_float_denorm_mode_32 3
		.amdhsa_float_denorm_mode_16_64 3
		.amdhsa_dx10_clamp 1
		.amdhsa_ieee_mode 1
		.amdhsa_fp16_overflow 0
		.amdhsa_tg_split 0
		.amdhsa_exception_fp_ieee_invalid_op 0
		.amdhsa_exception_fp_denorm_src 0
		.amdhsa_exception_fp_ieee_div_zero 0
		.amdhsa_exception_fp_ieee_overflow 0
		.amdhsa_exception_fp_ieee_underflow 0
		.amdhsa_exception_fp_ieee_inexact 0
		.amdhsa_exception_int_div_zero 0
	.end_amdhsa_kernel
	.section	.text._ZN9rocsparseL19gebsrmvn_2xn_kernelILj128ELj6ELj4EfEEvi20rocsparse_direction_NS_24const_host_device_scalarIT2_EEPKiS6_PKS3_S8_S4_PS3_21rocsparse_index_base_b,"axG",@progbits,_ZN9rocsparseL19gebsrmvn_2xn_kernelILj128ELj6ELj4EfEEvi20rocsparse_direction_NS_24const_host_device_scalarIT2_EEPKiS6_PKS3_S8_S4_PS3_21rocsparse_index_base_b,comdat
.Lfunc_end20:
	.size	_ZN9rocsparseL19gebsrmvn_2xn_kernelILj128ELj6ELj4EfEEvi20rocsparse_direction_NS_24const_host_device_scalarIT2_EEPKiS6_PKS3_S8_S4_PS3_21rocsparse_index_base_b, .Lfunc_end20-_ZN9rocsparseL19gebsrmvn_2xn_kernelILj128ELj6ELj4EfEEvi20rocsparse_direction_NS_24const_host_device_scalarIT2_EEPKiS6_PKS3_S8_S4_PS3_21rocsparse_index_base_b
                                        ; -- End function
	.section	.AMDGPU.csdata,"",@progbits
; Kernel info:
; codeLenInByte = 1196
; NumSgprs: 26
; NumVgprs: 40
; NumAgprs: 0
; TotalNumVgprs: 40
; ScratchSize: 0
; MemoryBound: 0
; FloatMode: 240
; IeeeMode: 1
; LDSByteSize: 0 bytes/workgroup (compile time only)
; SGPRBlocks: 3
; VGPRBlocks: 4
; NumSGPRsForWavesPerEU: 26
; NumVGPRsForWavesPerEU: 40
; AccumOffset: 40
; Occupancy: 8
; WaveLimiterHint : 1
; COMPUTE_PGM_RSRC2:SCRATCH_EN: 0
; COMPUTE_PGM_RSRC2:USER_SGPR: 2
; COMPUTE_PGM_RSRC2:TRAP_HANDLER: 0
; COMPUTE_PGM_RSRC2:TGID_X_EN: 1
; COMPUTE_PGM_RSRC2:TGID_Y_EN: 0
; COMPUTE_PGM_RSRC2:TGID_Z_EN: 0
; COMPUTE_PGM_RSRC2:TIDIG_COMP_CNT: 0
; COMPUTE_PGM_RSRC3_GFX90A:ACCUM_OFFSET: 9
; COMPUTE_PGM_RSRC3_GFX90A:TG_SPLIT: 0
	.section	.text._ZN9rocsparseL19gebsrmvn_2xn_kernelILj128ELj6ELj8EfEEvi20rocsparse_direction_NS_24const_host_device_scalarIT2_EEPKiS6_PKS3_S8_S4_PS3_21rocsparse_index_base_b,"axG",@progbits,_ZN9rocsparseL19gebsrmvn_2xn_kernelILj128ELj6ELj8EfEEvi20rocsparse_direction_NS_24const_host_device_scalarIT2_EEPKiS6_PKS3_S8_S4_PS3_21rocsparse_index_base_b,comdat
	.globl	_ZN9rocsparseL19gebsrmvn_2xn_kernelILj128ELj6ELj8EfEEvi20rocsparse_direction_NS_24const_host_device_scalarIT2_EEPKiS6_PKS3_S8_S4_PS3_21rocsparse_index_base_b ; -- Begin function _ZN9rocsparseL19gebsrmvn_2xn_kernelILj128ELj6ELj8EfEEvi20rocsparse_direction_NS_24const_host_device_scalarIT2_EEPKiS6_PKS3_S8_S4_PS3_21rocsparse_index_base_b
	.p2align	8
	.type	_ZN9rocsparseL19gebsrmvn_2xn_kernelILj128ELj6ELj8EfEEvi20rocsparse_direction_NS_24const_host_device_scalarIT2_EEPKiS6_PKS3_S8_S4_PS3_21rocsparse_index_base_b,@function
_ZN9rocsparseL19gebsrmvn_2xn_kernelILj128ELj6ELj8EfEEvi20rocsparse_direction_NS_24const_host_device_scalarIT2_EEPKiS6_PKS3_S8_S4_PS3_21rocsparse_index_base_b: ; @_ZN9rocsparseL19gebsrmvn_2xn_kernelILj128ELj6ELj8EfEEvi20rocsparse_direction_NS_24const_host_device_scalarIT2_EEPKiS6_PKS3_S8_S4_PS3_21rocsparse_index_base_b
; %bb.0:
	s_load_dwordx2 s[16:17], s[0:1], 0x40
	s_load_dwordx2 s[14:15], s[0:1], 0x8
	;; [unrolled: 1-line block ×3, first 2 shown]
	s_waitcnt lgkmcnt(0)
	s_bitcmp1_b32 s17, 0
	s_cselect_b64 s[6:7], -1, 0
	s_xor_b64 s[4:5], s[6:7], -1
	s_and_b64 vcc, exec, s[6:7]
	s_cbranch_vccnz .LBB21_2
; %bb.1:
	s_load_dword s14, s[14:15], 0x0
.LBB21_2:
	s_andn2_b64 vcc, exec, s[4:5]
	s_cbranch_vccnz .LBB21_4
; %bb.3:
	s_load_dword s12, s[12:13], 0x0
.LBB21_4:
	s_waitcnt lgkmcnt(0)
	v_cmp_eq_f32_e64 s[4:5], s14, 0
	v_cmp_eq_f32_e64 s[6:7], s12, 1.0
	s_and_b64 s[4:5], s[4:5], s[6:7]
	s_and_b64 vcc, exec, s[4:5]
	s_cbranch_vccnz .LBB21_22
; %bb.5:
	s_load_dwordx2 s[18:19], s[0:1], 0x0
	v_lshrrev_b32_e32 v1, 3, v0
	v_lshl_or_b32 v2, s2, 4, v1
	s_waitcnt lgkmcnt(0)
	v_cmp_gt_i32_e32 vcc, s18, v2
	s_and_saveexec_b64 s[2:3], vcc
	s_cbranch_execz .LBB21_22
; %bb.6:
	s_load_dwordx8 s[4:11], s[0:1], 0x10
	v_ashrrev_i32_e32 v3, 31, v2
	s_cmp_lg_u32 s19, 0
	s_waitcnt lgkmcnt(0)
	v_lshl_add_u64 v[4:5], v[2:3], 2, s[4:5]
	global_load_dwordx2 v[4:5], v[4:5], off
	v_and_b32_e32 v3, 7, v0
	s_waitcnt vmcnt(0)
	v_subrev_u32_e32 v0, s16, v4
	v_subrev_u32_e32 v12, s16, v5
	v_add_u32_e32 v0, v0, v3
	v_cmp_lt_i32_e64 s[2:3], v0, v12
	s_cbranch_scc0 .LBB21_12
; %bb.7:
	v_mov_b32_e32 v5, 0
	v_mov_b32_e32 v4, v5
	s_and_saveexec_b64 s[4:5], s[2:3]
	s_cbranch_execz .LBB21_11
; %bb.8:
	v_mad_u64_u32 v[6:7], s[18:19], v0, 12, 10
	v_mov_b32_e32 v9, 0
	s_mov_b64 s[18:19], 0
	v_mov_b32_e32 v10, v0
	v_mov_b32_e32 v4, v9
	;; [unrolled: 1-line block ×3, first 2 shown]
.LBB21_9:                               ; =>This Inner Loop Header: Depth=1
	v_ashrrev_i32_e32 v11, 31, v10
	v_lshl_add_u64 v[14:15], v[10:11], 2, s[6:7]
	global_load_dword v1, v[14:15], off
	v_add_u32_e32 v8, -10, v6
	v_mov_b32_e32 v19, v9
	v_lshl_add_u64 v[14:15], v[8:9], 2, s[8:9]
	v_add_u32_e32 v8, -6, v6
	global_load_dwordx4 v[14:17], v[14:15], off
	v_lshl_add_u64 v[22:23], v[8:9], 2, s[8:9]
	global_load_dwordx2 v[22:23], v[22:23], off
	v_mov_b32_e32 v7, v9
	v_lshl_add_u64 v[20:21], v[6:7], 2, s[8:9]
	v_add_u32_e32 v10, 8, v10
	v_cmp_ge_i32_e32 vcc, v10, v12
	s_or_b64 s[18:19], vcc, s[18:19]
	s_waitcnt vmcnt(2)
	v_subrev_u32_e32 v1, s16, v1
	v_mul_lo_u32 v18, v1, 6
	v_lshl_add_u64 v[24:25], v[18:19], 2, s[10:11]
	v_add_u32_e32 v8, 2, v18
	global_load_dwordx2 v[24:25], v[24:25], off
	v_lshl_add_u64 v[26:27], v[8:9], 2, s[10:11]
	global_load_dwordx2 v[26:27], v[26:27], off
	v_add_u32_e32 v8, -4, v6
	v_lshl_add_u64 v[28:29], v[8:9], 2, s[8:9]
	v_add_u32_e32 v8, -2, v6
	v_lshl_add_u64 v[30:31], v[8:9], 2, s[8:9]
	v_add_u32_e32 v8, 4, v18
	global_load_dwordx2 v[18:19], v[28:29], off
	global_load_dwordx2 v[32:33], v[30:31], off
	v_lshl_add_u64 v[28:29], v[8:9], 2, s[10:11]
	global_load_dwordx2 v[30:31], v[28:29], off
	global_load_dwordx2 v[34:35], v[20:21], off
	v_add_u32_e32 v6, 0x60, v6
	s_waitcnt vmcnt(5)
	v_pk_fma_f32 v[4:5], v[14:15], v[24:25], v[4:5] op_sel_hi:[1,0,1]
	s_nop 0
	v_pk_fma_f32 v[4:5], v[16:17], v[24:25], v[4:5] op_sel:[0,1,0]
	s_waitcnt vmcnt(4)
	v_pk_fma_f32 v[4:5], v[22:23], v[26:27], v[4:5] op_sel_hi:[1,0,1]
	s_waitcnt vmcnt(3)
	v_pk_fma_f32 v[4:5], v[18:19], v[26:27], v[4:5] op_sel:[0,1,0]
	s_waitcnt vmcnt(1)
	v_pk_fma_f32 v[4:5], v[32:33], v[30:31], v[4:5] op_sel_hi:[1,0,1]
	s_waitcnt vmcnt(0)
	v_pk_fma_f32 v[4:5], v[34:35], v[30:31], v[4:5] op_sel:[0,1,0]
	s_andn2_b64 exec, exec, s[18:19]
	s_cbranch_execnz .LBB21_9
; %bb.10:
	s_or_b64 exec, exec, s[18:19]
.LBB21_11:
	s_or_b64 exec, exec, s[4:5]
	s_cbranch_execz .LBB21_13
	s_branch .LBB21_18
.LBB21_12:
                                        ; implicit-def: $vgpr5
.LBB21_13:
	v_mov_b32_e32 v5, 0
	v_mov_b32_e32 v4, v5
	s_and_saveexec_b64 s[4:5], s[2:3]
	s_cbranch_execz .LBB21_17
; %bb.14:
	v_mad_u64_u32 v[6:7], s[2:3], v0, 12, 11
	v_mov_b32_e32 v9, 0
	s_mov_b64 s[2:3], 0
	v_mov_b32_e32 v4, v9
	v_mov_b32_e32 v5, v9
.LBB21_15:                              ; =>This Inner Loop Header: Depth=1
	v_ashrrev_i32_e32 v1, 31, v0
	v_lshl_add_u64 v[10:11], v[0:1], 2, s[6:7]
	global_load_dword v1, v[10:11], off
	v_add_u32_e32 v8, -11, v6
	v_add_u32_e32 v10, -5, v6
	v_mov_b32_e32 v11, v9
	v_lshl_add_u64 v[14:15], v[8:9], 2, s[8:9]
	v_add_u32_e32 v8, -4, v6
	v_mov_b32_e32 v19, v9
	v_lshl_add_u64 v[10:11], v[10:11], 2, s[8:9]
	v_lshl_add_u64 v[22:23], v[8:9], 2, s[8:9]
	global_load_dwordx4 v[14:17], v[14:15], off
	s_nop 0
	global_load_dword v25, v[10:11], off
	global_load_dword v27, v[22:23], off
	v_mov_b32_e32 v7, v9
	v_lshl_add_u64 v[20:21], v[6:7], 2, s[8:9]
	v_add_u32_e32 v0, 8, v0
	v_cmp_ge_i32_e32 vcc, v0, v12
	s_or_b64 s[2:3], vcc, s[2:3]
	s_waitcnt vmcnt(3)
	v_subrev_u32_e32 v1, s16, v1
	v_mul_lo_u32 v18, v1, 6
	v_add_u32_e32 v8, 2, v18
	v_lshl_add_u64 v[10:11], v[18:19], 2, s[10:11]
	v_lshl_add_u64 v[22:23], v[8:9], 2, s[10:11]
	v_add_u32_e32 v8, -3, v6
	global_load_dwordx2 v[10:11], v[10:11], off
	v_lshl_add_u64 v[28:29], v[8:9], 2, s[8:9]
	global_load_dwordx2 v[22:23], v[22:23], off
	v_add_u32_e32 v8, -2, v6
	v_lshl_add_u64 v[30:31], v[8:9], 2, s[8:9]
	v_add_u32_e32 v8, -7, v6
	global_load_dword v19, v[28:29], off
	v_lshl_add_u64 v[28:29], v[8:9], 2, s[8:9]
	v_add_u32_e32 v8, 4, v18
	global_load_dword v33, v[30:31], off
	global_load_dword v34, v[28:29], off
	v_lshl_add_u64 v[28:29], v[8:9], 2, s[10:11]
	v_add_u32_e32 v8, -1, v6
	global_load_dwordx2 v[28:29], v[28:29], off
	v_lshl_add_u64 v[30:31], v[8:9], 2, s[8:9]
	v_add_u32_e32 v8, -6, v6
	v_lshl_add_u64 v[36:37], v[8:9], 2, s[8:9]
	global_load_dword v35, v[30:31], off
	global_load_dword v38, v[36:37], off
	;; [unrolled: 1-line block ×3, first 2 shown]
	s_waitcnt vmcnt(11)
	v_mov_b32_e32 v24, v14
	v_mov_b32_e32 v26, v15
	;; [unrolled: 1-line block ×4, first 2 shown]
	v_add_u32_e32 v6, 0x60, v6
	s_waitcnt vmcnt(8)
	v_pk_fma_f32 v[4:5], v[24:25], v[10:11], v[4:5] op_sel_hi:[1,0,1]
	s_nop 0
	v_pk_fma_f32 v[4:5], v[26:27], v[10:11], v[4:5] op_sel:[0,1,0]
	s_waitcnt vmcnt(6)
	v_pk_fma_f32 v[4:5], v[18:19], v[22:23], v[4:5] op_sel_hi:[1,0,1]
	s_waitcnt vmcnt(5)
	v_pk_fma_f32 v[4:5], v[32:33], v[22:23], v[4:5] op_sel:[0,1,0]
	s_waitcnt vmcnt(2)
	v_pk_fma_f32 v[4:5], v[34:35], v[28:29], v[4:5] op_sel_hi:[1,0,1]
	s_waitcnt vmcnt(0)
	v_pk_fma_f32 v[4:5], v[38:39], v[28:29], v[4:5] op_sel:[0,1,0]
	s_andn2_b64 exec, exec, s[2:3]
	s_cbranch_execnz .LBB21_15
; %bb.16:
	s_or_b64 exec, exec, s[2:3]
.LBB21_17:
	s_or_b64 exec, exec, s[4:5]
.LBB21_18:
	v_mov_b32_dpp v0, v4 row_shr:1 row_mask:0xf bank_mask:0xf
	v_mov_b32_dpp v1, v5 row_shr:1 row_mask:0xf bank_mask:0xf
	v_pk_add_f32 v[0:1], v[4:5], v[0:1]
	v_cmp_eq_u32_e32 vcc, 7, v3
	s_nop 0
	v_mov_b32_dpp v4, v0 row_shr:2 row_mask:0xf bank_mask:0xf
	v_mov_b32_dpp v5, v1 row_shr:2 row_mask:0xf bank_mask:0xf
	v_pk_add_f32 v[0:1], v[0:1], v[4:5]
	s_nop 1
	v_mov_b32_dpp v4, v0 row_shr:4 row_mask:0xf bank_mask:0xe
	v_mov_b32_dpp v5, v1 row_shr:4 row_mask:0xf bank_mask:0xe
	s_and_b64 exec, exec, vcc
	s_cbranch_execz .LBB21_22
; %bb.19:
	s_load_dwordx2 s[0:1], s[0:1], 0x38
	v_cmp_eq_f32_e64 s[2:3], s12, 0
	v_pk_add_f32 v[0:1], v[0:1], v[4:5]
	s_and_b64 vcc, exec, s[2:3]
	v_lshlrev_b32_e32 v2, 1, v2
	s_cbranch_vccz .LBB21_23
; %bb.20:
	v_ashrrev_i32_e32 v3, 31, v2
	s_waitcnt lgkmcnt(0)
	v_lshl_add_u64 v[4:5], v[2:3], 2, s[0:1]
	v_pk_mul_f32 v[6:7], s[14:15], v[0:1] op_sel_hi:[0,1]
	global_store_dwordx2 v[4:5], v[6:7], off
	s_cbranch_execnz .LBB21_22
.LBB21_21:
	v_ashrrev_i32_e32 v3, 31, v2
	s_waitcnt lgkmcnt(0)
	v_lshl_add_u64 v[2:3], v[2:3], 2, s[0:1]
	global_load_dwordx2 v[4:5], v[2:3], off
	v_pk_mul_f32 v[0:1], s[14:15], v[0:1] op_sel_hi:[0,1]
	s_waitcnt vmcnt(0)
	v_pk_fma_f32 v[0:1], s[12:13], v[4:5], v[0:1] op_sel_hi:[0,1,1]
	global_store_dwordx2 v[2:3], v[0:1], off
.LBB21_22:
	s_endpgm
.LBB21_23:
	s_branch .LBB21_21
	.section	.rodata,"a",@progbits
	.p2align	6, 0x0
	.amdhsa_kernel _ZN9rocsparseL19gebsrmvn_2xn_kernelILj128ELj6ELj8EfEEvi20rocsparse_direction_NS_24const_host_device_scalarIT2_EEPKiS6_PKS3_S8_S4_PS3_21rocsparse_index_base_b
		.amdhsa_group_segment_fixed_size 0
		.amdhsa_private_segment_fixed_size 0
		.amdhsa_kernarg_size 72
		.amdhsa_user_sgpr_count 2
		.amdhsa_user_sgpr_dispatch_ptr 0
		.amdhsa_user_sgpr_queue_ptr 0
		.amdhsa_user_sgpr_kernarg_segment_ptr 1
		.amdhsa_user_sgpr_dispatch_id 0
		.amdhsa_user_sgpr_kernarg_preload_length 0
		.amdhsa_user_sgpr_kernarg_preload_offset 0
		.amdhsa_user_sgpr_private_segment_size 0
		.amdhsa_uses_dynamic_stack 0
		.amdhsa_enable_private_segment 0
		.amdhsa_system_sgpr_workgroup_id_x 1
		.amdhsa_system_sgpr_workgroup_id_y 0
		.amdhsa_system_sgpr_workgroup_id_z 0
		.amdhsa_system_sgpr_workgroup_info 0
		.amdhsa_system_vgpr_workitem_id 0
		.amdhsa_next_free_vgpr 40
		.amdhsa_next_free_sgpr 20
		.amdhsa_accum_offset 40
		.amdhsa_reserve_vcc 1
		.amdhsa_float_round_mode_32 0
		.amdhsa_float_round_mode_16_64 0
		.amdhsa_float_denorm_mode_32 3
		.amdhsa_float_denorm_mode_16_64 3
		.amdhsa_dx10_clamp 1
		.amdhsa_ieee_mode 1
		.amdhsa_fp16_overflow 0
		.amdhsa_tg_split 0
		.amdhsa_exception_fp_ieee_invalid_op 0
		.amdhsa_exception_fp_denorm_src 0
		.amdhsa_exception_fp_ieee_div_zero 0
		.amdhsa_exception_fp_ieee_overflow 0
		.amdhsa_exception_fp_ieee_underflow 0
		.amdhsa_exception_fp_ieee_inexact 0
		.amdhsa_exception_int_div_zero 0
	.end_amdhsa_kernel
	.section	.text._ZN9rocsparseL19gebsrmvn_2xn_kernelILj128ELj6ELj8EfEEvi20rocsparse_direction_NS_24const_host_device_scalarIT2_EEPKiS6_PKS3_S8_S4_PS3_21rocsparse_index_base_b,"axG",@progbits,_ZN9rocsparseL19gebsrmvn_2xn_kernelILj128ELj6ELj8EfEEvi20rocsparse_direction_NS_24const_host_device_scalarIT2_EEPKiS6_PKS3_S8_S4_PS3_21rocsparse_index_base_b,comdat
.Lfunc_end21:
	.size	_ZN9rocsparseL19gebsrmvn_2xn_kernelILj128ELj6ELj8EfEEvi20rocsparse_direction_NS_24const_host_device_scalarIT2_EEPKiS6_PKS3_S8_S4_PS3_21rocsparse_index_base_b, .Lfunc_end21-_ZN9rocsparseL19gebsrmvn_2xn_kernelILj128ELj6ELj8EfEEvi20rocsparse_direction_NS_24const_host_device_scalarIT2_EEPKiS6_PKS3_S8_S4_PS3_21rocsparse_index_base_b
                                        ; -- End function
	.section	.AMDGPU.csdata,"",@progbits
; Kernel info:
; codeLenInByte = 1232
; NumSgprs: 26
; NumVgprs: 40
; NumAgprs: 0
; TotalNumVgprs: 40
; ScratchSize: 0
; MemoryBound: 0
; FloatMode: 240
; IeeeMode: 1
; LDSByteSize: 0 bytes/workgroup (compile time only)
; SGPRBlocks: 3
; VGPRBlocks: 4
; NumSGPRsForWavesPerEU: 26
; NumVGPRsForWavesPerEU: 40
; AccumOffset: 40
; Occupancy: 8
; WaveLimiterHint : 1
; COMPUTE_PGM_RSRC2:SCRATCH_EN: 0
; COMPUTE_PGM_RSRC2:USER_SGPR: 2
; COMPUTE_PGM_RSRC2:TRAP_HANDLER: 0
; COMPUTE_PGM_RSRC2:TGID_X_EN: 1
; COMPUTE_PGM_RSRC2:TGID_Y_EN: 0
; COMPUTE_PGM_RSRC2:TGID_Z_EN: 0
; COMPUTE_PGM_RSRC2:TIDIG_COMP_CNT: 0
; COMPUTE_PGM_RSRC3_GFX90A:ACCUM_OFFSET: 9
; COMPUTE_PGM_RSRC3_GFX90A:TG_SPLIT: 0
	.section	.text._ZN9rocsparseL19gebsrmvn_2xn_kernelILj128ELj6ELj16EfEEvi20rocsparse_direction_NS_24const_host_device_scalarIT2_EEPKiS6_PKS3_S8_S4_PS3_21rocsparse_index_base_b,"axG",@progbits,_ZN9rocsparseL19gebsrmvn_2xn_kernelILj128ELj6ELj16EfEEvi20rocsparse_direction_NS_24const_host_device_scalarIT2_EEPKiS6_PKS3_S8_S4_PS3_21rocsparse_index_base_b,comdat
	.globl	_ZN9rocsparseL19gebsrmvn_2xn_kernelILj128ELj6ELj16EfEEvi20rocsparse_direction_NS_24const_host_device_scalarIT2_EEPKiS6_PKS3_S8_S4_PS3_21rocsparse_index_base_b ; -- Begin function _ZN9rocsparseL19gebsrmvn_2xn_kernelILj128ELj6ELj16EfEEvi20rocsparse_direction_NS_24const_host_device_scalarIT2_EEPKiS6_PKS3_S8_S4_PS3_21rocsparse_index_base_b
	.p2align	8
	.type	_ZN9rocsparseL19gebsrmvn_2xn_kernelILj128ELj6ELj16EfEEvi20rocsparse_direction_NS_24const_host_device_scalarIT2_EEPKiS6_PKS3_S8_S4_PS3_21rocsparse_index_base_b,@function
_ZN9rocsparseL19gebsrmvn_2xn_kernelILj128ELj6ELj16EfEEvi20rocsparse_direction_NS_24const_host_device_scalarIT2_EEPKiS6_PKS3_S8_S4_PS3_21rocsparse_index_base_b: ; @_ZN9rocsparseL19gebsrmvn_2xn_kernelILj128ELj6ELj16EfEEvi20rocsparse_direction_NS_24const_host_device_scalarIT2_EEPKiS6_PKS3_S8_S4_PS3_21rocsparse_index_base_b
; %bb.0:
	s_load_dwordx2 s[16:17], s[0:1], 0x40
	s_load_dwordx2 s[14:15], s[0:1], 0x8
	;; [unrolled: 1-line block ×3, first 2 shown]
	s_waitcnt lgkmcnt(0)
	s_bitcmp1_b32 s17, 0
	s_cselect_b64 s[6:7], -1, 0
	s_xor_b64 s[4:5], s[6:7], -1
	s_and_b64 vcc, exec, s[6:7]
	s_cbranch_vccnz .LBB22_2
; %bb.1:
	s_load_dword s14, s[14:15], 0x0
.LBB22_2:
	s_andn2_b64 vcc, exec, s[4:5]
	s_cbranch_vccnz .LBB22_4
; %bb.3:
	s_load_dword s12, s[12:13], 0x0
.LBB22_4:
	s_waitcnt lgkmcnt(0)
	v_cmp_eq_f32_e64 s[4:5], s14, 0
	v_cmp_eq_f32_e64 s[6:7], s12, 1.0
	s_and_b64 s[4:5], s[4:5], s[6:7]
	s_and_b64 vcc, exec, s[4:5]
	s_cbranch_vccnz .LBB22_22
; %bb.5:
	s_load_dwordx2 s[18:19], s[0:1], 0x0
	v_lshrrev_b32_e32 v1, 4, v0
	v_lshl_or_b32 v2, s2, 3, v1
	s_waitcnt lgkmcnt(0)
	v_cmp_gt_i32_e32 vcc, s18, v2
	s_and_saveexec_b64 s[2:3], vcc
	s_cbranch_execz .LBB22_22
; %bb.6:
	s_load_dwordx8 s[4:11], s[0:1], 0x10
	v_ashrrev_i32_e32 v3, 31, v2
	s_cmp_lg_u32 s19, 0
	s_waitcnt lgkmcnt(0)
	v_lshl_add_u64 v[4:5], v[2:3], 2, s[4:5]
	global_load_dwordx2 v[4:5], v[4:5], off
	v_and_b32_e32 v3, 15, v0
	s_waitcnt vmcnt(0)
	v_subrev_u32_e32 v0, s16, v4
	v_subrev_u32_e32 v12, s16, v5
	v_add_u32_e32 v0, v0, v3
	v_cmp_lt_i32_e64 s[2:3], v0, v12
	s_cbranch_scc0 .LBB22_12
; %bb.7:
	v_mov_b32_e32 v5, 0
	v_mov_b32_e32 v4, v5
	s_and_saveexec_b64 s[4:5], s[2:3]
	s_cbranch_execz .LBB22_11
; %bb.8:
	v_mad_u64_u32 v[6:7], s[18:19], v0, 12, 10
	v_mov_b32_e32 v9, 0
	s_mov_b64 s[18:19], 0
	v_mov_b32_e32 v10, v0
	v_mov_b32_e32 v4, v9
	v_mov_b32_e32 v5, v9
.LBB22_9:                               ; =>This Inner Loop Header: Depth=1
	v_ashrrev_i32_e32 v11, 31, v10
	v_lshl_add_u64 v[14:15], v[10:11], 2, s[6:7]
	global_load_dword v1, v[14:15], off
	v_add_u32_e32 v8, -10, v6
	v_mov_b32_e32 v19, v9
	v_lshl_add_u64 v[14:15], v[8:9], 2, s[8:9]
	v_add_u32_e32 v8, -6, v6
	global_load_dwordx4 v[14:17], v[14:15], off
	v_lshl_add_u64 v[22:23], v[8:9], 2, s[8:9]
	global_load_dwordx2 v[22:23], v[22:23], off
	v_mov_b32_e32 v7, v9
	v_lshl_add_u64 v[20:21], v[6:7], 2, s[8:9]
	v_add_u32_e32 v10, 16, v10
	v_cmp_ge_i32_e32 vcc, v10, v12
	s_or_b64 s[18:19], vcc, s[18:19]
	s_waitcnt vmcnt(2)
	v_subrev_u32_e32 v1, s16, v1
	v_mul_lo_u32 v18, v1, 6
	v_lshl_add_u64 v[24:25], v[18:19], 2, s[10:11]
	v_add_u32_e32 v8, 2, v18
	global_load_dwordx2 v[24:25], v[24:25], off
	v_lshl_add_u64 v[26:27], v[8:9], 2, s[10:11]
	global_load_dwordx2 v[26:27], v[26:27], off
	v_add_u32_e32 v8, -4, v6
	v_lshl_add_u64 v[28:29], v[8:9], 2, s[8:9]
	v_add_u32_e32 v8, -2, v6
	v_lshl_add_u64 v[30:31], v[8:9], 2, s[8:9]
	v_add_u32_e32 v8, 4, v18
	global_load_dwordx2 v[18:19], v[28:29], off
	global_load_dwordx2 v[32:33], v[30:31], off
	v_lshl_add_u64 v[28:29], v[8:9], 2, s[10:11]
	global_load_dwordx2 v[30:31], v[28:29], off
	global_load_dwordx2 v[34:35], v[20:21], off
	v_add_u32_e32 v6, 0xc0, v6
	s_waitcnt vmcnt(5)
	v_pk_fma_f32 v[4:5], v[14:15], v[24:25], v[4:5] op_sel_hi:[1,0,1]
	s_nop 0
	v_pk_fma_f32 v[4:5], v[16:17], v[24:25], v[4:5] op_sel:[0,1,0]
	s_waitcnt vmcnt(4)
	v_pk_fma_f32 v[4:5], v[22:23], v[26:27], v[4:5] op_sel_hi:[1,0,1]
	s_waitcnt vmcnt(3)
	v_pk_fma_f32 v[4:5], v[18:19], v[26:27], v[4:5] op_sel:[0,1,0]
	s_waitcnt vmcnt(1)
	v_pk_fma_f32 v[4:5], v[32:33], v[30:31], v[4:5] op_sel_hi:[1,0,1]
	s_waitcnt vmcnt(0)
	v_pk_fma_f32 v[4:5], v[34:35], v[30:31], v[4:5] op_sel:[0,1,0]
	s_andn2_b64 exec, exec, s[18:19]
	s_cbranch_execnz .LBB22_9
; %bb.10:
	s_or_b64 exec, exec, s[18:19]
.LBB22_11:
	s_or_b64 exec, exec, s[4:5]
	s_cbranch_execz .LBB22_13
	s_branch .LBB22_18
.LBB22_12:
                                        ; implicit-def: $vgpr5
.LBB22_13:
	v_mov_b32_e32 v5, 0
	v_mov_b32_e32 v4, v5
	s_and_saveexec_b64 s[4:5], s[2:3]
	s_cbranch_execz .LBB22_17
; %bb.14:
	v_mad_u64_u32 v[6:7], s[2:3], v0, 12, 11
	v_mov_b32_e32 v9, 0
	s_mov_b64 s[2:3], 0
	v_mov_b32_e32 v4, v9
	v_mov_b32_e32 v5, v9
.LBB22_15:                              ; =>This Inner Loop Header: Depth=1
	v_ashrrev_i32_e32 v1, 31, v0
	v_lshl_add_u64 v[10:11], v[0:1], 2, s[6:7]
	global_load_dword v1, v[10:11], off
	v_add_u32_e32 v8, -11, v6
	v_add_u32_e32 v10, -5, v6
	v_mov_b32_e32 v11, v9
	v_lshl_add_u64 v[14:15], v[8:9], 2, s[8:9]
	v_add_u32_e32 v8, -4, v6
	v_mov_b32_e32 v19, v9
	v_lshl_add_u64 v[10:11], v[10:11], 2, s[8:9]
	v_lshl_add_u64 v[22:23], v[8:9], 2, s[8:9]
	global_load_dwordx4 v[14:17], v[14:15], off
	s_nop 0
	global_load_dword v25, v[10:11], off
	global_load_dword v27, v[22:23], off
	v_mov_b32_e32 v7, v9
	v_lshl_add_u64 v[20:21], v[6:7], 2, s[8:9]
	v_add_u32_e32 v0, 16, v0
	v_cmp_ge_i32_e32 vcc, v0, v12
	s_or_b64 s[2:3], vcc, s[2:3]
	s_waitcnt vmcnt(3)
	v_subrev_u32_e32 v1, s16, v1
	v_mul_lo_u32 v18, v1, 6
	v_add_u32_e32 v8, 2, v18
	v_lshl_add_u64 v[10:11], v[18:19], 2, s[10:11]
	v_lshl_add_u64 v[22:23], v[8:9], 2, s[10:11]
	v_add_u32_e32 v8, -3, v6
	global_load_dwordx2 v[10:11], v[10:11], off
	v_lshl_add_u64 v[28:29], v[8:9], 2, s[8:9]
	global_load_dwordx2 v[22:23], v[22:23], off
	v_add_u32_e32 v8, -2, v6
	v_lshl_add_u64 v[30:31], v[8:9], 2, s[8:9]
	v_add_u32_e32 v8, -7, v6
	global_load_dword v19, v[28:29], off
	v_lshl_add_u64 v[28:29], v[8:9], 2, s[8:9]
	v_add_u32_e32 v8, 4, v18
	global_load_dword v33, v[30:31], off
	global_load_dword v34, v[28:29], off
	v_lshl_add_u64 v[28:29], v[8:9], 2, s[10:11]
	v_add_u32_e32 v8, -1, v6
	global_load_dwordx2 v[28:29], v[28:29], off
	v_lshl_add_u64 v[30:31], v[8:9], 2, s[8:9]
	v_add_u32_e32 v8, -6, v6
	v_lshl_add_u64 v[36:37], v[8:9], 2, s[8:9]
	global_load_dword v35, v[30:31], off
	global_load_dword v38, v[36:37], off
	;; [unrolled: 1-line block ×3, first 2 shown]
	s_waitcnt vmcnt(11)
	v_mov_b32_e32 v24, v14
	v_mov_b32_e32 v26, v15
	;; [unrolled: 1-line block ×4, first 2 shown]
	v_add_u32_e32 v6, 0xc0, v6
	s_waitcnt vmcnt(8)
	v_pk_fma_f32 v[4:5], v[24:25], v[10:11], v[4:5] op_sel_hi:[1,0,1]
	s_nop 0
	v_pk_fma_f32 v[4:5], v[26:27], v[10:11], v[4:5] op_sel:[0,1,0]
	s_waitcnt vmcnt(6)
	v_pk_fma_f32 v[4:5], v[18:19], v[22:23], v[4:5] op_sel_hi:[1,0,1]
	s_waitcnt vmcnt(5)
	v_pk_fma_f32 v[4:5], v[32:33], v[22:23], v[4:5] op_sel:[0,1,0]
	s_waitcnt vmcnt(2)
	v_pk_fma_f32 v[4:5], v[34:35], v[28:29], v[4:5] op_sel_hi:[1,0,1]
	s_waitcnt vmcnt(0)
	v_pk_fma_f32 v[4:5], v[38:39], v[28:29], v[4:5] op_sel:[0,1,0]
	s_andn2_b64 exec, exec, s[2:3]
	s_cbranch_execnz .LBB22_15
; %bb.16:
	s_or_b64 exec, exec, s[2:3]
.LBB22_17:
	s_or_b64 exec, exec, s[4:5]
.LBB22_18:
	v_mov_b32_dpp v0, v4 row_shr:1 row_mask:0xf bank_mask:0xf
	v_mov_b32_dpp v1, v5 row_shr:1 row_mask:0xf bank_mask:0xf
	v_pk_add_f32 v[0:1], v[4:5], v[0:1]
	v_cmp_eq_u32_e32 vcc, 15, v3
	s_nop 0
	v_mov_b32_dpp v4, v0 row_shr:2 row_mask:0xf bank_mask:0xf
	v_mov_b32_dpp v5, v1 row_shr:2 row_mask:0xf bank_mask:0xf
	v_pk_add_f32 v[0:1], v[0:1], v[4:5]
	s_nop 1
	v_mov_b32_dpp v4, v0 row_shr:4 row_mask:0xf bank_mask:0xe
	v_mov_b32_dpp v5, v1 row_shr:4 row_mask:0xf bank_mask:0xe
	v_pk_add_f32 v[0:1], v[0:1], v[4:5]
	s_nop 1
	v_mov_b32_dpp v4, v0 row_shr:8 row_mask:0xf bank_mask:0xc
	v_mov_b32_dpp v5, v1 row_shr:8 row_mask:0xf bank_mask:0xc
	s_and_b64 exec, exec, vcc
	s_cbranch_execz .LBB22_22
; %bb.19:
	s_load_dwordx2 s[0:1], s[0:1], 0x38
	v_cmp_eq_f32_e64 s[2:3], s12, 0
	v_pk_add_f32 v[0:1], v[0:1], v[4:5]
	s_and_b64 vcc, exec, s[2:3]
	v_lshlrev_b32_e32 v2, 1, v2
	s_cbranch_vccz .LBB22_23
; %bb.20:
	v_ashrrev_i32_e32 v3, 31, v2
	s_waitcnt lgkmcnt(0)
	v_lshl_add_u64 v[4:5], v[2:3], 2, s[0:1]
	v_pk_mul_f32 v[6:7], s[14:15], v[0:1] op_sel_hi:[0,1]
	global_store_dwordx2 v[4:5], v[6:7], off
	s_cbranch_execnz .LBB22_22
.LBB22_21:
	v_ashrrev_i32_e32 v3, 31, v2
	s_waitcnt lgkmcnt(0)
	v_lshl_add_u64 v[2:3], v[2:3], 2, s[0:1]
	global_load_dwordx2 v[4:5], v[2:3], off
	v_pk_mul_f32 v[0:1], s[14:15], v[0:1] op_sel_hi:[0,1]
	s_waitcnt vmcnt(0)
	v_pk_fma_f32 v[0:1], s[12:13], v[4:5], v[0:1] op_sel_hi:[0,1,1]
	global_store_dwordx2 v[2:3], v[0:1], off
.LBB22_22:
	s_endpgm
.LBB22_23:
	s_branch .LBB22_21
	.section	.rodata,"a",@progbits
	.p2align	6, 0x0
	.amdhsa_kernel _ZN9rocsparseL19gebsrmvn_2xn_kernelILj128ELj6ELj16EfEEvi20rocsparse_direction_NS_24const_host_device_scalarIT2_EEPKiS6_PKS3_S8_S4_PS3_21rocsparse_index_base_b
		.amdhsa_group_segment_fixed_size 0
		.amdhsa_private_segment_fixed_size 0
		.amdhsa_kernarg_size 72
		.amdhsa_user_sgpr_count 2
		.amdhsa_user_sgpr_dispatch_ptr 0
		.amdhsa_user_sgpr_queue_ptr 0
		.amdhsa_user_sgpr_kernarg_segment_ptr 1
		.amdhsa_user_sgpr_dispatch_id 0
		.amdhsa_user_sgpr_kernarg_preload_length 0
		.amdhsa_user_sgpr_kernarg_preload_offset 0
		.amdhsa_user_sgpr_private_segment_size 0
		.amdhsa_uses_dynamic_stack 0
		.amdhsa_enable_private_segment 0
		.amdhsa_system_sgpr_workgroup_id_x 1
		.amdhsa_system_sgpr_workgroup_id_y 0
		.amdhsa_system_sgpr_workgroup_id_z 0
		.amdhsa_system_sgpr_workgroup_info 0
		.amdhsa_system_vgpr_workitem_id 0
		.amdhsa_next_free_vgpr 40
		.amdhsa_next_free_sgpr 20
		.amdhsa_accum_offset 40
		.amdhsa_reserve_vcc 1
		.amdhsa_float_round_mode_32 0
		.amdhsa_float_round_mode_16_64 0
		.amdhsa_float_denorm_mode_32 3
		.amdhsa_float_denorm_mode_16_64 3
		.amdhsa_dx10_clamp 1
		.amdhsa_ieee_mode 1
		.amdhsa_fp16_overflow 0
		.amdhsa_tg_split 0
		.amdhsa_exception_fp_ieee_invalid_op 0
		.amdhsa_exception_fp_denorm_src 0
		.amdhsa_exception_fp_ieee_div_zero 0
		.amdhsa_exception_fp_ieee_overflow 0
		.amdhsa_exception_fp_ieee_underflow 0
		.amdhsa_exception_fp_ieee_inexact 0
		.amdhsa_exception_int_div_zero 0
	.end_amdhsa_kernel
	.section	.text._ZN9rocsparseL19gebsrmvn_2xn_kernelILj128ELj6ELj16EfEEvi20rocsparse_direction_NS_24const_host_device_scalarIT2_EEPKiS6_PKS3_S8_S4_PS3_21rocsparse_index_base_b,"axG",@progbits,_ZN9rocsparseL19gebsrmvn_2xn_kernelILj128ELj6ELj16EfEEvi20rocsparse_direction_NS_24const_host_device_scalarIT2_EEPKiS6_PKS3_S8_S4_PS3_21rocsparse_index_base_b,comdat
.Lfunc_end22:
	.size	_ZN9rocsparseL19gebsrmvn_2xn_kernelILj128ELj6ELj16EfEEvi20rocsparse_direction_NS_24const_host_device_scalarIT2_EEPKiS6_PKS3_S8_S4_PS3_21rocsparse_index_base_b, .Lfunc_end22-_ZN9rocsparseL19gebsrmvn_2xn_kernelILj128ELj6ELj16EfEEvi20rocsparse_direction_NS_24const_host_device_scalarIT2_EEPKiS6_PKS3_S8_S4_PS3_21rocsparse_index_base_b
                                        ; -- End function
	.section	.AMDGPU.csdata,"",@progbits
; Kernel info:
; codeLenInByte = 1260
; NumSgprs: 26
; NumVgprs: 40
; NumAgprs: 0
; TotalNumVgprs: 40
; ScratchSize: 0
; MemoryBound: 0
; FloatMode: 240
; IeeeMode: 1
; LDSByteSize: 0 bytes/workgroup (compile time only)
; SGPRBlocks: 3
; VGPRBlocks: 4
; NumSGPRsForWavesPerEU: 26
; NumVGPRsForWavesPerEU: 40
; AccumOffset: 40
; Occupancy: 8
; WaveLimiterHint : 1
; COMPUTE_PGM_RSRC2:SCRATCH_EN: 0
; COMPUTE_PGM_RSRC2:USER_SGPR: 2
; COMPUTE_PGM_RSRC2:TRAP_HANDLER: 0
; COMPUTE_PGM_RSRC2:TGID_X_EN: 1
; COMPUTE_PGM_RSRC2:TGID_Y_EN: 0
; COMPUTE_PGM_RSRC2:TGID_Z_EN: 0
; COMPUTE_PGM_RSRC2:TIDIG_COMP_CNT: 0
; COMPUTE_PGM_RSRC3_GFX90A:ACCUM_OFFSET: 9
; COMPUTE_PGM_RSRC3_GFX90A:TG_SPLIT: 0
	.section	.text._ZN9rocsparseL19gebsrmvn_2xn_kernelILj128ELj6ELj32EfEEvi20rocsparse_direction_NS_24const_host_device_scalarIT2_EEPKiS6_PKS3_S8_S4_PS3_21rocsparse_index_base_b,"axG",@progbits,_ZN9rocsparseL19gebsrmvn_2xn_kernelILj128ELj6ELj32EfEEvi20rocsparse_direction_NS_24const_host_device_scalarIT2_EEPKiS6_PKS3_S8_S4_PS3_21rocsparse_index_base_b,comdat
	.globl	_ZN9rocsparseL19gebsrmvn_2xn_kernelILj128ELj6ELj32EfEEvi20rocsparse_direction_NS_24const_host_device_scalarIT2_EEPKiS6_PKS3_S8_S4_PS3_21rocsparse_index_base_b ; -- Begin function _ZN9rocsparseL19gebsrmvn_2xn_kernelILj128ELj6ELj32EfEEvi20rocsparse_direction_NS_24const_host_device_scalarIT2_EEPKiS6_PKS3_S8_S4_PS3_21rocsparse_index_base_b
	.p2align	8
	.type	_ZN9rocsparseL19gebsrmvn_2xn_kernelILj128ELj6ELj32EfEEvi20rocsparse_direction_NS_24const_host_device_scalarIT2_EEPKiS6_PKS3_S8_S4_PS3_21rocsparse_index_base_b,@function
_ZN9rocsparseL19gebsrmvn_2xn_kernelILj128ELj6ELj32EfEEvi20rocsparse_direction_NS_24const_host_device_scalarIT2_EEPKiS6_PKS3_S8_S4_PS3_21rocsparse_index_base_b: ; @_ZN9rocsparseL19gebsrmvn_2xn_kernelILj128ELj6ELj32EfEEvi20rocsparse_direction_NS_24const_host_device_scalarIT2_EEPKiS6_PKS3_S8_S4_PS3_21rocsparse_index_base_b
; %bb.0:
	s_load_dwordx2 s[16:17], s[0:1], 0x40
	s_load_dwordx2 s[14:15], s[0:1], 0x8
	;; [unrolled: 1-line block ×3, first 2 shown]
	s_waitcnt lgkmcnt(0)
	s_bitcmp1_b32 s17, 0
	s_cselect_b64 s[6:7], -1, 0
	s_xor_b64 s[4:5], s[6:7], -1
	s_and_b64 vcc, exec, s[6:7]
	s_cbranch_vccnz .LBB23_2
; %bb.1:
	s_load_dword s14, s[14:15], 0x0
.LBB23_2:
	s_andn2_b64 vcc, exec, s[4:5]
	s_cbranch_vccnz .LBB23_4
; %bb.3:
	s_load_dword s12, s[12:13], 0x0
.LBB23_4:
	s_waitcnt lgkmcnt(0)
	v_cmp_eq_f32_e64 s[4:5], s14, 0
	v_cmp_eq_f32_e64 s[6:7], s12, 1.0
	s_and_b64 s[4:5], s[4:5], s[6:7]
	s_and_b64 vcc, exec, s[4:5]
	s_cbranch_vccnz .LBB23_22
; %bb.5:
	s_load_dwordx2 s[18:19], s[0:1], 0x0
	v_lshrrev_b32_e32 v1, 5, v0
	v_lshl_or_b32 v2, s2, 2, v1
	s_waitcnt lgkmcnt(0)
	v_cmp_gt_i32_e32 vcc, s18, v2
	s_and_saveexec_b64 s[2:3], vcc
	s_cbranch_execz .LBB23_22
; %bb.6:
	s_load_dwordx8 s[4:11], s[0:1], 0x10
	v_ashrrev_i32_e32 v3, 31, v2
	s_cmp_lg_u32 s19, 0
	s_waitcnt lgkmcnt(0)
	v_lshl_add_u64 v[4:5], v[2:3], 2, s[4:5]
	global_load_dwordx2 v[4:5], v[4:5], off
	v_and_b32_e32 v3, 31, v0
	s_waitcnt vmcnt(0)
	v_subrev_u32_e32 v0, s16, v4
	v_subrev_u32_e32 v12, s16, v5
	v_add_u32_e32 v0, v0, v3
	v_cmp_lt_i32_e64 s[2:3], v0, v12
	s_cbranch_scc0 .LBB23_12
; %bb.7:
	v_mov_b32_e32 v5, 0
	v_mov_b32_e32 v4, v5
	s_and_saveexec_b64 s[4:5], s[2:3]
	s_cbranch_execz .LBB23_11
; %bb.8:
	v_mad_u64_u32 v[6:7], s[18:19], v0, 12, 10
	v_mov_b32_e32 v9, 0
	s_mov_b64 s[18:19], 0
	v_mov_b32_e32 v10, v0
	v_mov_b32_e32 v4, v9
	;; [unrolled: 1-line block ×3, first 2 shown]
.LBB23_9:                               ; =>This Inner Loop Header: Depth=1
	v_ashrrev_i32_e32 v11, 31, v10
	v_lshl_add_u64 v[14:15], v[10:11], 2, s[6:7]
	global_load_dword v1, v[14:15], off
	v_add_u32_e32 v8, -10, v6
	v_mov_b32_e32 v19, v9
	v_lshl_add_u64 v[14:15], v[8:9], 2, s[8:9]
	v_add_u32_e32 v8, -6, v6
	global_load_dwordx4 v[14:17], v[14:15], off
	v_lshl_add_u64 v[22:23], v[8:9], 2, s[8:9]
	global_load_dwordx2 v[22:23], v[22:23], off
	v_mov_b32_e32 v7, v9
	v_lshl_add_u64 v[20:21], v[6:7], 2, s[8:9]
	v_add_u32_e32 v10, 32, v10
	v_cmp_ge_i32_e32 vcc, v10, v12
	s_or_b64 s[18:19], vcc, s[18:19]
	s_waitcnt vmcnt(2)
	v_subrev_u32_e32 v1, s16, v1
	v_mul_lo_u32 v18, v1, 6
	v_lshl_add_u64 v[24:25], v[18:19], 2, s[10:11]
	v_add_u32_e32 v8, 2, v18
	global_load_dwordx2 v[24:25], v[24:25], off
	v_lshl_add_u64 v[26:27], v[8:9], 2, s[10:11]
	global_load_dwordx2 v[26:27], v[26:27], off
	v_add_u32_e32 v8, -4, v6
	v_lshl_add_u64 v[28:29], v[8:9], 2, s[8:9]
	v_add_u32_e32 v8, -2, v6
	v_lshl_add_u64 v[30:31], v[8:9], 2, s[8:9]
	v_add_u32_e32 v8, 4, v18
	global_load_dwordx2 v[18:19], v[28:29], off
	global_load_dwordx2 v[32:33], v[30:31], off
	v_lshl_add_u64 v[28:29], v[8:9], 2, s[10:11]
	global_load_dwordx2 v[30:31], v[28:29], off
	global_load_dwordx2 v[34:35], v[20:21], off
	v_add_u32_e32 v6, 0x180, v6
	s_waitcnt vmcnt(5)
	v_pk_fma_f32 v[4:5], v[14:15], v[24:25], v[4:5] op_sel_hi:[1,0,1]
	s_nop 0
	v_pk_fma_f32 v[4:5], v[16:17], v[24:25], v[4:5] op_sel:[0,1,0]
	s_waitcnt vmcnt(4)
	v_pk_fma_f32 v[4:5], v[22:23], v[26:27], v[4:5] op_sel_hi:[1,0,1]
	s_waitcnt vmcnt(3)
	v_pk_fma_f32 v[4:5], v[18:19], v[26:27], v[4:5] op_sel:[0,1,0]
	s_waitcnt vmcnt(1)
	v_pk_fma_f32 v[4:5], v[32:33], v[30:31], v[4:5] op_sel_hi:[1,0,1]
	s_waitcnt vmcnt(0)
	v_pk_fma_f32 v[4:5], v[34:35], v[30:31], v[4:5] op_sel:[0,1,0]
	s_andn2_b64 exec, exec, s[18:19]
	s_cbranch_execnz .LBB23_9
; %bb.10:
	s_or_b64 exec, exec, s[18:19]
.LBB23_11:
	s_or_b64 exec, exec, s[4:5]
	s_cbranch_execz .LBB23_13
	s_branch .LBB23_18
.LBB23_12:
                                        ; implicit-def: $vgpr5
.LBB23_13:
	v_mov_b32_e32 v5, 0
	v_mov_b32_e32 v4, v5
	s_and_saveexec_b64 s[4:5], s[2:3]
	s_cbranch_execz .LBB23_17
; %bb.14:
	v_mad_u64_u32 v[6:7], s[2:3], v0, 12, 11
	v_mov_b32_e32 v9, 0
	s_mov_b64 s[2:3], 0
	v_mov_b32_e32 v4, v9
	v_mov_b32_e32 v5, v9
.LBB23_15:                              ; =>This Inner Loop Header: Depth=1
	v_ashrrev_i32_e32 v1, 31, v0
	v_lshl_add_u64 v[10:11], v[0:1], 2, s[6:7]
	global_load_dword v1, v[10:11], off
	v_add_u32_e32 v8, -11, v6
	v_add_u32_e32 v10, -5, v6
	v_mov_b32_e32 v11, v9
	v_lshl_add_u64 v[14:15], v[8:9], 2, s[8:9]
	v_add_u32_e32 v8, -4, v6
	v_mov_b32_e32 v19, v9
	v_lshl_add_u64 v[10:11], v[10:11], 2, s[8:9]
	v_lshl_add_u64 v[22:23], v[8:9], 2, s[8:9]
	global_load_dwordx4 v[14:17], v[14:15], off
	s_nop 0
	global_load_dword v25, v[10:11], off
	global_load_dword v27, v[22:23], off
	v_mov_b32_e32 v7, v9
	v_lshl_add_u64 v[20:21], v[6:7], 2, s[8:9]
	v_add_u32_e32 v0, 32, v0
	v_cmp_ge_i32_e32 vcc, v0, v12
	s_or_b64 s[2:3], vcc, s[2:3]
	s_waitcnt vmcnt(3)
	v_subrev_u32_e32 v1, s16, v1
	v_mul_lo_u32 v18, v1, 6
	v_add_u32_e32 v8, 2, v18
	v_lshl_add_u64 v[10:11], v[18:19], 2, s[10:11]
	v_lshl_add_u64 v[22:23], v[8:9], 2, s[10:11]
	v_add_u32_e32 v8, -3, v6
	global_load_dwordx2 v[10:11], v[10:11], off
	v_lshl_add_u64 v[28:29], v[8:9], 2, s[8:9]
	global_load_dwordx2 v[22:23], v[22:23], off
	v_add_u32_e32 v8, -2, v6
	v_lshl_add_u64 v[30:31], v[8:9], 2, s[8:9]
	v_add_u32_e32 v8, -7, v6
	global_load_dword v19, v[28:29], off
	v_lshl_add_u64 v[28:29], v[8:9], 2, s[8:9]
	v_add_u32_e32 v8, 4, v18
	global_load_dword v33, v[30:31], off
	global_load_dword v34, v[28:29], off
	v_lshl_add_u64 v[28:29], v[8:9], 2, s[10:11]
	v_add_u32_e32 v8, -1, v6
	global_load_dwordx2 v[28:29], v[28:29], off
	v_lshl_add_u64 v[30:31], v[8:9], 2, s[8:9]
	v_add_u32_e32 v8, -6, v6
	v_lshl_add_u64 v[36:37], v[8:9], 2, s[8:9]
	global_load_dword v35, v[30:31], off
	global_load_dword v38, v[36:37], off
	;; [unrolled: 1-line block ×3, first 2 shown]
	s_waitcnt vmcnt(11)
	v_mov_b32_e32 v24, v14
	v_mov_b32_e32 v26, v15
	;; [unrolled: 1-line block ×4, first 2 shown]
	v_add_u32_e32 v6, 0x180, v6
	s_waitcnt vmcnt(8)
	v_pk_fma_f32 v[4:5], v[24:25], v[10:11], v[4:5] op_sel_hi:[1,0,1]
	s_nop 0
	v_pk_fma_f32 v[4:5], v[26:27], v[10:11], v[4:5] op_sel:[0,1,0]
	s_waitcnt vmcnt(6)
	v_pk_fma_f32 v[4:5], v[18:19], v[22:23], v[4:5] op_sel_hi:[1,0,1]
	s_waitcnt vmcnt(5)
	v_pk_fma_f32 v[4:5], v[32:33], v[22:23], v[4:5] op_sel:[0,1,0]
	s_waitcnt vmcnt(2)
	v_pk_fma_f32 v[4:5], v[34:35], v[28:29], v[4:5] op_sel_hi:[1,0,1]
	s_waitcnt vmcnt(0)
	v_pk_fma_f32 v[4:5], v[38:39], v[28:29], v[4:5] op_sel:[0,1,0]
	s_andn2_b64 exec, exec, s[2:3]
	s_cbranch_execnz .LBB23_15
; %bb.16:
	s_or_b64 exec, exec, s[2:3]
.LBB23_17:
	s_or_b64 exec, exec, s[4:5]
.LBB23_18:
	v_mov_b32_dpp v0, v4 row_shr:1 row_mask:0xf bank_mask:0xf
	v_mov_b32_dpp v1, v5 row_shr:1 row_mask:0xf bank_mask:0xf
	v_pk_add_f32 v[0:1], v[4:5], v[0:1]
	v_cmp_eq_u32_e32 vcc, 31, v3
	s_nop 0
	v_mov_b32_dpp v4, v0 row_shr:2 row_mask:0xf bank_mask:0xf
	v_mov_b32_dpp v5, v1 row_shr:2 row_mask:0xf bank_mask:0xf
	v_pk_add_f32 v[0:1], v[0:1], v[4:5]
	s_nop 1
	v_mov_b32_dpp v4, v0 row_shr:4 row_mask:0xf bank_mask:0xe
	v_mov_b32_dpp v5, v1 row_shr:4 row_mask:0xf bank_mask:0xe
	v_pk_add_f32 v[0:1], v[0:1], v[4:5]
	;; [unrolled: 4-line block ×3, first 2 shown]
	s_nop 1
	v_mov_b32_dpp v4, v0 row_bcast:15 row_mask:0xa bank_mask:0xf
	v_mov_b32_dpp v5, v1 row_bcast:15 row_mask:0xa bank_mask:0xf
	s_and_b64 exec, exec, vcc
	s_cbranch_execz .LBB23_22
; %bb.19:
	s_load_dwordx2 s[0:1], s[0:1], 0x38
	v_cmp_eq_f32_e64 s[2:3], s12, 0
	v_pk_add_f32 v[0:1], v[0:1], v[4:5]
	s_and_b64 vcc, exec, s[2:3]
	v_lshlrev_b32_e32 v2, 1, v2
	s_cbranch_vccz .LBB23_23
; %bb.20:
	v_ashrrev_i32_e32 v3, 31, v2
	s_waitcnt lgkmcnt(0)
	v_lshl_add_u64 v[4:5], v[2:3], 2, s[0:1]
	v_pk_mul_f32 v[6:7], s[14:15], v[0:1] op_sel_hi:[0,1]
	global_store_dwordx2 v[4:5], v[6:7], off
	s_cbranch_execnz .LBB23_22
.LBB23_21:
	v_ashrrev_i32_e32 v3, 31, v2
	s_waitcnt lgkmcnt(0)
	v_lshl_add_u64 v[2:3], v[2:3], 2, s[0:1]
	global_load_dwordx2 v[4:5], v[2:3], off
	v_pk_mul_f32 v[0:1], s[14:15], v[0:1] op_sel_hi:[0,1]
	s_waitcnt vmcnt(0)
	v_pk_fma_f32 v[0:1], s[12:13], v[4:5], v[0:1] op_sel_hi:[0,1,1]
	global_store_dwordx2 v[2:3], v[0:1], off
.LBB23_22:
	s_endpgm
.LBB23_23:
	s_branch .LBB23_21
	.section	.rodata,"a",@progbits
	.p2align	6, 0x0
	.amdhsa_kernel _ZN9rocsparseL19gebsrmvn_2xn_kernelILj128ELj6ELj32EfEEvi20rocsparse_direction_NS_24const_host_device_scalarIT2_EEPKiS6_PKS3_S8_S4_PS3_21rocsparse_index_base_b
		.amdhsa_group_segment_fixed_size 0
		.amdhsa_private_segment_fixed_size 0
		.amdhsa_kernarg_size 72
		.amdhsa_user_sgpr_count 2
		.amdhsa_user_sgpr_dispatch_ptr 0
		.amdhsa_user_sgpr_queue_ptr 0
		.amdhsa_user_sgpr_kernarg_segment_ptr 1
		.amdhsa_user_sgpr_dispatch_id 0
		.amdhsa_user_sgpr_kernarg_preload_length 0
		.amdhsa_user_sgpr_kernarg_preload_offset 0
		.amdhsa_user_sgpr_private_segment_size 0
		.amdhsa_uses_dynamic_stack 0
		.amdhsa_enable_private_segment 0
		.amdhsa_system_sgpr_workgroup_id_x 1
		.amdhsa_system_sgpr_workgroup_id_y 0
		.amdhsa_system_sgpr_workgroup_id_z 0
		.amdhsa_system_sgpr_workgroup_info 0
		.amdhsa_system_vgpr_workitem_id 0
		.amdhsa_next_free_vgpr 40
		.amdhsa_next_free_sgpr 20
		.amdhsa_accum_offset 40
		.amdhsa_reserve_vcc 1
		.amdhsa_float_round_mode_32 0
		.amdhsa_float_round_mode_16_64 0
		.amdhsa_float_denorm_mode_32 3
		.amdhsa_float_denorm_mode_16_64 3
		.amdhsa_dx10_clamp 1
		.amdhsa_ieee_mode 1
		.amdhsa_fp16_overflow 0
		.amdhsa_tg_split 0
		.amdhsa_exception_fp_ieee_invalid_op 0
		.amdhsa_exception_fp_denorm_src 0
		.amdhsa_exception_fp_ieee_div_zero 0
		.amdhsa_exception_fp_ieee_overflow 0
		.amdhsa_exception_fp_ieee_underflow 0
		.amdhsa_exception_fp_ieee_inexact 0
		.amdhsa_exception_int_div_zero 0
	.end_amdhsa_kernel
	.section	.text._ZN9rocsparseL19gebsrmvn_2xn_kernelILj128ELj6ELj32EfEEvi20rocsparse_direction_NS_24const_host_device_scalarIT2_EEPKiS6_PKS3_S8_S4_PS3_21rocsparse_index_base_b,"axG",@progbits,_ZN9rocsparseL19gebsrmvn_2xn_kernelILj128ELj6ELj32EfEEvi20rocsparse_direction_NS_24const_host_device_scalarIT2_EEPKiS6_PKS3_S8_S4_PS3_21rocsparse_index_base_b,comdat
.Lfunc_end23:
	.size	_ZN9rocsparseL19gebsrmvn_2xn_kernelILj128ELj6ELj32EfEEvi20rocsparse_direction_NS_24const_host_device_scalarIT2_EEPKiS6_PKS3_S8_S4_PS3_21rocsparse_index_base_b, .Lfunc_end23-_ZN9rocsparseL19gebsrmvn_2xn_kernelILj128ELj6ELj32EfEEvi20rocsparse_direction_NS_24const_host_device_scalarIT2_EEPKiS6_PKS3_S8_S4_PS3_21rocsparse_index_base_b
                                        ; -- End function
	.section	.AMDGPU.csdata,"",@progbits
; Kernel info:
; codeLenInByte = 1288
; NumSgprs: 26
; NumVgprs: 40
; NumAgprs: 0
; TotalNumVgprs: 40
; ScratchSize: 0
; MemoryBound: 0
; FloatMode: 240
; IeeeMode: 1
; LDSByteSize: 0 bytes/workgroup (compile time only)
; SGPRBlocks: 3
; VGPRBlocks: 4
; NumSGPRsForWavesPerEU: 26
; NumVGPRsForWavesPerEU: 40
; AccumOffset: 40
; Occupancy: 8
; WaveLimiterHint : 1
; COMPUTE_PGM_RSRC2:SCRATCH_EN: 0
; COMPUTE_PGM_RSRC2:USER_SGPR: 2
; COMPUTE_PGM_RSRC2:TRAP_HANDLER: 0
; COMPUTE_PGM_RSRC2:TGID_X_EN: 1
; COMPUTE_PGM_RSRC2:TGID_Y_EN: 0
; COMPUTE_PGM_RSRC2:TGID_Z_EN: 0
; COMPUTE_PGM_RSRC2:TIDIG_COMP_CNT: 0
; COMPUTE_PGM_RSRC3_GFX90A:ACCUM_OFFSET: 9
; COMPUTE_PGM_RSRC3_GFX90A:TG_SPLIT: 0
	.section	.text._ZN9rocsparseL19gebsrmvn_2xn_kernelILj128ELj6ELj64EfEEvi20rocsparse_direction_NS_24const_host_device_scalarIT2_EEPKiS6_PKS3_S8_S4_PS3_21rocsparse_index_base_b,"axG",@progbits,_ZN9rocsparseL19gebsrmvn_2xn_kernelILj128ELj6ELj64EfEEvi20rocsparse_direction_NS_24const_host_device_scalarIT2_EEPKiS6_PKS3_S8_S4_PS3_21rocsparse_index_base_b,comdat
	.globl	_ZN9rocsparseL19gebsrmvn_2xn_kernelILj128ELj6ELj64EfEEvi20rocsparse_direction_NS_24const_host_device_scalarIT2_EEPKiS6_PKS3_S8_S4_PS3_21rocsparse_index_base_b ; -- Begin function _ZN9rocsparseL19gebsrmvn_2xn_kernelILj128ELj6ELj64EfEEvi20rocsparse_direction_NS_24const_host_device_scalarIT2_EEPKiS6_PKS3_S8_S4_PS3_21rocsparse_index_base_b
	.p2align	8
	.type	_ZN9rocsparseL19gebsrmvn_2xn_kernelILj128ELj6ELj64EfEEvi20rocsparse_direction_NS_24const_host_device_scalarIT2_EEPKiS6_PKS3_S8_S4_PS3_21rocsparse_index_base_b,@function
_ZN9rocsparseL19gebsrmvn_2xn_kernelILj128ELj6ELj64EfEEvi20rocsparse_direction_NS_24const_host_device_scalarIT2_EEPKiS6_PKS3_S8_S4_PS3_21rocsparse_index_base_b: ; @_ZN9rocsparseL19gebsrmvn_2xn_kernelILj128ELj6ELj64EfEEvi20rocsparse_direction_NS_24const_host_device_scalarIT2_EEPKiS6_PKS3_S8_S4_PS3_21rocsparse_index_base_b
; %bb.0:
	s_load_dwordx2 s[16:17], s[0:1], 0x40
	s_load_dwordx2 s[14:15], s[0:1], 0x8
	;; [unrolled: 1-line block ×3, first 2 shown]
	s_waitcnt lgkmcnt(0)
	s_bitcmp1_b32 s17, 0
	s_cselect_b64 s[6:7], -1, 0
	s_xor_b64 s[4:5], s[6:7], -1
	s_and_b64 vcc, exec, s[6:7]
	s_cbranch_vccnz .LBB24_2
; %bb.1:
	s_load_dword s14, s[14:15], 0x0
.LBB24_2:
	s_andn2_b64 vcc, exec, s[4:5]
	s_cbranch_vccnz .LBB24_4
; %bb.3:
	s_load_dword s12, s[12:13], 0x0
.LBB24_4:
	s_waitcnt lgkmcnt(0)
	v_cmp_eq_f32_e64 s[4:5], s14, 0
	v_cmp_eq_f32_e64 s[6:7], s12, 1.0
	s_and_b64 s[4:5], s[4:5], s[6:7]
	s_and_b64 vcc, exec, s[4:5]
	s_cbranch_vccnz .LBB24_22
; %bb.5:
	s_load_dwordx2 s[18:19], s[0:1], 0x0
	v_lshrrev_b32_e32 v1, 6, v0
	v_lshl_or_b32 v2, s2, 1, v1
	s_waitcnt lgkmcnt(0)
	v_cmp_gt_i32_e32 vcc, s18, v2
	s_and_saveexec_b64 s[2:3], vcc
	s_cbranch_execz .LBB24_22
; %bb.6:
	s_load_dwordx8 s[4:11], s[0:1], 0x10
	v_ashrrev_i32_e32 v3, 31, v2
	s_cmp_lg_u32 s19, 0
	s_waitcnt lgkmcnt(0)
	v_lshl_add_u64 v[4:5], v[2:3], 2, s[4:5]
	global_load_dwordx2 v[4:5], v[4:5], off
	v_and_b32_e32 v3, 63, v0
	s_waitcnt vmcnt(0)
	v_subrev_u32_e32 v0, s16, v4
	v_subrev_u32_e32 v12, s16, v5
	v_add_u32_e32 v0, v0, v3
	v_cmp_lt_i32_e64 s[2:3], v0, v12
	s_cbranch_scc0 .LBB24_12
; %bb.7:
	v_mov_b32_e32 v5, 0
	v_mov_b32_e32 v4, v5
	s_and_saveexec_b64 s[4:5], s[2:3]
	s_cbranch_execz .LBB24_11
; %bb.8:
	v_mad_u64_u32 v[6:7], s[18:19], v0, 12, 10
	v_mov_b32_e32 v9, 0
	s_mov_b64 s[18:19], 0
	v_mov_b32_e32 v10, v0
	v_mov_b32_e32 v4, v9
	;; [unrolled: 1-line block ×3, first 2 shown]
.LBB24_9:                               ; =>This Inner Loop Header: Depth=1
	v_ashrrev_i32_e32 v11, 31, v10
	v_lshl_add_u64 v[14:15], v[10:11], 2, s[6:7]
	global_load_dword v1, v[14:15], off
	v_add_u32_e32 v8, -10, v6
	v_mov_b32_e32 v19, v9
	v_lshl_add_u64 v[14:15], v[8:9], 2, s[8:9]
	v_add_u32_e32 v8, -6, v6
	global_load_dwordx4 v[14:17], v[14:15], off
	v_lshl_add_u64 v[22:23], v[8:9], 2, s[8:9]
	global_load_dwordx2 v[22:23], v[22:23], off
	v_mov_b32_e32 v7, v9
	v_lshl_add_u64 v[20:21], v[6:7], 2, s[8:9]
	v_add_u32_e32 v10, 64, v10
	v_cmp_ge_i32_e32 vcc, v10, v12
	s_or_b64 s[18:19], vcc, s[18:19]
	s_waitcnt vmcnt(2)
	v_subrev_u32_e32 v1, s16, v1
	v_mul_lo_u32 v18, v1, 6
	v_lshl_add_u64 v[24:25], v[18:19], 2, s[10:11]
	v_add_u32_e32 v8, 2, v18
	global_load_dwordx2 v[24:25], v[24:25], off
	v_lshl_add_u64 v[26:27], v[8:9], 2, s[10:11]
	global_load_dwordx2 v[26:27], v[26:27], off
	v_add_u32_e32 v8, -4, v6
	v_lshl_add_u64 v[28:29], v[8:9], 2, s[8:9]
	v_add_u32_e32 v8, -2, v6
	v_lshl_add_u64 v[30:31], v[8:9], 2, s[8:9]
	v_add_u32_e32 v8, 4, v18
	global_load_dwordx2 v[18:19], v[28:29], off
	global_load_dwordx2 v[32:33], v[30:31], off
	v_lshl_add_u64 v[28:29], v[8:9], 2, s[10:11]
	global_load_dwordx2 v[30:31], v[28:29], off
	global_load_dwordx2 v[34:35], v[20:21], off
	v_add_u32_e32 v6, 0x300, v6
	s_waitcnt vmcnt(5)
	v_pk_fma_f32 v[4:5], v[14:15], v[24:25], v[4:5] op_sel_hi:[1,0,1]
	s_nop 0
	v_pk_fma_f32 v[4:5], v[16:17], v[24:25], v[4:5] op_sel:[0,1,0]
	s_waitcnt vmcnt(4)
	v_pk_fma_f32 v[4:5], v[22:23], v[26:27], v[4:5] op_sel_hi:[1,0,1]
	s_waitcnt vmcnt(3)
	v_pk_fma_f32 v[4:5], v[18:19], v[26:27], v[4:5] op_sel:[0,1,0]
	s_waitcnt vmcnt(1)
	v_pk_fma_f32 v[4:5], v[32:33], v[30:31], v[4:5] op_sel_hi:[1,0,1]
	s_waitcnt vmcnt(0)
	v_pk_fma_f32 v[4:5], v[34:35], v[30:31], v[4:5] op_sel:[0,1,0]
	s_andn2_b64 exec, exec, s[18:19]
	s_cbranch_execnz .LBB24_9
; %bb.10:
	s_or_b64 exec, exec, s[18:19]
.LBB24_11:
	s_or_b64 exec, exec, s[4:5]
	s_cbranch_execz .LBB24_13
	s_branch .LBB24_18
.LBB24_12:
                                        ; implicit-def: $vgpr5
.LBB24_13:
	v_mov_b32_e32 v5, 0
	v_mov_b32_e32 v4, v5
	s_and_saveexec_b64 s[4:5], s[2:3]
	s_cbranch_execz .LBB24_17
; %bb.14:
	v_mad_u64_u32 v[6:7], s[2:3], v0, 12, 11
	v_mov_b32_e32 v9, 0
	s_mov_b64 s[2:3], 0
	v_mov_b32_e32 v4, v9
	v_mov_b32_e32 v5, v9
.LBB24_15:                              ; =>This Inner Loop Header: Depth=1
	v_ashrrev_i32_e32 v1, 31, v0
	v_lshl_add_u64 v[10:11], v[0:1], 2, s[6:7]
	global_load_dword v1, v[10:11], off
	v_add_u32_e32 v8, -11, v6
	v_add_u32_e32 v10, -5, v6
	v_mov_b32_e32 v11, v9
	v_lshl_add_u64 v[14:15], v[8:9], 2, s[8:9]
	v_add_u32_e32 v8, -4, v6
	v_mov_b32_e32 v19, v9
	v_lshl_add_u64 v[10:11], v[10:11], 2, s[8:9]
	v_lshl_add_u64 v[22:23], v[8:9], 2, s[8:9]
	global_load_dwordx4 v[14:17], v[14:15], off
	s_nop 0
	global_load_dword v25, v[10:11], off
	global_load_dword v27, v[22:23], off
	v_mov_b32_e32 v7, v9
	v_lshl_add_u64 v[20:21], v[6:7], 2, s[8:9]
	v_add_u32_e32 v0, 64, v0
	v_cmp_ge_i32_e32 vcc, v0, v12
	s_or_b64 s[2:3], vcc, s[2:3]
	s_waitcnt vmcnt(3)
	v_subrev_u32_e32 v1, s16, v1
	v_mul_lo_u32 v18, v1, 6
	v_add_u32_e32 v8, 2, v18
	v_lshl_add_u64 v[10:11], v[18:19], 2, s[10:11]
	v_lshl_add_u64 v[22:23], v[8:9], 2, s[10:11]
	v_add_u32_e32 v8, -3, v6
	global_load_dwordx2 v[10:11], v[10:11], off
	v_lshl_add_u64 v[28:29], v[8:9], 2, s[8:9]
	global_load_dwordx2 v[22:23], v[22:23], off
	v_add_u32_e32 v8, -2, v6
	v_lshl_add_u64 v[30:31], v[8:9], 2, s[8:9]
	v_add_u32_e32 v8, -7, v6
	global_load_dword v19, v[28:29], off
	v_lshl_add_u64 v[28:29], v[8:9], 2, s[8:9]
	v_add_u32_e32 v8, 4, v18
	global_load_dword v33, v[30:31], off
	global_load_dword v34, v[28:29], off
	v_lshl_add_u64 v[28:29], v[8:9], 2, s[10:11]
	v_add_u32_e32 v8, -1, v6
	global_load_dwordx2 v[28:29], v[28:29], off
	v_lshl_add_u64 v[30:31], v[8:9], 2, s[8:9]
	v_add_u32_e32 v8, -6, v6
	v_lshl_add_u64 v[36:37], v[8:9], 2, s[8:9]
	global_load_dword v35, v[30:31], off
	global_load_dword v38, v[36:37], off
	;; [unrolled: 1-line block ×3, first 2 shown]
	s_waitcnt vmcnt(11)
	v_mov_b32_e32 v24, v14
	v_mov_b32_e32 v26, v15
	;; [unrolled: 1-line block ×4, first 2 shown]
	v_add_u32_e32 v6, 0x300, v6
	s_waitcnt vmcnt(8)
	v_pk_fma_f32 v[4:5], v[24:25], v[10:11], v[4:5] op_sel_hi:[1,0,1]
	s_nop 0
	v_pk_fma_f32 v[4:5], v[26:27], v[10:11], v[4:5] op_sel:[0,1,0]
	s_waitcnt vmcnt(6)
	v_pk_fma_f32 v[4:5], v[18:19], v[22:23], v[4:5] op_sel_hi:[1,0,1]
	s_waitcnt vmcnt(5)
	v_pk_fma_f32 v[4:5], v[32:33], v[22:23], v[4:5] op_sel:[0,1,0]
	s_waitcnt vmcnt(2)
	v_pk_fma_f32 v[4:5], v[34:35], v[28:29], v[4:5] op_sel_hi:[1,0,1]
	s_waitcnt vmcnt(0)
	v_pk_fma_f32 v[4:5], v[38:39], v[28:29], v[4:5] op_sel:[0,1,0]
	s_andn2_b64 exec, exec, s[2:3]
	s_cbranch_execnz .LBB24_15
; %bb.16:
	s_or_b64 exec, exec, s[2:3]
.LBB24_17:
	s_or_b64 exec, exec, s[4:5]
.LBB24_18:
	v_mov_b32_dpp v0, v4 row_shr:1 row_mask:0xf bank_mask:0xf
	v_mov_b32_dpp v1, v5 row_shr:1 row_mask:0xf bank_mask:0xf
	v_pk_add_f32 v[0:1], v[4:5], v[0:1]
	v_cmp_eq_u32_e32 vcc, 63, v3
	s_nop 0
	v_mov_b32_dpp v4, v0 row_shr:2 row_mask:0xf bank_mask:0xf
	v_mov_b32_dpp v5, v1 row_shr:2 row_mask:0xf bank_mask:0xf
	v_pk_add_f32 v[0:1], v[0:1], v[4:5]
	s_nop 1
	v_mov_b32_dpp v4, v0 row_shr:4 row_mask:0xf bank_mask:0xe
	v_mov_b32_dpp v5, v1 row_shr:4 row_mask:0xf bank_mask:0xe
	v_pk_add_f32 v[0:1], v[0:1], v[4:5]
	;; [unrolled: 4-line block ×3, first 2 shown]
	s_nop 1
	v_mov_b32_dpp v4, v0 row_bcast:15 row_mask:0xa bank_mask:0xf
	v_mov_b32_dpp v5, v1 row_bcast:15 row_mask:0xa bank_mask:0xf
	v_pk_add_f32 v[0:1], v[0:1], v[4:5]
	s_nop 1
	v_mov_b32_dpp v4, v0 row_bcast:31 row_mask:0xc bank_mask:0xf
	v_mov_b32_dpp v5, v1 row_bcast:31 row_mask:0xc bank_mask:0xf
	s_and_b64 exec, exec, vcc
	s_cbranch_execz .LBB24_22
; %bb.19:
	s_load_dwordx2 s[0:1], s[0:1], 0x38
	v_cmp_eq_f32_e64 s[2:3], s12, 0
	v_pk_add_f32 v[0:1], v[0:1], v[4:5]
	s_and_b64 vcc, exec, s[2:3]
	v_lshlrev_b32_e32 v2, 1, v2
	s_cbranch_vccz .LBB24_23
; %bb.20:
	v_ashrrev_i32_e32 v3, 31, v2
	s_waitcnt lgkmcnt(0)
	v_lshl_add_u64 v[4:5], v[2:3], 2, s[0:1]
	v_pk_mul_f32 v[6:7], s[14:15], v[0:1] op_sel_hi:[0,1]
	global_store_dwordx2 v[4:5], v[6:7], off
	s_cbranch_execnz .LBB24_22
.LBB24_21:
	v_ashrrev_i32_e32 v3, 31, v2
	s_waitcnt lgkmcnt(0)
	v_lshl_add_u64 v[2:3], v[2:3], 2, s[0:1]
	global_load_dwordx2 v[4:5], v[2:3], off
	v_pk_mul_f32 v[0:1], s[14:15], v[0:1] op_sel_hi:[0,1]
	s_waitcnt vmcnt(0)
	v_pk_fma_f32 v[0:1], s[12:13], v[4:5], v[0:1] op_sel_hi:[0,1,1]
	global_store_dwordx2 v[2:3], v[0:1], off
.LBB24_22:
	s_endpgm
.LBB24_23:
	s_branch .LBB24_21
	.section	.rodata,"a",@progbits
	.p2align	6, 0x0
	.amdhsa_kernel _ZN9rocsparseL19gebsrmvn_2xn_kernelILj128ELj6ELj64EfEEvi20rocsparse_direction_NS_24const_host_device_scalarIT2_EEPKiS6_PKS3_S8_S4_PS3_21rocsparse_index_base_b
		.amdhsa_group_segment_fixed_size 0
		.amdhsa_private_segment_fixed_size 0
		.amdhsa_kernarg_size 72
		.amdhsa_user_sgpr_count 2
		.amdhsa_user_sgpr_dispatch_ptr 0
		.amdhsa_user_sgpr_queue_ptr 0
		.amdhsa_user_sgpr_kernarg_segment_ptr 1
		.amdhsa_user_sgpr_dispatch_id 0
		.amdhsa_user_sgpr_kernarg_preload_length 0
		.amdhsa_user_sgpr_kernarg_preload_offset 0
		.amdhsa_user_sgpr_private_segment_size 0
		.amdhsa_uses_dynamic_stack 0
		.amdhsa_enable_private_segment 0
		.amdhsa_system_sgpr_workgroup_id_x 1
		.amdhsa_system_sgpr_workgroup_id_y 0
		.amdhsa_system_sgpr_workgroup_id_z 0
		.amdhsa_system_sgpr_workgroup_info 0
		.amdhsa_system_vgpr_workitem_id 0
		.amdhsa_next_free_vgpr 40
		.amdhsa_next_free_sgpr 20
		.amdhsa_accum_offset 40
		.amdhsa_reserve_vcc 1
		.amdhsa_float_round_mode_32 0
		.amdhsa_float_round_mode_16_64 0
		.amdhsa_float_denorm_mode_32 3
		.amdhsa_float_denorm_mode_16_64 3
		.amdhsa_dx10_clamp 1
		.amdhsa_ieee_mode 1
		.amdhsa_fp16_overflow 0
		.amdhsa_tg_split 0
		.amdhsa_exception_fp_ieee_invalid_op 0
		.amdhsa_exception_fp_denorm_src 0
		.amdhsa_exception_fp_ieee_div_zero 0
		.amdhsa_exception_fp_ieee_overflow 0
		.amdhsa_exception_fp_ieee_underflow 0
		.amdhsa_exception_fp_ieee_inexact 0
		.amdhsa_exception_int_div_zero 0
	.end_amdhsa_kernel
	.section	.text._ZN9rocsparseL19gebsrmvn_2xn_kernelILj128ELj6ELj64EfEEvi20rocsparse_direction_NS_24const_host_device_scalarIT2_EEPKiS6_PKS3_S8_S4_PS3_21rocsparse_index_base_b,"axG",@progbits,_ZN9rocsparseL19gebsrmvn_2xn_kernelILj128ELj6ELj64EfEEvi20rocsparse_direction_NS_24const_host_device_scalarIT2_EEPKiS6_PKS3_S8_S4_PS3_21rocsparse_index_base_b,comdat
.Lfunc_end24:
	.size	_ZN9rocsparseL19gebsrmvn_2xn_kernelILj128ELj6ELj64EfEEvi20rocsparse_direction_NS_24const_host_device_scalarIT2_EEPKiS6_PKS3_S8_S4_PS3_21rocsparse_index_base_b, .Lfunc_end24-_ZN9rocsparseL19gebsrmvn_2xn_kernelILj128ELj6ELj64EfEEvi20rocsparse_direction_NS_24const_host_device_scalarIT2_EEPKiS6_PKS3_S8_S4_PS3_21rocsparse_index_base_b
                                        ; -- End function
	.section	.AMDGPU.csdata,"",@progbits
; Kernel info:
; codeLenInByte = 1316
; NumSgprs: 26
; NumVgprs: 40
; NumAgprs: 0
; TotalNumVgprs: 40
; ScratchSize: 0
; MemoryBound: 0
; FloatMode: 240
; IeeeMode: 1
; LDSByteSize: 0 bytes/workgroup (compile time only)
; SGPRBlocks: 3
; VGPRBlocks: 4
; NumSGPRsForWavesPerEU: 26
; NumVGPRsForWavesPerEU: 40
; AccumOffset: 40
; Occupancy: 8
; WaveLimiterHint : 1
; COMPUTE_PGM_RSRC2:SCRATCH_EN: 0
; COMPUTE_PGM_RSRC2:USER_SGPR: 2
; COMPUTE_PGM_RSRC2:TRAP_HANDLER: 0
; COMPUTE_PGM_RSRC2:TGID_X_EN: 1
; COMPUTE_PGM_RSRC2:TGID_Y_EN: 0
; COMPUTE_PGM_RSRC2:TGID_Z_EN: 0
; COMPUTE_PGM_RSRC2:TIDIG_COMP_CNT: 0
; COMPUTE_PGM_RSRC3_GFX90A:ACCUM_OFFSET: 9
; COMPUTE_PGM_RSRC3_GFX90A:TG_SPLIT: 0
	.section	.text._ZN9rocsparseL19gebsrmvn_2xn_kernelILj128ELj7ELj4EfEEvi20rocsparse_direction_NS_24const_host_device_scalarIT2_EEPKiS6_PKS3_S8_S4_PS3_21rocsparse_index_base_b,"axG",@progbits,_ZN9rocsparseL19gebsrmvn_2xn_kernelILj128ELj7ELj4EfEEvi20rocsparse_direction_NS_24const_host_device_scalarIT2_EEPKiS6_PKS3_S8_S4_PS3_21rocsparse_index_base_b,comdat
	.globl	_ZN9rocsparseL19gebsrmvn_2xn_kernelILj128ELj7ELj4EfEEvi20rocsparse_direction_NS_24const_host_device_scalarIT2_EEPKiS6_PKS3_S8_S4_PS3_21rocsparse_index_base_b ; -- Begin function _ZN9rocsparseL19gebsrmvn_2xn_kernelILj128ELj7ELj4EfEEvi20rocsparse_direction_NS_24const_host_device_scalarIT2_EEPKiS6_PKS3_S8_S4_PS3_21rocsparse_index_base_b
	.p2align	8
	.type	_ZN9rocsparseL19gebsrmvn_2xn_kernelILj128ELj7ELj4EfEEvi20rocsparse_direction_NS_24const_host_device_scalarIT2_EEPKiS6_PKS3_S8_S4_PS3_21rocsparse_index_base_b,@function
_ZN9rocsparseL19gebsrmvn_2xn_kernelILj128ELj7ELj4EfEEvi20rocsparse_direction_NS_24const_host_device_scalarIT2_EEPKiS6_PKS3_S8_S4_PS3_21rocsparse_index_base_b: ; @_ZN9rocsparseL19gebsrmvn_2xn_kernelILj128ELj7ELj4EfEEvi20rocsparse_direction_NS_24const_host_device_scalarIT2_EEPKiS6_PKS3_S8_S4_PS3_21rocsparse_index_base_b
; %bb.0:
	s_load_dwordx2 s[16:17], s[0:1], 0x40
	s_load_dwordx2 s[14:15], s[0:1], 0x8
	s_load_dwordx2 s[12:13], s[0:1], 0x30
	s_waitcnt lgkmcnt(0)
	s_bitcmp1_b32 s17, 0
	s_cselect_b64 s[6:7], -1, 0
	s_xor_b64 s[4:5], s[6:7], -1
	s_and_b64 vcc, exec, s[6:7]
	s_cbranch_vccnz .LBB25_2
; %bb.1:
	s_load_dword s14, s[14:15], 0x0
.LBB25_2:
	s_andn2_b64 vcc, exec, s[4:5]
	s_cbranch_vccnz .LBB25_4
; %bb.3:
	s_load_dword s12, s[12:13], 0x0
.LBB25_4:
	s_waitcnt lgkmcnt(0)
	v_cmp_eq_f32_e64 s[4:5], s14, 0
	v_cmp_eq_f32_e64 s[6:7], s12, 1.0
	s_and_b64 s[4:5], s[4:5], s[6:7]
	s_and_b64 vcc, exec, s[4:5]
	s_cbranch_vccnz .LBB25_22
; %bb.5:
	s_load_dwordx2 s[18:19], s[0:1], 0x0
	v_lshrrev_b32_e32 v1, 2, v0
	v_lshl_or_b32 v2, s2, 5, v1
	s_waitcnt lgkmcnt(0)
	v_cmp_gt_i32_e32 vcc, s18, v2
	s_and_saveexec_b64 s[2:3], vcc
	s_cbranch_execz .LBB25_22
; %bb.6:
	s_load_dwordx8 s[4:11], s[0:1], 0x10
	v_ashrrev_i32_e32 v3, 31, v2
	s_cmp_lg_u32 s19, 0
	s_waitcnt lgkmcnt(0)
	v_lshl_add_u64 v[4:5], v[2:3], 2, s[4:5]
	global_load_dwordx2 v[4:5], v[4:5], off
	v_and_b32_e32 v3, 3, v0
	s_waitcnt vmcnt(0)
	v_subrev_u32_e32 v0, s16, v4
	v_subrev_u32_e32 v12, s16, v5
	v_add_u32_e32 v0, v0, v3
	v_cmp_lt_i32_e64 s[2:3], v0, v12
	s_cbranch_scc0 .LBB25_12
; %bb.7:
	v_mov_b32_e32 v5, 0
	v_mov_b32_e32 v4, v5
	s_and_saveexec_b64 s[4:5], s[2:3]
	s_cbranch_execz .LBB25_11
; %bb.8:
	v_mad_u64_u32 v[6:7], s[18:19], v0, 14, 12
	v_mov_b32_e32 v9, 0
	s_mov_b64 s[18:19], 0
	v_mov_b32_e32 v10, v0
	v_mov_b32_e32 v4, v9
	;; [unrolled: 1-line block ×3, first 2 shown]
.LBB25_9:                               ; =>This Inner Loop Header: Depth=1
	v_ashrrev_i32_e32 v11, 31, v10
	v_lshl_add_u64 v[14:15], v[10:11], 2, s[6:7]
	global_load_dword v1, v[14:15], off
	v_add_u32_e32 v8, -12, v6
	v_mov_b32_e32 v7, v9
	v_lshl_add_u64 v[16:17], v[8:9], 2, s[8:9]
	v_add_u32_e32 v8, -10, v6
	v_lshl_add_u64 v[18:19], v[6:7], 2, s[8:9]
	v_lshl_add_u64 v[20:21], v[8:9], 2, s[8:9]
	global_load_dwordx2 v[16:17], v[16:17], off
	s_nop 0
	global_load_dwordx2 v[22:23], v[18:19], off
	global_load_dwordx2 v[24:25], v[20:21], off
	v_mov_b32_e32 v15, v9
	v_add_u32_e32 v10, 4, v10
	v_cmp_ge_i32_e32 vcc, v10, v12
	s_or_b64 s[18:19], vcc, s[18:19]
	s_waitcnt vmcnt(3)
	v_subrev_u32_e32 v1, s16, v1
	v_mul_lo_u32 v14, v1, 7
	v_add_u32_e32 v8, 1, v14
	v_lshl_add_u64 v[20:21], v[8:9], 2, s[10:11]
	v_add_u32_e32 v8, -8, v6
	v_lshl_add_u64 v[26:27], v[8:9], 2, s[8:9]
	v_add_u32_e32 v8, 2, v14
	v_lshl_add_u64 v[28:29], v[8:9], 2, s[10:11]
	v_add_u32_e32 v8, -6, v6
	v_lshl_add_u64 v[18:19], v[14:15], 2, s[10:11]
	v_lshl_add_u64 v[30:31], v[8:9], 2, s[8:9]
	v_add_u32_e32 v8, 3, v14
	global_load_dword v18, v[18:19], off
	v_lshl_add_u64 v[32:33], v[8:9], 2, s[10:11]
	global_load_dword v20, v[20:21], off
	v_add_u32_e32 v8, -4, v6
	v_lshl_add_u64 v[34:35], v[8:9], 2, s[8:9]
	v_add_u32_e32 v8, 4, v14
	global_load_dwordx2 v[26:27], v[26:27], off
	v_lshl_add_u64 v[36:37], v[8:9], 2, s[10:11]
	global_load_dword v28, v[28:29], off
	v_add_u32_e32 v8, -2, v6
	global_load_dwordx2 v[30:31], v[30:31], off
	v_lshl_add_u64 v[38:39], v[8:9], 2, s[8:9]
	global_load_dword v32, v[32:33], off
	v_add_u32_e32 v8, 5, v14
	global_load_dwordx2 v[34:35], v[34:35], off
	v_lshl_add_u64 v[40:41], v[8:9], 2, s[10:11]
	global_load_dword v36, v[36:37], off
	v_add_u32_e32 v8, 6, v14
	global_load_dwordx2 v[38:39], v[38:39], off
	v_add_u32_e32 v6, 56, v6
	global_load_dword v14, v[40:41], off
	v_lshl_add_u64 v[40:41], v[8:9], 2, s[10:11]
	global_load_dword v8, v[40:41], off
	s_waitcnt vmcnt(10)
	v_pk_fma_f32 v[4:5], v[16:17], v[18:19], v[4:5] op_sel_hi:[1,0,1]
	s_waitcnt vmcnt(9)
	v_pk_fma_f32 v[4:5], v[24:25], v[20:21], v[4:5] op_sel_hi:[1,0,1]
	;; [unrolled: 2-line block ×7, first 2 shown]
	s_andn2_b64 exec, exec, s[18:19]
	s_cbranch_execnz .LBB25_9
; %bb.10:
	s_or_b64 exec, exec, s[18:19]
.LBB25_11:
	s_or_b64 exec, exec, s[4:5]
	s_cbranch_execz .LBB25_13
	s_branch .LBB25_18
.LBB25_12:
                                        ; implicit-def: $vgpr5
.LBB25_13:
	v_mov_b32_e32 v5, 0
	v_mov_b32_e32 v4, v5
	s_and_saveexec_b64 s[4:5], s[2:3]
	s_cbranch_execz .LBB25_17
; %bb.14:
	v_mad_u64_u32 v[6:7], s[2:3], v0, 14, 13
	v_mov_b32_e32 v9, 0
	s_mov_b64 s[2:3], 0
	v_mov_b32_e32 v4, v9
	v_mov_b32_e32 v5, v9
.LBB25_15:                              ; =>This Inner Loop Header: Depth=1
	v_ashrrev_i32_e32 v1, 31, v0
	v_lshl_add_u64 v[10:11], v[0:1], 2, s[6:7]
	global_load_dword v1, v[10:11], off
	v_add_u32_e32 v8, -13, v6
	v_add_u32_e32 v10, -6, v6
	v_mov_b32_e32 v11, v9
	v_mov_b32_e32 v7, v9
	v_lshl_add_u64 v[16:17], v[8:9], 2, s[8:9]
	v_lshl_add_u64 v[10:11], v[10:11], 2, s[8:9]
	;; [unrolled: 1-line block ×3, first 2 shown]
	global_load_dwordx2 v[20:21], v[16:17], off
	global_load_dword v23, v[10:11], off
	global_load_dword v25, v[18:19], off
	v_mov_b32_e32 v15, v9
	v_add_u32_e32 v0, 4, v0
	v_cmp_ge_i32_e32 vcc, v0, v12
	s_or_b64 s[2:3], vcc, s[2:3]
	s_waitcnt vmcnt(3)
	v_subrev_u32_e32 v1, s16, v1
	v_mul_lo_u32 v14, v1, 7
	v_add_u32_e32 v8, 1, v14
	v_lshl_add_u64 v[16:17], v[8:9], 2, s[10:11]
	v_add_u32_e32 v8, -5, v6
	v_lshl_add_u64 v[18:19], v[8:9], 2, s[8:9]
	v_add_u32_e32 v8, -11, v6
	v_lshl_add_u64 v[10:11], v[14:15], 2, s[10:11]
	v_lshl_add_u64 v[26:27], v[8:9], 2, s[8:9]
	v_add_u32_e32 v8, 2, v14
	global_load_dword v10, v[10:11], off
	s_waitcnt vmcnt(3)
	v_mov_b32_e32 v22, v20
	global_load_dword v16, v[16:17], off
	s_nop 0
	global_load_dword v15, v[18:19], off
	global_load_dword v28, v[26:27], off
	v_lshl_add_u64 v[18:19], v[8:9], 2, s[10:11]
	v_add_u32_e32 v8, -4, v6
	v_lshl_add_u64 v[26:27], v[8:9], 2, s[8:9]
	v_add_u32_e32 v8, -10, v6
	v_lshl_add_u64 v[30:31], v[8:9], 2, s[8:9]
	v_add_u32_e32 v8, 3, v14
	global_load_dword v18, v[18:19], off
	s_nop 0
	global_load_dword v29, v[26:27], off
	global_load_dword v32, v[30:31], off
	v_lshl_add_u64 v[26:27], v[8:9], 2, s[10:11]
	v_add_u32_e32 v8, -3, v6
	v_lshl_add_u64 v[30:31], v[8:9], 2, s[8:9]
	v_add_u32_e32 v8, -9, v6
	v_lshl_add_u64 v[34:35], v[8:9], 2, s[8:9]
	v_add_u32_e32 v8, 4, v14
	;; [unrolled: 10-line block ×4, first 2 shown]
	global_load_dword v34, v[34:35], off
	s_nop 0
	global_load_dword v41, v[38:39], off
	global_load_dword v24, v[42:43], off
	v_lshl_add_u64 v[38:39], v[8:9], 2, s[10:11]
	global_load_dword v8, v[38:39], off
	v_mov_b32_e32 v14, v21
	v_add_u32_e32 v6, 56, v6
	s_waitcnt vmcnt(16)
	v_pk_fma_f32 v[4:5], v[22:23], v[10:11], v[4:5] op_sel_hi:[1,0,1]
	s_waitcnt vmcnt(14)
	v_pk_fma_f32 v[4:5], v[14:15], v[16:17], v[4:5] op_sel_hi:[1,0,1]
	;; [unrolled: 2-line block ×7, first 2 shown]
	s_andn2_b64 exec, exec, s[2:3]
	s_cbranch_execnz .LBB25_15
; %bb.16:
	s_or_b64 exec, exec, s[2:3]
.LBB25_17:
	s_or_b64 exec, exec, s[4:5]
.LBB25_18:
	v_mov_b32_dpp v0, v4 row_shr:1 row_mask:0xf bank_mask:0xf
	v_mov_b32_dpp v1, v5 row_shr:1 row_mask:0xf bank_mask:0xf
	v_pk_add_f32 v[0:1], v[4:5], v[0:1]
	v_cmp_eq_u32_e32 vcc, 3, v3
	s_nop 0
	v_mov_b32_dpp v4, v0 row_shr:2 row_mask:0xf bank_mask:0xf
	v_mov_b32_dpp v5, v1 row_shr:2 row_mask:0xf bank_mask:0xf
	s_and_b64 exec, exec, vcc
	s_cbranch_execz .LBB25_22
; %bb.19:
	s_load_dwordx2 s[0:1], s[0:1], 0x38
	v_cmp_eq_f32_e64 s[2:3], s12, 0
	v_pk_add_f32 v[0:1], v[0:1], v[4:5]
	s_and_b64 vcc, exec, s[2:3]
	v_lshlrev_b32_e32 v2, 1, v2
	s_cbranch_vccz .LBB25_23
; %bb.20:
	v_ashrrev_i32_e32 v3, 31, v2
	s_waitcnt lgkmcnt(0)
	v_lshl_add_u64 v[4:5], v[2:3], 2, s[0:1]
	v_pk_mul_f32 v[6:7], s[14:15], v[0:1] op_sel_hi:[0,1]
	global_store_dwordx2 v[4:5], v[6:7], off
	s_cbranch_execnz .LBB25_22
.LBB25_21:
	v_ashrrev_i32_e32 v3, 31, v2
	s_waitcnt lgkmcnt(0)
	v_lshl_add_u64 v[2:3], v[2:3], 2, s[0:1]
	global_load_dwordx2 v[4:5], v[2:3], off
	v_pk_mul_f32 v[0:1], s[14:15], v[0:1] op_sel_hi:[0,1]
	s_waitcnt vmcnt(0)
	v_pk_fma_f32 v[0:1], s[12:13], v[4:5], v[0:1] op_sel_hi:[0,1,1]
	global_store_dwordx2 v[2:3], v[0:1], off
.LBB25_22:
	s_endpgm
.LBB25_23:
	s_branch .LBB25_21
	.section	.rodata,"a",@progbits
	.p2align	6, 0x0
	.amdhsa_kernel _ZN9rocsparseL19gebsrmvn_2xn_kernelILj128ELj7ELj4EfEEvi20rocsparse_direction_NS_24const_host_device_scalarIT2_EEPKiS6_PKS3_S8_S4_PS3_21rocsparse_index_base_b
		.amdhsa_group_segment_fixed_size 0
		.amdhsa_private_segment_fixed_size 0
		.amdhsa_kernarg_size 72
		.amdhsa_user_sgpr_count 2
		.amdhsa_user_sgpr_dispatch_ptr 0
		.amdhsa_user_sgpr_queue_ptr 0
		.amdhsa_user_sgpr_kernarg_segment_ptr 1
		.amdhsa_user_sgpr_dispatch_id 0
		.amdhsa_user_sgpr_kernarg_preload_length 0
		.amdhsa_user_sgpr_kernarg_preload_offset 0
		.amdhsa_user_sgpr_private_segment_size 0
		.amdhsa_uses_dynamic_stack 0
		.amdhsa_enable_private_segment 0
		.amdhsa_system_sgpr_workgroup_id_x 1
		.amdhsa_system_sgpr_workgroup_id_y 0
		.amdhsa_system_sgpr_workgroup_id_z 0
		.amdhsa_system_sgpr_workgroup_info 0
		.amdhsa_system_vgpr_workitem_id 0
		.amdhsa_next_free_vgpr 44
		.amdhsa_next_free_sgpr 20
		.amdhsa_accum_offset 44
		.amdhsa_reserve_vcc 1
		.amdhsa_float_round_mode_32 0
		.amdhsa_float_round_mode_16_64 0
		.amdhsa_float_denorm_mode_32 3
		.amdhsa_float_denorm_mode_16_64 3
		.amdhsa_dx10_clamp 1
		.amdhsa_ieee_mode 1
		.amdhsa_fp16_overflow 0
		.amdhsa_tg_split 0
		.amdhsa_exception_fp_ieee_invalid_op 0
		.amdhsa_exception_fp_denorm_src 0
		.amdhsa_exception_fp_ieee_div_zero 0
		.amdhsa_exception_fp_ieee_overflow 0
		.amdhsa_exception_fp_ieee_underflow 0
		.amdhsa_exception_fp_ieee_inexact 0
		.amdhsa_exception_int_div_zero 0
	.end_amdhsa_kernel
	.section	.text._ZN9rocsparseL19gebsrmvn_2xn_kernelILj128ELj7ELj4EfEEvi20rocsparse_direction_NS_24const_host_device_scalarIT2_EEPKiS6_PKS3_S8_S4_PS3_21rocsparse_index_base_b,"axG",@progbits,_ZN9rocsparseL19gebsrmvn_2xn_kernelILj128ELj7ELj4EfEEvi20rocsparse_direction_NS_24const_host_device_scalarIT2_EEPKiS6_PKS3_S8_S4_PS3_21rocsparse_index_base_b,comdat
.Lfunc_end25:
	.size	_ZN9rocsparseL19gebsrmvn_2xn_kernelILj128ELj7ELj4EfEEvi20rocsparse_direction_NS_24const_host_device_scalarIT2_EEPKiS6_PKS3_S8_S4_PS3_21rocsparse_index_base_b, .Lfunc_end25-_ZN9rocsparseL19gebsrmvn_2xn_kernelILj128ELj7ELj4EfEEvi20rocsparse_direction_NS_24const_host_device_scalarIT2_EEPKiS6_PKS3_S8_S4_PS3_21rocsparse_index_base_b
                                        ; -- End function
	.section	.AMDGPU.csdata,"",@progbits
; Kernel info:
; codeLenInByte = 1512
; NumSgprs: 26
; NumVgprs: 44
; NumAgprs: 0
; TotalNumVgprs: 44
; ScratchSize: 0
; MemoryBound: 0
; FloatMode: 240
; IeeeMode: 1
; LDSByteSize: 0 bytes/workgroup (compile time only)
; SGPRBlocks: 3
; VGPRBlocks: 5
; NumSGPRsForWavesPerEU: 26
; NumVGPRsForWavesPerEU: 44
; AccumOffset: 44
; Occupancy: 8
; WaveLimiterHint : 1
; COMPUTE_PGM_RSRC2:SCRATCH_EN: 0
; COMPUTE_PGM_RSRC2:USER_SGPR: 2
; COMPUTE_PGM_RSRC2:TRAP_HANDLER: 0
; COMPUTE_PGM_RSRC2:TGID_X_EN: 1
; COMPUTE_PGM_RSRC2:TGID_Y_EN: 0
; COMPUTE_PGM_RSRC2:TGID_Z_EN: 0
; COMPUTE_PGM_RSRC2:TIDIG_COMP_CNT: 0
; COMPUTE_PGM_RSRC3_GFX90A:ACCUM_OFFSET: 10
; COMPUTE_PGM_RSRC3_GFX90A:TG_SPLIT: 0
	.section	.text._ZN9rocsparseL19gebsrmvn_2xn_kernelILj128ELj7ELj8EfEEvi20rocsparse_direction_NS_24const_host_device_scalarIT2_EEPKiS6_PKS3_S8_S4_PS3_21rocsparse_index_base_b,"axG",@progbits,_ZN9rocsparseL19gebsrmvn_2xn_kernelILj128ELj7ELj8EfEEvi20rocsparse_direction_NS_24const_host_device_scalarIT2_EEPKiS6_PKS3_S8_S4_PS3_21rocsparse_index_base_b,comdat
	.globl	_ZN9rocsparseL19gebsrmvn_2xn_kernelILj128ELj7ELj8EfEEvi20rocsparse_direction_NS_24const_host_device_scalarIT2_EEPKiS6_PKS3_S8_S4_PS3_21rocsparse_index_base_b ; -- Begin function _ZN9rocsparseL19gebsrmvn_2xn_kernelILj128ELj7ELj8EfEEvi20rocsparse_direction_NS_24const_host_device_scalarIT2_EEPKiS6_PKS3_S8_S4_PS3_21rocsparse_index_base_b
	.p2align	8
	.type	_ZN9rocsparseL19gebsrmvn_2xn_kernelILj128ELj7ELj8EfEEvi20rocsparse_direction_NS_24const_host_device_scalarIT2_EEPKiS6_PKS3_S8_S4_PS3_21rocsparse_index_base_b,@function
_ZN9rocsparseL19gebsrmvn_2xn_kernelILj128ELj7ELj8EfEEvi20rocsparse_direction_NS_24const_host_device_scalarIT2_EEPKiS6_PKS3_S8_S4_PS3_21rocsparse_index_base_b: ; @_ZN9rocsparseL19gebsrmvn_2xn_kernelILj128ELj7ELj8EfEEvi20rocsparse_direction_NS_24const_host_device_scalarIT2_EEPKiS6_PKS3_S8_S4_PS3_21rocsparse_index_base_b
; %bb.0:
	s_load_dwordx2 s[16:17], s[0:1], 0x40
	s_load_dwordx2 s[14:15], s[0:1], 0x8
	;; [unrolled: 1-line block ×3, first 2 shown]
	s_waitcnt lgkmcnt(0)
	s_bitcmp1_b32 s17, 0
	s_cselect_b64 s[6:7], -1, 0
	s_xor_b64 s[4:5], s[6:7], -1
	s_and_b64 vcc, exec, s[6:7]
	s_cbranch_vccnz .LBB26_2
; %bb.1:
	s_load_dword s14, s[14:15], 0x0
.LBB26_2:
	s_andn2_b64 vcc, exec, s[4:5]
	s_cbranch_vccnz .LBB26_4
; %bb.3:
	s_load_dword s12, s[12:13], 0x0
.LBB26_4:
	s_waitcnt lgkmcnt(0)
	v_cmp_eq_f32_e64 s[4:5], s14, 0
	v_cmp_eq_f32_e64 s[6:7], s12, 1.0
	s_and_b64 s[4:5], s[4:5], s[6:7]
	s_and_b64 vcc, exec, s[4:5]
	s_cbranch_vccnz .LBB26_22
; %bb.5:
	s_load_dwordx2 s[18:19], s[0:1], 0x0
	v_lshrrev_b32_e32 v1, 3, v0
	v_lshl_or_b32 v2, s2, 4, v1
	s_waitcnt lgkmcnt(0)
	v_cmp_gt_i32_e32 vcc, s18, v2
	s_and_saveexec_b64 s[2:3], vcc
	s_cbranch_execz .LBB26_22
; %bb.6:
	s_load_dwordx8 s[4:11], s[0:1], 0x10
	v_ashrrev_i32_e32 v3, 31, v2
	s_cmp_lg_u32 s19, 0
	s_waitcnt lgkmcnt(0)
	v_lshl_add_u64 v[4:5], v[2:3], 2, s[4:5]
	global_load_dwordx2 v[4:5], v[4:5], off
	v_and_b32_e32 v3, 7, v0
	s_waitcnt vmcnt(0)
	v_subrev_u32_e32 v0, s16, v4
	v_subrev_u32_e32 v12, s16, v5
	v_add_u32_e32 v0, v0, v3
	v_cmp_lt_i32_e64 s[2:3], v0, v12
	s_cbranch_scc0 .LBB26_12
; %bb.7:
	v_mov_b32_e32 v5, 0
	v_mov_b32_e32 v4, v5
	s_and_saveexec_b64 s[4:5], s[2:3]
	s_cbranch_execz .LBB26_11
; %bb.8:
	v_mad_u64_u32 v[6:7], s[18:19], v0, 14, 12
	v_mov_b32_e32 v9, 0
	s_mov_b64 s[18:19], 0
	v_mov_b32_e32 v10, v0
	v_mov_b32_e32 v4, v9
	;; [unrolled: 1-line block ×3, first 2 shown]
.LBB26_9:                               ; =>This Inner Loop Header: Depth=1
	v_ashrrev_i32_e32 v11, 31, v10
	v_lshl_add_u64 v[14:15], v[10:11], 2, s[6:7]
	global_load_dword v1, v[14:15], off
	v_add_u32_e32 v8, -12, v6
	v_mov_b32_e32 v7, v9
	v_lshl_add_u64 v[16:17], v[8:9], 2, s[8:9]
	v_add_u32_e32 v8, -10, v6
	v_lshl_add_u64 v[18:19], v[6:7], 2, s[8:9]
	v_lshl_add_u64 v[20:21], v[8:9], 2, s[8:9]
	global_load_dwordx2 v[16:17], v[16:17], off
	s_nop 0
	global_load_dwordx2 v[22:23], v[18:19], off
	global_load_dwordx2 v[24:25], v[20:21], off
	v_mov_b32_e32 v15, v9
	v_add_u32_e32 v10, 8, v10
	v_cmp_ge_i32_e32 vcc, v10, v12
	s_or_b64 s[18:19], vcc, s[18:19]
	s_waitcnt vmcnt(3)
	v_subrev_u32_e32 v1, s16, v1
	v_mul_lo_u32 v14, v1, 7
	v_add_u32_e32 v8, 1, v14
	v_lshl_add_u64 v[20:21], v[8:9], 2, s[10:11]
	v_add_u32_e32 v8, -8, v6
	v_lshl_add_u64 v[26:27], v[8:9], 2, s[8:9]
	v_add_u32_e32 v8, 2, v14
	v_lshl_add_u64 v[28:29], v[8:9], 2, s[10:11]
	v_add_u32_e32 v8, -6, v6
	v_lshl_add_u64 v[18:19], v[14:15], 2, s[10:11]
	v_lshl_add_u64 v[30:31], v[8:9], 2, s[8:9]
	v_add_u32_e32 v8, 3, v14
	global_load_dword v18, v[18:19], off
	v_lshl_add_u64 v[32:33], v[8:9], 2, s[10:11]
	global_load_dword v20, v[20:21], off
	v_add_u32_e32 v8, -4, v6
	v_lshl_add_u64 v[34:35], v[8:9], 2, s[8:9]
	v_add_u32_e32 v8, 4, v14
	global_load_dwordx2 v[26:27], v[26:27], off
	v_lshl_add_u64 v[36:37], v[8:9], 2, s[10:11]
	global_load_dword v28, v[28:29], off
	v_add_u32_e32 v8, -2, v6
	global_load_dwordx2 v[30:31], v[30:31], off
	v_lshl_add_u64 v[38:39], v[8:9], 2, s[8:9]
	global_load_dword v32, v[32:33], off
	v_add_u32_e32 v8, 5, v14
	global_load_dwordx2 v[34:35], v[34:35], off
	v_lshl_add_u64 v[40:41], v[8:9], 2, s[10:11]
	global_load_dword v36, v[36:37], off
	v_add_u32_e32 v8, 6, v14
	global_load_dwordx2 v[38:39], v[38:39], off
	v_add_u32_e32 v6, 0x70, v6
	global_load_dword v14, v[40:41], off
	v_lshl_add_u64 v[40:41], v[8:9], 2, s[10:11]
	global_load_dword v8, v[40:41], off
	s_waitcnt vmcnt(10)
	v_pk_fma_f32 v[4:5], v[16:17], v[18:19], v[4:5] op_sel_hi:[1,0,1]
	s_waitcnt vmcnt(9)
	v_pk_fma_f32 v[4:5], v[24:25], v[20:21], v[4:5] op_sel_hi:[1,0,1]
	;; [unrolled: 2-line block ×7, first 2 shown]
	s_andn2_b64 exec, exec, s[18:19]
	s_cbranch_execnz .LBB26_9
; %bb.10:
	s_or_b64 exec, exec, s[18:19]
.LBB26_11:
	s_or_b64 exec, exec, s[4:5]
	s_cbranch_execz .LBB26_13
	s_branch .LBB26_18
.LBB26_12:
                                        ; implicit-def: $vgpr5
.LBB26_13:
	v_mov_b32_e32 v5, 0
	v_mov_b32_e32 v4, v5
	s_and_saveexec_b64 s[4:5], s[2:3]
	s_cbranch_execz .LBB26_17
; %bb.14:
	v_mad_u64_u32 v[6:7], s[2:3], v0, 14, 13
	v_mov_b32_e32 v9, 0
	s_mov_b64 s[2:3], 0
	v_mov_b32_e32 v4, v9
	v_mov_b32_e32 v5, v9
.LBB26_15:                              ; =>This Inner Loop Header: Depth=1
	v_ashrrev_i32_e32 v1, 31, v0
	v_lshl_add_u64 v[10:11], v[0:1], 2, s[6:7]
	global_load_dword v1, v[10:11], off
	v_add_u32_e32 v8, -13, v6
	v_add_u32_e32 v10, -6, v6
	v_mov_b32_e32 v11, v9
	v_mov_b32_e32 v7, v9
	v_lshl_add_u64 v[16:17], v[8:9], 2, s[8:9]
	v_lshl_add_u64 v[10:11], v[10:11], 2, s[8:9]
	;; [unrolled: 1-line block ×3, first 2 shown]
	global_load_dwordx2 v[20:21], v[16:17], off
	global_load_dword v23, v[10:11], off
	global_load_dword v25, v[18:19], off
	v_mov_b32_e32 v15, v9
	v_add_u32_e32 v0, 8, v0
	v_cmp_ge_i32_e32 vcc, v0, v12
	s_or_b64 s[2:3], vcc, s[2:3]
	s_waitcnt vmcnt(3)
	v_subrev_u32_e32 v1, s16, v1
	v_mul_lo_u32 v14, v1, 7
	v_add_u32_e32 v8, 1, v14
	v_lshl_add_u64 v[16:17], v[8:9], 2, s[10:11]
	v_add_u32_e32 v8, -5, v6
	v_lshl_add_u64 v[18:19], v[8:9], 2, s[8:9]
	v_add_u32_e32 v8, -11, v6
	v_lshl_add_u64 v[10:11], v[14:15], 2, s[10:11]
	v_lshl_add_u64 v[26:27], v[8:9], 2, s[8:9]
	v_add_u32_e32 v8, 2, v14
	global_load_dword v10, v[10:11], off
	s_waitcnt vmcnt(3)
	v_mov_b32_e32 v22, v20
	global_load_dword v16, v[16:17], off
	s_nop 0
	global_load_dword v15, v[18:19], off
	global_load_dword v28, v[26:27], off
	v_lshl_add_u64 v[18:19], v[8:9], 2, s[10:11]
	v_add_u32_e32 v8, -4, v6
	v_lshl_add_u64 v[26:27], v[8:9], 2, s[8:9]
	v_add_u32_e32 v8, -10, v6
	v_lshl_add_u64 v[30:31], v[8:9], 2, s[8:9]
	v_add_u32_e32 v8, 3, v14
	global_load_dword v18, v[18:19], off
	s_nop 0
	global_load_dword v29, v[26:27], off
	global_load_dword v32, v[30:31], off
	v_lshl_add_u64 v[26:27], v[8:9], 2, s[10:11]
	v_add_u32_e32 v8, -3, v6
	v_lshl_add_u64 v[30:31], v[8:9], 2, s[8:9]
	v_add_u32_e32 v8, -9, v6
	v_lshl_add_u64 v[34:35], v[8:9], 2, s[8:9]
	v_add_u32_e32 v8, 4, v14
	;; [unrolled: 10-line block ×4, first 2 shown]
	global_load_dword v34, v[34:35], off
	s_nop 0
	global_load_dword v41, v[38:39], off
	global_load_dword v24, v[42:43], off
	v_lshl_add_u64 v[38:39], v[8:9], 2, s[10:11]
	global_load_dword v8, v[38:39], off
	v_mov_b32_e32 v14, v21
	v_add_u32_e32 v6, 0x70, v6
	s_waitcnt vmcnt(16)
	v_pk_fma_f32 v[4:5], v[22:23], v[10:11], v[4:5] op_sel_hi:[1,0,1]
	s_waitcnt vmcnt(14)
	v_pk_fma_f32 v[4:5], v[14:15], v[16:17], v[4:5] op_sel_hi:[1,0,1]
	;; [unrolled: 2-line block ×7, first 2 shown]
	s_andn2_b64 exec, exec, s[2:3]
	s_cbranch_execnz .LBB26_15
; %bb.16:
	s_or_b64 exec, exec, s[2:3]
.LBB26_17:
	s_or_b64 exec, exec, s[4:5]
.LBB26_18:
	v_mov_b32_dpp v0, v4 row_shr:1 row_mask:0xf bank_mask:0xf
	v_mov_b32_dpp v1, v5 row_shr:1 row_mask:0xf bank_mask:0xf
	v_pk_add_f32 v[0:1], v[4:5], v[0:1]
	v_cmp_eq_u32_e32 vcc, 7, v3
	s_nop 0
	v_mov_b32_dpp v4, v0 row_shr:2 row_mask:0xf bank_mask:0xf
	v_mov_b32_dpp v5, v1 row_shr:2 row_mask:0xf bank_mask:0xf
	v_pk_add_f32 v[0:1], v[0:1], v[4:5]
	s_nop 1
	v_mov_b32_dpp v4, v0 row_shr:4 row_mask:0xf bank_mask:0xe
	v_mov_b32_dpp v5, v1 row_shr:4 row_mask:0xf bank_mask:0xe
	s_and_b64 exec, exec, vcc
	s_cbranch_execz .LBB26_22
; %bb.19:
	s_load_dwordx2 s[0:1], s[0:1], 0x38
	v_cmp_eq_f32_e64 s[2:3], s12, 0
	v_pk_add_f32 v[0:1], v[0:1], v[4:5]
	s_and_b64 vcc, exec, s[2:3]
	v_lshlrev_b32_e32 v2, 1, v2
	s_cbranch_vccz .LBB26_23
; %bb.20:
	v_ashrrev_i32_e32 v3, 31, v2
	s_waitcnt lgkmcnt(0)
	v_lshl_add_u64 v[4:5], v[2:3], 2, s[0:1]
	v_pk_mul_f32 v[6:7], s[14:15], v[0:1] op_sel_hi:[0,1]
	global_store_dwordx2 v[4:5], v[6:7], off
	s_cbranch_execnz .LBB26_22
.LBB26_21:
	v_ashrrev_i32_e32 v3, 31, v2
	s_waitcnt lgkmcnt(0)
	v_lshl_add_u64 v[2:3], v[2:3], 2, s[0:1]
	global_load_dwordx2 v[4:5], v[2:3], off
	v_pk_mul_f32 v[0:1], s[14:15], v[0:1] op_sel_hi:[0,1]
	s_waitcnt vmcnt(0)
	v_pk_fma_f32 v[0:1], s[12:13], v[4:5], v[0:1] op_sel_hi:[0,1,1]
	global_store_dwordx2 v[2:3], v[0:1], off
.LBB26_22:
	s_endpgm
.LBB26_23:
	s_branch .LBB26_21
	.section	.rodata,"a",@progbits
	.p2align	6, 0x0
	.amdhsa_kernel _ZN9rocsparseL19gebsrmvn_2xn_kernelILj128ELj7ELj8EfEEvi20rocsparse_direction_NS_24const_host_device_scalarIT2_EEPKiS6_PKS3_S8_S4_PS3_21rocsparse_index_base_b
		.amdhsa_group_segment_fixed_size 0
		.amdhsa_private_segment_fixed_size 0
		.amdhsa_kernarg_size 72
		.amdhsa_user_sgpr_count 2
		.amdhsa_user_sgpr_dispatch_ptr 0
		.amdhsa_user_sgpr_queue_ptr 0
		.amdhsa_user_sgpr_kernarg_segment_ptr 1
		.amdhsa_user_sgpr_dispatch_id 0
		.amdhsa_user_sgpr_kernarg_preload_length 0
		.amdhsa_user_sgpr_kernarg_preload_offset 0
		.amdhsa_user_sgpr_private_segment_size 0
		.amdhsa_uses_dynamic_stack 0
		.amdhsa_enable_private_segment 0
		.amdhsa_system_sgpr_workgroup_id_x 1
		.amdhsa_system_sgpr_workgroup_id_y 0
		.amdhsa_system_sgpr_workgroup_id_z 0
		.amdhsa_system_sgpr_workgroup_info 0
		.amdhsa_system_vgpr_workitem_id 0
		.amdhsa_next_free_vgpr 44
		.amdhsa_next_free_sgpr 20
		.amdhsa_accum_offset 44
		.amdhsa_reserve_vcc 1
		.amdhsa_float_round_mode_32 0
		.amdhsa_float_round_mode_16_64 0
		.amdhsa_float_denorm_mode_32 3
		.amdhsa_float_denorm_mode_16_64 3
		.amdhsa_dx10_clamp 1
		.amdhsa_ieee_mode 1
		.amdhsa_fp16_overflow 0
		.amdhsa_tg_split 0
		.amdhsa_exception_fp_ieee_invalid_op 0
		.amdhsa_exception_fp_denorm_src 0
		.amdhsa_exception_fp_ieee_div_zero 0
		.amdhsa_exception_fp_ieee_overflow 0
		.amdhsa_exception_fp_ieee_underflow 0
		.amdhsa_exception_fp_ieee_inexact 0
		.amdhsa_exception_int_div_zero 0
	.end_amdhsa_kernel
	.section	.text._ZN9rocsparseL19gebsrmvn_2xn_kernelILj128ELj7ELj8EfEEvi20rocsparse_direction_NS_24const_host_device_scalarIT2_EEPKiS6_PKS3_S8_S4_PS3_21rocsparse_index_base_b,"axG",@progbits,_ZN9rocsparseL19gebsrmvn_2xn_kernelILj128ELj7ELj8EfEEvi20rocsparse_direction_NS_24const_host_device_scalarIT2_EEPKiS6_PKS3_S8_S4_PS3_21rocsparse_index_base_b,comdat
.Lfunc_end26:
	.size	_ZN9rocsparseL19gebsrmvn_2xn_kernelILj128ELj7ELj8EfEEvi20rocsparse_direction_NS_24const_host_device_scalarIT2_EEPKiS6_PKS3_S8_S4_PS3_21rocsparse_index_base_b, .Lfunc_end26-_ZN9rocsparseL19gebsrmvn_2xn_kernelILj128ELj7ELj8EfEEvi20rocsparse_direction_NS_24const_host_device_scalarIT2_EEPKiS6_PKS3_S8_S4_PS3_21rocsparse_index_base_b
                                        ; -- End function
	.section	.AMDGPU.csdata,"",@progbits
; Kernel info:
; codeLenInByte = 1548
; NumSgprs: 26
; NumVgprs: 44
; NumAgprs: 0
; TotalNumVgprs: 44
; ScratchSize: 0
; MemoryBound: 0
; FloatMode: 240
; IeeeMode: 1
; LDSByteSize: 0 bytes/workgroup (compile time only)
; SGPRBlocks: 3
; VGPRBlocks: 5
; NumSGPRsForWavesPerEU: 26
; NumVGPRsForWavesPerEU: 44
; AccumOffset: 44
; Occupancy: 8
; WaveLimiterHint : 1
; COMPUTE_PGM_RSRC2:SCRATCH_EN: 0
; COMPUTE_PGM_RSRC2:USER_SGPR: 2
; COMPUTE_PGM_RSRC2:TRAP_HANDLER: 0
; COMPUTE_PGM_RSRC2:TGID_X_EN: 1
; COMPUTE_PGM_RSRC2:TGID_Y_EN: 0
; COMPUTE_PGM_RSRC2:TGID_Z_EN: 0
; COMPUTE_PGM_RSRC2:TIDIG_COMP_CNT: 0
; COMPUTE_PGM_RSRC3_GFX90A:ACCUM_OFFSET: 10
; COMPUTE_PGM_RSRC3_GFX90A:TG_SPLIT: 0
	.section	.text._ZN9rocsparseL19gebsrmvn_2xn_kernelILj128ELj7ELj16EfEEvi20rocsparse_direction_NS_24const_host_device_scalarIT2_EEPKiS6_PKS3_S8_S4_PS3_21rocsparse_index_base_b,"axG",@progbits,_ZN9rocsparseL19gebsrmvn_2xn_kernelILj128ELj7ELj16EfEEvi20rocsparse_direction_NS_24const_host_device_scalarIT2_EEPKiS6_PKS3_S8_S4_PS3_21rocsparse_index_base_b,comdat
	.globl	_ZN9rocsparseL19gebsrmvn_2xn_kernelILj128ELj7ELj16EfEEvi20rocsparse_direction_NS_24const_host_device_scalarIT2_EEPKiS6_PKS3_S8_S4_PS3_21rocsparse_index_base_b ; -- Begin function _ZN9rocsparseL19gebsrmvn_2xn_kernelILj128ELj7ELj16EfEEvi20rocsparse_direction_NS_24const_host_device_scalarIT2_EEPKiS6_PKS3_S8_S4_PS3_21rocsparse_index_base_b
	.p2align	8
	.type	_ZN9rocsparseL19gebsrmvn_2xn_kernelILj128ELj7ELj16EfEEvi20rocsparse_direction_NS_24const_host_device_scalarIT2_EEPKiS6_PKS3_S8_S4_PS3_21rocsparse_index_base_b,@function
_ZN9rocsparseL19gebsrmvn_2xn_kernelILj128ELj7ELj16EfEEvi20rocsparse_direction_NS_24const_host_device_scalarIT2_EEPKiS6_PKS3_S8_S4_PS3_21rocsparse_index_base_b: ; @_ZN9rocsparseL19gebsrmvn_2xn_kernelILj128ELj7ELj16EfEEvi20rocsparse_direction_NS_24const_host_device_scalarIT2_EEPKiS6_PKS3_S8_S4_PS3_21rocsparse_index_base_b
; %bb.0:
	s_load_dwordx2 s[16:17], s[0:1], 0x40
	s_load_dwordx2 s[14:15], s[0:1], 0x8
	;; [unrolled: 1-line block ×3, first 2 shown]
	s_waitcnt lgkmcnt(0)
	s_bitcmp1_b32 s17, 0
	s_cselect_b64 s[6:7], -1, 0
	s_xor_b64 s[4:5], s[6:7], -1
	s_and_b64 vcc, exec, s[6:7]
	s_cbranch_vccnz .LBB27_2
; %bb.1:
	s_load_dword s14, s[14:15], 0x0
.LBB27_2:
	s_andn2_b64 vcc, exec, s[4:5]
	s_cbranch_vccnz .LBB27_4
; %bb.3:
	s_load_dword s12, s[12:13], 0x0
.LBB27_4:
	s_waitcnt lgkmcnt(0)
	v_cmp_eq_f32_e64 s[4:5], s14, 0
	v_cmp_eq_f32_e64 s[6:7], s12, 1.0
	s_and_b64 s[4:5], s[4:5], s[6:7]
	s_and_b64 vcc, exec, s[4:5]
	s_cbranch_vccnz .LBB27_22
; %bb.5:
	s_load_dwordx2 s[18:19], s[0:1], 0x0
	v_lshrrev_b32_e32 v1, 4, v0
	v_lshl_or_b32 v2, s2, 3, v1
	s_waitcnt lgkmcnt(0)
	v_cmp_gt_i32_e32 vcc, s18, v2
	s_and_saveexec_b64 s[2:3], vcc
	s_cbranch_execz .LBB27_22
; %bb.6:
	s_load_dwordx8 s[4:11], s[0:1], 0x10
	v_ashrrev_i32_e32 v3, 31, v2
	s_cmp_lg_u32 s19, 0
	s_waitcnt lgkmcnt(0)
	v_lshl_add_u64 v[4:5], v[2:3], 2, s[4:5]
	global_load_dwordx2 v[4:5], v[4:5], off
	v_and_b32_e32 v3, 15, v0
	s_waitcnt vmcnt(0)
	v_subrev_u32_e32 v0, s16, v4
	v_subrev_u32_e32 v12, s16, v5
	v_add_u32_e32 v0, v0, v3
	v_cmp_lt_i32_e64 s[2:3], v0, v12
	s_cbranch_scc0 .LBB27_12
; %bb.7:
	v_mov_b32_e32 v5, 0
	v_mov_b32_e32 v4, v5
	s_and_saveexec_b64 s[4:5], s[2:3]
	s_cbranch_execz .LBB27_11
; %bb.8:
	v_mad_u64_u32 v[6:7], s[18:19], v0, 14, 12
	v_mov_b32_e32 v9, 0
	s_mov_b64 s[18:19], 0
	v_mov_b32_e32 v10, v0
	v_mov_b32_e32 v4, v9
	;; [unrolled: 1-line block ×3, first 2 shown]
.LBB27_9:                               ; =>This Inner Loop Header: Depth=1
	v_ashrrev_i32_e32 v11, 31, v10
	v_lshl_add_u64 v[14:15], v[10:11], 2, s[6:7]
	global_load_dword v1, v[14:15], off
	v_add_u32_e32 v8, -12, v6
	v_mov_b32_e32 v7, v9
	v_lshl_add_u64 v[16:17], v[8:9], 2, s[8:9]
	v_add_u32_e32 v8, -10, v6
	v_lshl_add_u64 v[18:19], v[6:7], 2, s[8:9]
	v_lshl_add_u64 v[20:21], v[8:9], 2, s[8:9]
	global_load_dwordx2 v[16:17], v[16:17], off
	s_nop 0
	global_load_dwordx2 v[22:23], v[18:19], off
	global_load_dwordx2 v[24:25], v[20:21], off
	v_mov_b32_e32 v15, v9
	v_add_u32_e32 v10, 16, v10
	v_cmp_ge_i32_e32 vcc, v10, v12
	s_or_b64 s[18:19], vcc, s[18:19]
	s_waitcnt vmcnt(3)
	v_subrev_u32_e32 v1, s16, v1
	v_mul_lo_u32 v14, v1, 7
	v_add_u32_e32 v8, 1, v14
	v_lshl_add_u64 v[20:21], v[8:9], 2, s[10:11]
	v_add_u32_e32 v8, -8, v6
	v_lshl_add_u64 v[26:27], v[8:9], 2, s[8:9]
	v_add_u32_e32 v8, 2, v14
	v_lshl_add_u64 v[28:29], v[8:9], 2, s[10:11]
	v_add_u32_e32 v8, -6, v6
	v_lshl_add_u64 v[18:19], v[14:15], 2, s[10:11]
	v_lshl_add_u64 v[30:31], v[8:9], 2, s[8:9]
	v_add_u32_e32 v8, 3, v14
	global_load_dword v18, v[18:19], off
	v_lshl_add_u64 v[32:33], v[8:9], 2, s[10:11]
	global_load_dword v20, v[20:21], off
	v_add_u32_e32 v8, -4, v6
	v_lshl_add_u64 v[34:35], v[8:9], 2, s[8:9]
	v_add_u32_e32 v8, 4, v14
	global_load_dwordx2 v[26:27], v[26:27], off
	v_lshl_add_u64 v[36:37], v[8:9], 2, s[10:11]
	global_load_dword v28, v[28:29], off
	v_add_u32_e32 v8, -2, v6
	global_load_dwordx2 v[30:31], v[30:31], off
	v_lshl_add_u64 v[38:39], v[8:9], 2, s[8:9]
	global_load_dword v32, v[32:33], off
	v_add_u32_e32 v8, 5, v14
	global_load_dwordx2 v[34:35], v[34:35], off
	v_lshl_add_u64 v[40:41], v[8:9], 2, s[10:11]
	global_load_dword v36, v[36:37], off
	v_add_u32_e32 v8, 6, v14
	global_load_dwordx2 v[38:39], v[38:39], off
	v_add_u32_e32 v6, 0xe0, v6
	global_load_dword v14, v[40:41], off
	v_lshl_add_u64 v[40:41], v[8:9], 2, s[10:11]
	global_load_dword v8, v[40:41], off
	s_waitcnt vmcnt(10)
	v_pk_fma_f32 v[4:5], v[16:17], v[18:19], v[4:5] op_sel_hi:[1,0,1]
	s_waitcnt vmcnt(9)
	v_pk_fma_f32 v[4:5], v[24:25], v[20:21], v[4:5] op_sel_hi:[1,0,1]
	;; [unrolled: 2-line block ×7, first 2 shown]
	s_andn2_b64 exec, exec, s[18:19]
	s_cbranch_execnz .LBB27_9
; %bb.10:
	s_or_b64 exec, exec, s[18:19]
.LBB27_11:
	s_or_b64 exec, exec, s[4:5]
	s_cbranch_execz .LBB27_13
	s_branch .LBB27_18
.LBB27_12:
                                        ; implicit-def: $vgpr5
.LBB27_13:
	v_mov_b32_e32 v5, 0
	v_mov_b32_e32 v4, v5
	s_and_saveexec_b64 s[4:5], s[2:3]
	s_cbranch_execz .LBB27_17
; %bb.14:
	v_mad_u64_u32 v[6:7], s[2:3], v0, 14, 13
	v_mov_b32_e32 v9, 0
	s_mov_b64 s[2:3], 0
	v_mov_b32_e32 v4, v9
	v_mov_b32_e32 v5, v9
.LBB27_15:                              ; =>This Inner Loop Header: Depth=1
	v_ashrrev_i32_e32 v1, 31, v0
	v_lshl_add_u64 v[10:11], v[0:1], 2, s[6:7]
	global_load_dword v1, v[10:11], off
	v_add_u32_e32 v8, -13, v6
	v_add_u32_e32 v10, -6, v6
	v_mov_b32_e32 v11, v9
	v_mov_b32_e32 v7, v9
	v_lshl_add_u64 v[16:17], v[8:9], 2, s[8:9]
	v_lshl_add_u64 v[10:11], v[10:11], 2, s[8:9]
	;; [unrolled: 1-line block ×3, first 2 shown]
	global_load_dwordx2 v[20:21], v[16:17], off
	global_load_dword v23, v[10:11], off
	global_load_dword v25, v[18:19], off
	v_mov_b32_e32 v15, v9
	v_add_u32_e32 v0, 16, v0
	v_cmp_ge_i32_e32 vcc, v0, v12
	s_or_b64 s[2:3], vcc, s[2:3]
	s_waitcnt vmcnt(3)
	v_subrev_u32_e32 v1, s16, v1
	v_mul_lo_u32 v14, v1, 7
	v_add_u32_e32 v8, 1, v14
	v_lshl_add_u64 v[16:17], v[8:9], 2, s[10:11]
	v_add_u32_e32 v8, -5, v6
	v_lshl_add_u64 v[18:19], v[8:9], 2, s[8:9]
	v_add_u32_e32 v8, -11, v6
	v_lshl_add_u64 v[10:11], v[14:15], 2, s[10:11]
	v_lshl_add_u64 v[26:27], v[8:9], 2, s[8:9]
	v_add_u32_e32 v8, 2, v14
	global_load_dword v10, v[10:11], off
	s_waitcnt vmcnt(3)
	v_mov_b32_e32 v22, v20
	global_load_dword v16, v[16:17], off
	s_nop 0
	global_load_dword v15, v[18:19], off
	global_load_dword v28, v[26:27], off
	v_lshl_add_u64 v[18:19], v[8:9], 2, s[10:11]
	v_add_u32_e32 v8, -4, v6
	v_lshl_add_u64 v[26:27], v[8:9], 2, s[8:9]
	v_add_u32_e32 v8, -10, v6
	v_lshl_add_u64 v[30:31], v[8:9], 2, s[8:9]
	v_add_u32_e32 v8, 3, v14
	global_load_dword v18, v[18:19], off
	s_nop 0
	global_load_dword v29, v[26:27], off
	global_load_dword v32, v[30:31], off
	v_lshl_add_u64 v[26:27], v[8:9], 2, s[10:11]
	v_add_u32_e32 v8, -3, v6
	v_lshl_add_u64 v[30:31], v[8:9], 2, s[8:9]
	v_add_u32_e32 v8, -9, v6
	v_lshl_add_u64 v[34:35], v[8:9], 2, s[8:9]
	v_add_u32_e32 v8, 4, v14
	;; [unrolled: 10-line block ×4, first 2 shown]
	global_load_dword v34, v[34:35], off
	s_nop 0
	global_load_dword v41, v[38:39], off
	global_load_dword v24, v[42:43], off
	v_lshl_add_u64 v[38:39], v[8:9], 2, s[10:11]
	global_load_dword v8, v[38:39], off
	v_mov_b32_e32 v14, v21
	v_add_u32_e32 v6, 0xe0, v6
	s_waitcnt vmcnt(16)
	v_pk_fma_f32 v[4:5], v[22:23], v[10:11], v[4:5] op_sel_hi:[1,0,1]
	s_waitcnt vmcnt(14)
	v_pk_fma_f32 v[4:5], v[14:15], v[16:17], v[4:5] op_sel_hi:[1,0,1]
	s_waitcnt vmcnt(11)
	v_pk_fma_f32 v[4:5], v[28:29], v[18:19], v[4:5] op_sel_hi:[1,0,1]
	s_waitcnt vmcnt(8)
	v_pk_fma_f32 v[4:5], v[32:33], v[26:27], v[4:5] op_sel_hi:[1,0,1]
	s_waitcnt vmcnt(5)
	v_pk_fma_f32 v[4:5], v[36:37], v[30:31], v[4:5] op_sel_hi:[1,0,1]
	s_waitcnt vmcnt(2)
	v_pk_fma_f32 v[4:5], v[40:41], v[34:35], v[4:5] op_sel_hi:[1,0,1]
	s_waitcnt vmcnt(0)
	v_pk_fma_f32 v[4:5], v[24:25], v[8:9], v[4:5] op_sel_hi:[1,0,1]
	s_andn2_b64 exec, exec, s[2:3]
	s_cbranch_execnz .LBB27_15
; %bb.16:
	s_or_b64 exec, exec, s[2:3]
.LBB27_17:
	s_or_b64 exec, exec, s[4:5]
.LBB27_18:
	v_mov_b32_dpp v0, v4 row_shr:1 row_mask:0xf bank_mask:0xf
	v_mov_b32_dpp v1, v5 row_shr:1 row_mask:0xf bank_mask:0xf
	v_pk_add_f32 v[0:1], v[4:5], v[0:1]
	v_cmp_eq_u32_e32 vcc, 15, v3
	s_nop 0
	v_mov_b32_dpp v4, v0 row_shr:2 row_mask:0xf bank_mask:0xf
	v_mov_b32_dpp v5, v1 row_shr:2 row_mask:0xf bank_mask:0xf
	v_pk_add_f32 v[0:1], v[0:1], v[4:5]
	s_nop 1
	v_mov_b32_dpp v4, v0 row_shr:4 row_mask:0xf bank_mask:0xe
	v_mov_b32_dpp v5, v1 row_shr:4 row_mask:0xf bank_mask:0xe
	v_pk_add_f32 v[0:1], v[0:1], v[4:5]
	s_nop 1
	v_mov_b32_dpp v4, v0 row_shr:8 row_mask:0xf bank_mask:0xc
	v_mov_b32_dpp v5, v1 row_shr:8 row_mask:0xf bank_mask:0xc
	s_and_b64 exec, exec, vcc
	s_cbranch_execz .LBB27_22
; %bb.19:
	s_load_dwordx2 s[0:1], s[0:1], 0x38
	v_cmp_eq_f32_e64 s[2:3], s12, 0
	v_pk_add_f32 v[0:1], v[0:1], v[4:5]
	s_and_b64 vcc, exec, s[2:3]
	v_lshlrev_b32_e32 v2, 1, v2
	s_cbranch_vccz .LBB27_23
; %bb.20:
	v_ashrrev_i32_e32 v3, 31, v2
	s_waitcnt lgkmcnt(0)
	v_lshl_add_u64 v[4:5], v[2:3], 2, s[0:1]
	v_pk_mul_f32 v[6:7], s[14:15], v[0:1] op_sel_hi:[0,1]
	global_store_dwordx2 v[4:5], v[6:7], off
	s_cbranch_execnz .LBB27_22
.LBB27_21:
	v_ashrrev_i32_e32 v3, 31, v2
	s_waitcnt lgkmcnt(0)
	v_lshl_add_u64 v[2:3], v[2:3], 2, s[0:1]
	global_load_dwordx2 v[4:5], v[2:3], off
	v_pk_mul_f32 v[0:1], s[14:15], v[0:1] op_sel_hi:[0,1]
	s_waitcnt vmcnt(0)
	v_pk_fma_f32 v[0:1], s[12:13], v[4:5], v[0:1] op_sel_hi:[0,1,1]
	global_store_dwordx2 v[2:3], v[0:1], off
.LBB27_22:
	s_endpgm
.LBB27_23:
	s_branch .LBB27_21
	.section	.rodata,"a",@progbits
	.p2align	6, 0x0
	.amdhsa_kernel _ZN9rocsparseL19gebsrmvn_2xn_kernelILj128ELj7ELj16EfEEvi20rocsparse_direction_NS_24const_host_device_scalarIT2_EEPKiS6_PKS3_S8_S4_PS3_21rocsparse_index_base_b
		.amdhsa_group_segment_fixed_size 0
		.amdhsa_private_segment_fixed_size 0
		.amdhsa_kernarg_size 72
		.amdhsa_user_sgpr_count 2
		.amdhsa_user_sgpr_dispatch_ptr 0
		.amdhsa_user_sgpr_queue_ptr 0
		.amdhsa_user_sgpr_kernarg_segment_ptr 1
		.amdhsa_user_sgpr_dispatch_id 0
		.amdhsa_user_sgpr_kernarg_preload_length 0
		.amdhsa_user_sgpr_kernarg_preload_offset 0
		.amdhsa_user_sgpr_private_segment_size 0
		.amdhsa_uses_dynamic_stack 0
		.amdhsa_enable_private_segment 0
		.amdhsa_system_sgpr_workgroup_id_x 1
		.amdhsa_system_sgpr_workgroup_id_y 0
		.amdhsa_system_sgpr_workgroup_id_z 0
		.amdhsa_system_sgpr_workgroup_info 0
		.amdhsa_system_vgpr_workitem_id 0
		.amdhsa_next_free_vgpr 44
		.amdhsa_next_free_sgpr 20
		.amdhsa_accum_offset 44
		.amdhsa_reserve_vcc 1
		.amdhsa_float_round_mode_32 0
		.amdhsa_float_round_mode_16_64 0
		.amdhsa_float_denorm_mode_32 3
		.amdhsa_float_denorm_mode_16_64 3
		.amdhsa_dx10_clamp 1
		.amdhsa_ieee_mode 1
		.amdhsa_fp16_overflow 0
		.amdhsa_tg_split 0
		.amdhsa_exception_fp_ieee_invalid_op 0
		.amdhsa_exception_fp_denorm_src 0
		.amdhsa_exception_fp_ieee_div_zero 0
		.amdhsa_exception_fp_ieee_overflow 0
		.amdhsa_exception_fp_ieee_underflow 0
		.amdhsa_exception_fp_ieee_inexact 0
		.amdhsa_exception_int_div_zero 0
	.end_amdhsa_kernel
	.section	.text._ZN9rocsparseL19gebsrmvn_2xn_kernelILj128ELj7ELj16EfEEvi20rocsparse_direction_NS_24const_host_device_scalarIT2_EEPKiS6_PKS3_S8_S4_PS3_21rocsparse_index_base_b,"axG",@progbits,_ZN9rocsparseL19gebsrmvn_2xn_kernelILj128ELj7ELj16EfEEvi20rocsparse_direction_NS_24const_host_device_scalarIT2_EEPKiS6_PKS3_S8_S4_PS3_21rocsparse_index_base_b,comdat
.Lfunc_end27:
	.size	_ZN9rocsparseL19gebsrmvn_2xn_kernelILj128ELj7ELj16EfEEvi20rocsparse_direction_NS_24const_host_device_scalarIT2_EEPKiS6_PKS3_S8_S4_PS3_21rocsparse_index_base_b, .Lfunc_end27-_ZN9rocsparseL19gebsrmvn_2xn_kernelILj128ELj7ELj16EfEEvi20rocsparse_direction_NS_24const_host_device_scalarIT2_EEPKiS6_PKS3_S8_S4_PS3_21rocsparse_index_base_b
                                        ; -- End function
	.section	.AMDGPU.csdata,"",@progbits
; Kernel info:
; codeLenInByte = 1576
; NumSgprs: 26
; NumVgprs: 44
; NumAgprs: 0
; TotalNumVgprs: 44
; ScratchSize: 0
; MemoryBound: 0
; FloatMode: 240
; IeeeMode: 1
; LDSByteSize: 0 bytes/workgroup (compile time only)
; SGPRBlocks: 3
; VGPRBlocks: 5
; NumSGPRsForWavesPerEU: 26
; NumVGPRsForWavesPerEU: 44
; AccumOffset: 44
; Occupancy: 8
; WaveLimiterHint : 1
; COMPUTE_PGM_RSRC2:SCRATCH_EN: 0
; COMPUTE_PGM_RSRC2:USER_SGPR: 2
; COMPUTE_PGM_RSRC2:TRAP_HANDLER: 0
; COMPUTE_PGM_RSRC2:TGID_X_EN: 1
; COMPUTE_PGM_RSRC2:TGID_Y_EN: 0
; COMPUTE_PGM_RSRC2:TGID_Z_EN: 0
; COMPUTE_PGM_RSRC2:TIDIG_COMP_CNT: 0
; COMPUTE_PGM_RSRC3_GFX90A:ACCUM_OFFSET: 10
; COMPUTE_PGM_RSRC3_GFX90A:TG_SPLIT: 0
	.section	.text._ZN9rocsparseL19gebsrmvn_2xn_kernelILj128ELj7ELj32EfEEvi20rocsparse_direction_NS_24const_host_device_scalarIT2_EEPKiS6_PKS3_S8_S4_PS3_21rocsparse_index_base_b,"axG",@progbits,_ZN9rocsparseL19gebsrmvn_2xn_kernelILj128ELj7ELj32EfEEvi20rocsparse_direction_NS_24const_host_device_scalarIT2_EEPKiS6_PKS3_S8_S4_PS3_21rocsparse_index_base_b,comdat
	.globl	_ZN9rocsparseL19gebsrmvn_2xn_kernelILj128ELj7ELj32EfEEvi20rocsparse_direction_NS_24const_host_device_scalarIT2_EEPKiS6_PKS3_S8_S4_PS3_21rocsparse_index_base_b ; -- Begin function _ZN9rocsparseL19gebsrmvn_2xn_kernelILj128ELj7ELj32EfEEvi20rocsparse_direction_NS_24const_host_device_scalarIT2_EEPKiS6_PKS3_S8_S4_PS3_21rocsparse_index_base_b
	.p2align	8
	.type	_ZN9rocsparseL19gebsrmvn_2xn_kernelILj128ELj7ELj32EfEEvi20rocsparse_direction_NS_24const_host_device_scalarIT2_EEPKiS6_PKS3_S8_S4_PS3_21rocsparse_index_base_b,@function
_ZN9rocsparseL19gebsrmvn_2xn_kernelILj128ELj7ELj32EfEEvi20rocsparse_direction_NS_24const_host_device_scalarIT2_EEPKiS6_PKS3_S8_S4_PS3_21rocsparse_index_base_b: ; @_ZN9rocsparseL19gebsrmvn_2xn_kernelILj128ELj7ELj32EfEEvi20rocsparse_direction_NS_24const_host_device_scalarIT2_EEPKiS6_PKS3_S8_S4_PS3_21rocsparse_index_base_b
; %bb.0:
	s_load_dwordx2 s[16:17], s[0:1], 0x40
	s_load_dwordx2 s[14:15], s[0:1], 0x8
	;; [unrolled: 1-line block ×3, first 2 shown]
	s_waitcnt lgkmcnt(0)
	s_bitcmp1_b32 s17, 0
	s_cselect_b64 s[6:7], -1, 0
	s_xor_b64 s[4:5], s[6:7], -1
	s_and_b64 vcc, exec, s[6:7]
	s_cbranch_vccnz .LBB28_2
; %bb.1:
	s_load_dword s14, s[14:15], 0x0
.LBB28_2:
	s_andn2_b64 vcc, exec, s[4:5]
	s_cbranch_vccnz .LBB28_4
; %bb.3:
	s_load_dword s12, s[12:13], 0x0
.LBB28_4:
	s_waitcnt lgkmcnt(0)
	v_cmp_eq_f32_e64 s[4:5], s14, 0
	v_cmp_eq_f32_e64 s[6:7], s12, 1.0
	s_and_b64 s[4:5], s[4:5], s[6:7]
	s_and_b64 vcc, exec, s[4:5]
	s_cbranch_vccnz .LBB28_22
; %bb.5:
	s_load_dwordx2 s[18:19], s[0:1], 0x0
	v_lshrrev_b32_e32 v1, 5, v0
	v_lshl_or_b32 v2, s2, 2, v1
	s_waitcnt lgkmcnt(0)
	v_cmp_gt_i32_e32 vcc, s18, v2
	s_and_saveexec_b64 s[2:3], vcc
	s_cbranch_execz .LBB28_22
; %bb.6:
	s_load_dwordx8 s[4:11], s[0:1], 0x10
	v_ashrrev_i32_e32 v3, 31, v2
	s_cmp_lg_u32 s19, 0
	s_waitcnt lgkmcnt(0)
	v_lshl_add_u64 v[4:5], v[2:3], 2, s[4:5]
	global_load_dwordx2 v[4:5], v[4:5], off
	v_and_b32_e32 v3, 31, v0
	s_waitcnt vmcnt(0)
	v_subrev_u32_e32 v0, s16, v4
	v_subrev_u32_e32 v12, s16, v5
	v_add_u32_e32 v0, v0, v3
	v_cmp_lt_i32_e64 s[2:3], v0, v12
	s_cbranch_scc0 .LBB28_12
; %bb.7:
	v_mov_b32_e32 v5, 0
	v_mov_b32_e32 v4, v5
	s_and_saveexec_b64 s[4:5], s[2:3]
	s_cbranch_execz .LBB28_11
; %bb.8:
	v_mad_u64_u32 v[6:7], s[18:19], v0, 14, 12
	v_mov_b32_e32 v9, 0
	s_mov_b64 s[18:19], 0
	v_mov_b32_e32 v10, v0
	v_mov_b32_e32 v4, v9
	;; [unrolled: 1-line block ×3, first 2 shown]
.LBB28_9:                               ; =>This Inner Loop Header: Depth=1
	v_ashrrev_i32_e32 v11, 31, v10
	v_lshl_add_u64 v[14:15], v[10:11], 2, s[6:7]
	global_load_dword v1, v[14:15], off
	v_add_u32_e32 v8, -12, v6
	v_mov_b32_e32 v7, v9
	v_lshl_add_u64 v[16:17], v[8:9], 2, s[8:9]
	v_add_u32_e32 v8, -10, v6
	v_lshl_add_u64 v[18:19], v[6:7], 2, s[8:9]
	v_lshl_add_u64 v[20:21], v[8:9], 2, s[8:9]
	global_load_dwordx2 v[16:17], v[16:17], off
	s_nop 0
	global_load_dwordx2 v[22:23], v[18:19], off
	global_load_dwordx2 v[24:25], v[20:21], off
	v_mov_b32_e32 v15, v9
	v_add_u32_e32 v10, 32, v10
	v_cmp_ge_i32_e32 vcc, v10, v12
	s_or_b64 s[18:19], vcc, s[18:19]
	s_waitcnt vmcnt(3)
	v_subrev_u32_e32 v1, s16, v1
	v_mul_lo_u32 v14, v1, 7
	v_add_u32_e32 v8, 1, v14
	v_lshl_add_u64 v[20:21], v[8:9], 2, s[10:11]
	v_add_u32_e32 v8, -8, v6
	v_lshl_add_u64 v[26:27], v[8:9], 2, s[8:9]
	v_add_u32_e32 v8, 2, v14
	v_lshl_add_u64 v[28:29], v[8:9], 2, s[10:11]
	v_add_u32_e32 v8, -6, v6
	v_lshl_add_u64 v[18:19], v[14:15], 2, s[10:11]
	v_lshl_add_u64 v[30:31], v[8:9], 2, s[8:9]
	v_add_u32_e32 v8, 3, v14
	global_load_dword v18, v[18:19], off
	v_lshl_add_u64 v[32:33], v[8:9], 2, s[10:11]
	global_load_dword v20, v[20:21], off
	v_add_u32_e32 v8, -4, v6
	v_lshl_add_u64 v[34:35], v[8:9], 2, s[8:9]
	v_add_u32_e32 v8, 4, v14
	global_load_dwordx2 v[26:27], v[26:27], off
	v_lshl_add_u64 v[36:37], v[8:9], 2, s[10:11]
	global_load_dword v28, v[28:29], off
	v_add_u32_e32 v8, -2, v6
	global_load_dwordx2 v[30:31], v[30:31], off
	v_lshl_add_u64 v[38:39], v[8:9], 2, s[8:9]
	global_load_dword v32, v[32:33], off
	v_add_u32_e32 v8, 5, v14
	global_load_dwordx2 v[34:35], v[34:35], off
	v_lshl_add_u64 v[40:41], v[8:9], 2, s[10:11]
	global_load_dword v36, v[36:37], off
	v_add_u32_e32 v8, 6, v14
	global_load_dwordx2 v[38:39], v[38:39], off
	v_add_u32_e32 v6, 0x1c0, v6
	global_load_dword v14, v[40:41], off
	v_lshl_add_u64 v[40:41], v[8:9], 2, s[10:11]
	global_load_dword v8, v[40:41], off
	s_waitcnt vmcnt(10)
	v_pk_fma_f32 v[4:5], v[16:17], v[18:19], v[4:5] op_sel_hi:[1,0,1]
	s_waitcnt vmcnt(9)
	v_pk_fma_f32 v[4:5], v[24:25], v[20:21], v[4:5] op_sel_hi:[1,0,1]
	;; [unrolled: 2-line block ×7, first 2 shown]
	s_andn2_b64 exec, exec, s[18:19]
	s_cbranch_execnz .LBB28_9
; %bb.10:
	s_or_b64 exec, exec, s[18:19]
.LBB28_11:
	s_or_b64 exec, exec, s[4:5]
	s_cbranch_execz .LBB28_13
	s_branch .LBB28_18
.LBB28_12:
                                        ; implicit-def: $vgpr5
.LBB28_13:
	v_mov_b32_e32 v5, 0
	v_mov_b32_e32 v4, v5
	s_and_saveexec_b64 s[4:5], s[2:3]
	s_cbranch_execz .LBB28_17
; %bb.14:
	v_mad_u64_u32 v[6:7], s[2:3], v0, 14, 13
	v_mov_b32_e32 v9, 0
	s_mov_b64 s[2:3], 0
	v_mov_b32_e32 v4, v9
	v_mov_b32_e32 v5, v9
.LBB28_15:                              ; =>This Inner Loop Header: Depth=1
	v_ashrrev_i32_e32 v1, 31, v0
	v_lshl_add_u64 v[10:11], v[0:1], 2, s[6:7]
	global_load_dword v1, v[10:11], off
	v_add_u32_e32 v8, -13, v6
	v_add_u32_e32 v10, -6, v6
	v_mov_b32_e32 v11, v9
	v_mov_b32_e32 v7, v9
	v_lshl_add_u64 v[16:17], v[8:9], 2, s[8:9]
	v_lshl_add_u64 v[10:11], v[10:11], 2, s[8:9]
	;; [unrolled: 1-line block ×3, first 2 shown]
	global_load_dwordx2 v[20:21], v[16:17], off
	global_load_dword v23, v[10:11], off
	global_load_dword v25, v[18:19], off
	v_mov_b32_e32 v15, v9
	v_add_u32_e32 v0, 32, v0
	v_cmp_ge_i32_e32 vcc, v0, v12
	s_or_b64 s[2:3], vcc, s[2:3]
	s_waitcnt vmcnt(3)
	v_subrev_u32_e32 v1, s16, v1
	v_mul_lo_u32 v14, v1, 7
	v_add_u32_e32 v8, 1, v14
	v_lshl_add_u64 v[16:17], v[8:9], 2, s[10:11]
	v_add_u32_e32 v8, -5, v6
	v_lshl_add_u64 v[18:19], v[8:9], 2, s[8:9]
	v_add_u32_e32 v8, -11, v6
	v_lshl_add_u64 v[10:11], v[14:15], 2, s[10:11]
	v_lshl_add_u64 v[26:27], v[8:9], 2, s[8:9]
	v_add_u32_e32 v8, 2, v14
	global_load_dword v10, v[10:11], off
	s_waitcnt vmcnt(3)
	v_mov_b32_e32 v22, v20
	global_load_dword v16, v[16:17], off
	s_nop 0
	global_load_dword v15, v[18:19], off
	global_load_dword v28, v[26:27], off
	v_lshl_add_u64 v[18:19], v[8:9], 2, s[10:11]
	v_add_u32_e32 v8, -4, v6
	v_lshl_add_u64 v[26:27], v[8:9], 2, s[8:9]
	v_add_u32_e32 v8, -10, v6
	v_lshl_add_u64 v[30:31], v[8:9], 2, s[8:9]
	v_add_u32_e32 v8, 3, v14
	global_load_dword v18, v[18:19], off
	s_nop 0
	global_load_dword v29, v[26:27], off
	global_load_dword v32, v[30:31], off
	v_lshl_add_u64 v[26:27], v[8:9], 2, s[10:11]
	v_add_u32_e32 v8, -3, v6
	v_lshl_add_u64 v[30:31], v[8:9], 2, s[8:9]
	v_add_u32_e32 v8, -9, v6
	v_lshl_add_u64 v[34:35], v[8:9], 2, s[8:9]
	v_add_u32_e32 v8, 4, v14
	;; [unrolled: 10-line block ×4, first 2 shown]
	global_load_dword v34, v[34:35], off
	s_nop 0
	global_load_dword v41, v[38:39], off
	global_load_dword v24, v[42:43], off
	v_lshl_add_u64 v[38:39], v[8:9], 2, s[10:11]
	global_load_dword v8, v[38:39], off
	v_mov_b32_e32 v14, v21
	v_add_u32_e32 v6, 0x1c0, v6
	s_waitcnt vmcnt(16)
	v_pk_fma_f32 v[4:5], v[22:23], v[10:11], v[4:5] op_sel_hi:[1,0,1]
	s_waitcnt vmcnt(14)
	v_pk_fma_f32 v[4:5], v[14:15], v[16:17], v[4:5] op_sel_hi:[1,0,1]
	;; [unrolled: 2-line block ×7, first 2 shown]
	s_andn2_b64 exec, exec, s[2:3]
	s_cbranch_execnz .LBB28_15
; %bb.16:
	s_or_b64 exec, exec, s[2:3]
.LBB28_17:
	s_or_b64 exec, exec, s[4:5]
.LBB28_18:
	v_mov_b32_dpp v0, v4 row_shr:1 row_mask:0xf bank_mask:0xf
	v_mov_b32_dpp v1, v5 row_shr:1 row_mask:0xf bank_mask:0xf
	v_pk_add_f32 v[0:1], v[4:5], v[0:1]
	v_cmp_eq_u32_e32 vcc, 31, v3
	s_nop 0
	v_mov_b32_dpp v4, v0 row_shr:2 row_mask:0xf bank_mask:0xf
	v_mov_b32_dpp v5, v1 row_shr:2 row_mask:0xf bank_mask:0xf
	v_pk_add_f32 v[0:1], v[0:1], v[4:5]
	s_nop 1
	v_mov_b32_dpp v4, v0 row_shr:4 row_mask:0xf bank_mask:0xe
	v_mov_b32_dpp v5, v1 row_shr:4 row_mask:0xf bank_mask:0xe
	v_pk_add_f32 v[0:1], v[0:1], v[4:5]
	;; [unrolled: 4-line block ×3, first 2 shown]
	s_nop 1
	v_mov_b32_dpp v4, v0 row_bcast:15 row_mask:0xa bank_mask:0xf
	v_mov_b32_dpp v5, v1 row_bcast:15 row_mask:0xa bank_mask:0xf
	s_and_b64 exec, exec, vcc
	s_cbranch_execz .LBB28_22
; %bb.19:
	s_load_dwordx2 s[0:1], s[0:1], 0x38
	v_cmp_eq_f32_e64 s[2:3], s12, 0
	v_pk_add_f32 v[0:1], v[0:1], v[4:5]
	s_and_b64 vcc, exec, s[2:3]
	v_lshlrev_b32_e32 v2, 1, v2
	s_cbranch_vccz .LBB28_23
; %bb.20:
	v_ashrrev_i32_e32 v3, 31, v2
	s_waitcnt lgkmcnt(0)
	v_lshl_add_u64 v[4:5], v[2:3], 2, s[0:1]
	v_pk_mul_f32 v[6:7], s[14:15], v[0:1] op_sel_hi:[0,1]
	global_store_dwordx2 v[4:5], v[6:7], off
	s_cbranch_execnz .LBB28_22
.LBB28_21:
	v_ashrrev_i32_e32 v3, 31, v2
	s_waitcnt lgkmcnt(0)
	v_lshl_add_u64 v[2:3], v[2:3], 2, s[0:1]
	global_load_dwordx2 v[4:5], v[2:3], off
	v_pk_mul_f32 v[0:1], s[14:15], v[0:1] op_sel_hi:[0,1]
	s_waitcnt vmcnt(0)
	v_pk_fma_f32 v[0:1], s[12:13], v[4:5], v[0:1] op_sel_hi:[0,1,1]
	global_store_dwordx2 v[2:3], v[0:1], off
.LBB28_22:
	s_endpgm
.LBB28_23:
	s_branch .LBB28_21
	.section	.rodata,"a",@progbits
	.p2align	6, 0x0
	.amdhsa_kernel _ZN9rocsparseL19gebsrmvn_2xn_kernelILj128ELj7ELj32EfEEvi20rocsparse_direction_NS_24const_host_device_scalarIT2_EEPKiS6_PKS3_S8_S4_PS3_21rocsparse_index_base_b
		.amdhsa_group_segment_fixed_size 0
		.amdhsa_private_segment_fixed_size 0
		.amdhsa_kernarg_size 72
		.amdhsa_user_sgpr_count 2
		.amdhsa_user_sgpr_dispatch_ptr 0
		.amdhsa_user_sgpr_queue_ptr 0
		.amdhsa_user_sgpr_kernarg_segment_ptr 1
		.amdhsa_user_sgpr_dispatch_id 0
		.amdhsa_user_sgpr_kernarg_preload_length 0
		.amdhsa_user_sgpr_kernarg_preload_offset 0
		.amdhsa_user_sgpr_private_segment_size 0
		.amdhsa_uses_dynamic_stack 0
		.amdhsa_enable_private_segment 0
		.amdhsa_system_sgpr_workgroup_id_x 1
		.amdhsa_system_sgpr_workgroup_id_y 0
		.amdhsa_system_sgpr_workgroup_id_z 0
		.amdhsa_system_sgpr_workgroup_info 0
		.amdhsa_system_vgpr_workitem_id 0
		.amdhsa_next_free_vgpr 44
		.amdhsa_next_free_sgpr 20
		.amdhsa_accum_offset 44
		.amdhsa_reserve_vcc 1
		.amdhsa_float_round_mode_32 0
		.amdhsa_float_round_mode_16_64 0
		.amdhsa_float_denorm_mode_32 3
		.amdhsa_float_denorm_mode_16_64 3
		.amdhsa_dx10_clamp 1
		.amdhsa_ieee_mode 1
		.amdhsa_fp16_overflow 0
		.amdhsa_tg_split 0
		.amdhsa_exception_fp_ieee_invalid_op 0
		.amdhsa_exception_fp_denorm_src 0
		.amdhsa_exception_fp_ieee_div_zero 0
		.amdhsa_exception_fp_ieee_overflow 0
		.amdhsa_exception_fp_ieee_underflow 0
		.amdhsa_exception_fp_ieee_inexact 0
		.amdhsa_exception_int_div_zero 0
	.end_amdhsa_kernel
	.section	.text._ZN9rocsparseL19gebsrmvn_2xn_kernelILj128ELj7ELj32EfEEvi20rocsparse_direction_NS_24const_host_device_scalarIT2_EEPKiS6_PKS3_S8_S4_PS3_21rocsparse_index_base_b,"axG",@progbits,_ZN9rocsparseL19gebsrmvn_2xn_kernelILj128ELj7ELj32EfEEvi20rocsparse_direction_NS_24const_host_device_scalarIT2_EEPKiS6_PKS3_S8_S4_PS3_21rocsparse_index_base_b,comdat
.Lfunc_end28:
	.size	_ZN9rocsparseL19gebsrmvn_2xn_kernelILj128ELj7ELj32EfEEvi20rocsparse_direction_NS_24const_host_device_scalarIT2_EEPKiS6_PKS3_S8_S4_PS3_21rocsparse_index_base_b, .Lfunc_end28-_ZN9rocsparseL19gebsrmvn_2xn_kernelILj128ELj7ELj32EfEEvi20rocsparse_direction_NS_24const_host_device_scalarIT2_EEPKiS6_PKS3_S8_S4_PS3_21rocsparse_index_base_b
                                        ; -- End function
	.section	.AMDGPU.csdata,"",@progbits
; Kernel info:
; codeLenInByte = 1604
; NumSgprs: 26
; NumVgprs: 44
; NumAgprs: 0
; TotalNumVgprs: 44
; ScratchSize: 0
; MemoryBound: 0
; FloatMode: 240
; IeeeMode: 1
; LDSByteSize: 0 bytes/workgroup (compile time only)
; SGPRBlocks: 3
; VGPRBlocks: 5
; NumSGPRsForWavesPerEU: 26
; NumVGPRsForWavesPerEU: 44
; AccumOffset: 44
; Occupancy: 8
; WaveLimiterHint : 1
; COMPUTE_PGM_RSRC2:SCRATCH_EN: 0
; COMPUTE_PGM_RSRC2:USER_SGPR: 2
; COMPUTE_PGM_RSRC2:TRAP_HANDLER: 0
; COMPUTE_PGM_RSRC2:TGID_X_EN: 1
; COMPUTE_PGM_RSRC2:TGID_Y_EN: 0
; COMPUTE_PGM_RSRC2:TGID_Z_EN: 0
; COMPUTE_PGM_RSRC2:TIDIG_COMP_CNT: 0
; COMPUTE_PGM_RSRC3_GFX90A:ACCUM_OFFSET: 10
; COMPUTE_PGM_RSRC3_GFX90A:TG_SPLIT: 0
	.section	.text._ZN9rocsparseL19gebsrmvn_2xn_kernelILj128ELj7ELj64EfEEvi20rocsparse_direction_NS_24const_host_device_scalarIT2_EEPKiS6_PKS3_S8_S4_PS3_21rocsparse_index_base_b,"axG",@progbits,_ZN9rocsparseL19gebsrmvn_2xn_kernelILj128ELj7ELj64EfEEvi20rocsparse_direction_NS_24const_host_device_scalarIT2_EEPKiS6_PKS3_S8_S4_PS3_21rocsparse_index_base_b,comdat
	.globl	_ZN9rocsparseL19gebsrmvn_2xn_kernelILj128ELj7ELj64EfEEvi20rocsparse_direction_NS_24const_host_device_scalarIT2_EEPKiS6_PKS3_S8_S4_PS3_21rocsparse_index_base_b ; -- Begin function _ZN9rocsparseL19gebsrmvn_2xn_kernelILj128ELj7ELj64EfEEvi20rocsparse_direction_NS_24const_host_device_scalarIT2_EEPKiS6_PKS3_S8_S4_PS3_21rocsparse_index_base_b
	.p2align	8
	.type	_ZN9rocsparseL19gebsrmvn_2xn_kernelILj128ELj7ELj64EfEEvi20rocsparse_direction_NS_24const_host_device_scalarIT2_EEPKiS6_PKS3_S8_S4_PS3_21rocsparse_index_base_b,@function
_ZN9rocsparseL19gebsrmvn_2xn_kernelILj128ELj7ELj64EfEEvi20rocsparse_direction_NS_24const_host_device_scalarIT2_EEPKiS6_PKS3_S8_S4_PS3_21rocsparse_index_base_b: ; @_ZN9rocsparseL19gebsrmvn_2xn_kernelILj128ELj7ELj64EfEEvi20rocsparse_direction_NS_24const_host_device_scalarIT2_EEPKiS6_PKS3_S8_S4_PS3_21rocsparse_index_base_b
; %bb.0:
	s_load_dwordx2 s[16:17], s[0:1], 0x40
	s_load_dwordx2 s[14:15], s[0:1], 0x8
	;; [unrolled: 1-line block ×3, first 2 shown]
	s_waitcnt lgkmcnt(0)
	s_bitcmp1_b32 s17, 0
	s_cselect_b64 s[6:7], -1, 0
	s_xor_b64 s[4:5], s[6:7], -1
	s_and_b64 vcc, exec, s[6:7]
	s_cbranch_vccnz .LBB29_2
; %bb.1:
	s_load_dword s14, s[14:15], 0x0
.LBB29_2:
	s_andn2_b64 vcc, exec, s[4:5]
	s_cbranch_vccnz .LBB29_4
; %bb.3:
	s_load_dword s12, s[12:13], 0x0
.LBB29_4:
	s_waitcnt lgkmcnt(0)
	v_cmp_eq_f32_e64 s[4:5], s14, 0
	v_cmp_eq_f32_e64 s[6:7], s12, 1.0
	s_and_b64 s[4:5], s[4:5], s[6:7]
	s_and_b64 vcc, exec, s[4:5]
	s_cbranch_vccnz .LBB29_22
; %bb.5:
	s_load_dwordx2 s[18:19], s[0:1], 0x0
	v_lshrrev_b32_e32 v1, 6, v0
	v_lshl_or_b32 v2, s2, 1, v1
	s_waitcnt lgkmcnt(0)
	v_cmp_gt_i32_e32 vcc, s18, v2
	s_and_saveexec_b64 s[2:3], vcc
	s_cbranch_execz .LBB29_22
; %bb.6:
	s_load_dwordx8 s[4:11], s[0:1], 0x10
	v_ashrrev_i32_e32 v3, 31, v2
	s_cmp_lg_u32 s19, 0
	s_waitcnt lgkmcnt(0)
	v_lshl_add_u64 v[4:5], v[2:3], 2, s[4:5]
	global_load_dwordx2 v[4:5], v[4:5], off
	v_and_b32_e32 v3, 63, v0
	s_waitcnt vmcnt(0)
	v_subrev_u32_e32 v0, s16, v4
	v_subrev_u32_e32 v12, s16, v5
	v_add_u32_e32 v0, v0, v3
	v_cmp_lt_i32_e64 s[2:3], v0, v12
	s_cbranch_scc0 .LBB29_12
; %bb.7:
	v_mov_b32_e32 v5, 0
	v_mov_b32_e32 v4, v5
	s_and_saveexec_b64 s[4:5], s[2:3]
	s_cbranch_execz .LBB29_11
; %bb.8:
	v_mad_u64_u32 v[6:7], s[18:19], v0, 14, 12
	v_mov_b32_e32 v9, 0
	s_mov_b64 s[18:19], 0
	v_mov_b32_e32 v10, v0
	v_mov_b32_e32 v4, v9
	;; [unrolled: 1-line block ×3, first 2 shown]
.LBB29_9:                               ; =>This Inner Loop Header: Depth=1
	v_ashrrev_i32_e32 v11, 31, v10
	v_lshl_add_u64 v[14:15], v[10:11], 2, s[6:7]
	global_load_dword v1, v[14:15], off
	v_add_u32_e32 v8, -12, v6
	v_mov_b32_e32 v7, v9
	v_lshl_add_u64 v[16:17], v[8:9], 2, s[8:9]
	v_add_u32_e32 v8, -10, v6
	v_lshl_add_u64 v[18:19], v[6:7], 2, s[8:9]
	v_lshl_add_u64 v[20:21], v[8:9], 2, s[8:9]
	global_load_dwordx2 v[16:17], v[16:17], off
	s_nop 0
	global_load_dwordx2 v[22:23], v[18:19], off
	global_load_dwordx2 v[24:25], v[20:21], off
	v_mov_b32_e32 v15, v9
	v_add_u32_e32 v10, 64, v10
	v_cmp_ge_i32_e32 vcc, v10, v12
	s_or_b64 s[18:19], vcc, s[18:19]
	s_waitcnt vmcnt(3)
	v_subrev_u32_e32 v1, s16, v1
	v_mul_lo_u32 v14, v1, 7
	v_add_u32_e32 v8, 1, v14
	v_lshl_add_u64 v[20:21], v[8:9], 2, s[10:11]
	v_add_u32_e32 v8, -8, v6
	v_lshl_add_u64 v[26:27], v[8:9], 2, s[8:9]
	v_add_u32_e32 v8, 2, v14
	v_lshl_add_u64 v[28:29], v[8:9], 2, s[10:11]
	v_add_u32_e32 v8, -6, v6
	v_lshl_add_u64 v[18:19], v[14:15], 2, s[10:11]
	v_lshl_add_u64 v[30:31], v[8:9], 2, s[8:9]
	v_add_u32_e32 v8, 3, v14
	global_load_dword v18, v[18:19], off
	v_lshl_add_u64 v[32:33], v[8:9], 2, s[10:11]
	global_load_dword v20, v[20:21], off
	v_add_u32_e32 v8, -4, v6
	v_lshl_add_u64 v[34:35], v[8:9], 2, s[8:9]
	v_add_u32_e32 v8, 4, v14
	global_load_dwordx2 v[26:27], v[26:27], off
	v_lshl_add_u64 v[36:37], v[8:9], 2, s[10:11]
	global_load_dword v28, v[28:29], off
	v_add_u32_e32 v8, -2, v6
	global_load_dwordx2 v[30:31], v[30:31], off
	v_lshl_add_u64 v[38:39], v[8:9], 2, s[8:9]
	global_load_dword v32, v[32:33], off
	v_add_u32_e32 v8, 5, v14
	global_load_dwordx2 v[34:35], v[34:35], off
	v_lshl_add_u64 v[40:41], v[8:9], 2, s[10:11]
	global_load_dword v36, v[36:37], off
	v_add_u32_e32 v8, 6, v14
	global_load_dwordx2 v[38:39], v[38:39], off
	v_add_u32_e32 v6, 0x380, v6
	global_load_dword v14, v[40:41], off
	v_lshl_add_u64 v[40:41], v[8:9], 2, s[10:11]
	global_load_dword v8, v[40:41], off
	s_waitcnt vmcnt(10)
	v_pk_fma_f32 v[4:5], v[16:17], v[18:19], v[4:5] op_sel_hi:[1,0,1]
	s_waitcnt vmcnt(9)
	v_pk_fma_f32 v[4:5], v[24:25], v[20:21], v[4:5] op_sel_hi:[1,0,1]
	s_waitcnt vmcnt(7)
	v_pk_fma_f32 v[4:5], v[26:27], v[28:29], v[4:5] op_sel_hi:[1,0,1]
	s_waitcnt vmcnt(5)
	v_pk_fma_f32 v[4:5], v[30:31], v[32:33], v[4:5] op_sel_hi:[1,0,1]
	s_waitcnt vmcnt(3)
	v_pk_fma_f32 v[4:5], v[34:35], v[36:37], v[4:5] op_sel_hi:[1,0,1]
	s_waitcnt vmcnt(1)
	v_pk_fma_f32 v[4:5], v[38:39], v[14:15], v[4:5] op_sel_hi:[1,0,1]
	s_waitcnt vmcnt(0)
	v_pk_fma_f32 v[4:5], v[22:23], v[8:9], v[4:5] op_sel_hi:[1,0,1]
	s_andn2_b64 exec, exec, s[18:19]
	s_cbranch_execnz .LBB29_9
; %bb.10:
	s_or_b64 exec, exec, s[18:19]
.LBB29_11:
	s_or_b64 exec, exec, s[4:5]
	s_cbranch_execz .LBB29_13
	s_branch .LBB29_18
.LBB29_12:
                                        ; implicit-def: $vgpr5
.LBB29_13:
	v_mov_b32_e32 v5, 0
	v_mov_b32_e32 v4, v5
	s_and_saveexec_b64 s[4:5], s[2:3]
	s_cbranch_execz .LBB29_17
; %bb.14:
	v_mad_u64_u32 v[6:7], s[2:3], v0, 14, 13
	v_mov_b32_e32 v9, 0
	s_mov_b64 s[2:3], 0
	v_mov_b32_e32 v4, v9
	v_mov_b32_e32 v5, v9
.LBB29_15:                              ; =>This Inner Loop Header: Depth=1
	v_ashrrev_i32_e32 v1, 31, v0
	v_lshl_add_u64 v[10:11], v[0:1], 2, s[6:7]
	global_load_dword v1, v[10:11], off
	v_add_u32_e32 v8, -13, v6
	v_add_u32_e32 v10, -6, v6
	v_mov_b32_e32 v11, v9
	v_mov_b32_e32 v7, v9
	v_lshl_add_u64 v[16:17], v[8:9], 2, s[8:9]
	v_lshl_add_u64 v[10:11], v[10:11], 2, s[8:9]
	;; [unrolled: 1-line block ×3, first 2 shown]
	global_load_dwordx2 v[20:21], v[16:17], off
	global_load_dword v23, v[10:11], off
	global_load_dword v25, v[18:19], off
	v_mov_b32_e32 v15, v9
	v_add_u32_e32 v0, 64, v0
	v_cmp_ge_i32_e32 vcc, v0, v12
	s_or_b64 s[2:3], vcc, s[2:3]
	s_waitcnt vmcnt(3)
	v_subrev_u32_e32 v1, s16, v1
	v_mul_lo_u32 v14, v1, 7
	v_add_u32_e32 v8, 1, v14
	v_lshl_add_u64 v[16:17], v[8:9], 2, s[10:11]
	v_add_u32_e32 v8, -5, v6
	v_lshl_add_u64 v[18:19], v[8:9], 2, s[8:9]
	v_add_u32_e32 v8, -11, v6
	v_lshl_add_u64 v[10:11], v[14:15], 2, s[10:11]
	v_lshl_add_u64 v[26:27], v[8:9], 2, s[8:9]
	v_add_u32_e32 v8, 2, v14
	global_load_dword v10, v[10:11], off
	s_waitcnt vmcnt(3)
	v_mov_b32_e32 v22, v20
	global_load_dword v16, v[16:17], off
	s_nop 0
	global_load_dword v15, v[18:19], off
	global_load_dword v28, v[26:27], off
	v_lshl_add_u64 v[18:19], v[8:9], 2, s[10:11]
	v_add_u32_e32 v8, -4, v6
	v_lshl_add_u64 v[26:27], v[8:9], 2, s[8:9]
	v_add_u32_e32 v8, -10, v6
	v_lshl_add_u64 v[30:31], v[8:9], 2, s[8:9]
	v_add_u32_e32 v8, 3, v14
	global_load_dword v18, v[18:19], off
	s_nop 0
	global_load_dword v29, v[26:27], off
	global_load_dword v32, v[30:31], off
	v_lshl_add_u64 v[26:27], v[8:9], 2, s[10:11]
	v_add_u32_e32 v8, -3, v6
	v_lshl_add_u64 v[30:31], v[8:9], 2, s[8:9]
	v_add_u32_e32 v8, -9, v6
	v_lshl_add_u64 v[34:35], v[8:9], 2, s[8:9]
	v_add_u32_e32 v8, 4, v14
	;; [unrolled: 10-line block ×4, first 2 shown]
	global_load_dword v34, v[34:35], off
	s_nop 0
	global_load_dword v41, v[38:39], off
	global_load_dword v24, v[42:43], off
	v_lshl_add_u64 v[38:39], v[8:9], 2, s[10:11]
	global_load_dword v8, v[38:39], off
	v_mov_b32_e32 v14, v21
	v_add_u32_e32 v6, 0x380, v6
	s_waitcnt vmcnt(16)
	v_pk_fma_f32 v[4:5], v[22:23], v[10:11], v[4:5] op_sel_hi:[1,0,1]
	s_waitcnt vmcnt(14)
	v_pk_fma_f32 v[4:5], v[14:15], v[16:17], v[4:5] op_sel_hi:[1,0,1]
	;; [unrolled: 2-line block ×7, first 2 shown]
	s_andn2_b64 exec, exec, s[2:3]
	s_cbranch_execnz .LBB29_15
; %bb.16:
	s_or_b64 exec, exec, s[2:3]
.LBB29_17:
	s_or_b64 exec, exec, s[4:5]
.LBB29_18:
	v_mov_b32_dpp v0, v4 row_shr:1 row_mask:0xf bank_mask:0xf
	v_mov_b32_dpp v1, v5 row_shr:1 row_mask:0xf bank_mask:0xf
	v_pk_add_f32 v[0:1], v[4:5], v[0:1]
	v_cmp_eq_u32_e32 vcc, 63, v3
	s_nop 0
	v_mov_b32_dpp v4, v0 row_shr:2 row_mask:0xf bank_mask:0xf
	v_mov_b32_dpp v5, v1 row_shr:2 row_mask:0xf bank_mask:0xf
	v_pk_add_f32 v[0:1], v[0:1], v[4:5]
	s_nop 1
	v_mov_b32_dpp v4, v0 row_shr:4 row_mask:0xf bank_mask:0xe
	v_mov_b32_dpp v5, v1 row_shr:4 row_mask:0xf bank_mask:0xe
	v_pk_add_f32 v[0:1], v[0:1], v[4:5]
	;; [unrolled: 4-line block ×3, first 2 shown]
	s_nop 1
	v_mov_b32_dpp v4, v0 row_bcast:15 row_mask:0xa bank_mask:0xf
	v_mov_b32_dpp v5, v1 row_bcast:15 row_mask:0xa bank_mask:0xf
	v_pk_add_f32 v[0:1], v[0:1], v[4:5]
	s_nop 1
	v_mov_b32_dpp v4, v0 row_bcast:31 row_mask:0xc bank_mask:0xf
	v_mov_b32_dpp v5, v1 row_bcast:31 row_mask:0xc bank_mask:0xf
	s_and_b64 exec, exec, vcc
	s_cbranch_execz .LBB29_22
; %bb.19:
	s_load_dwordx2 s[0:1], s[0:1], 0x38
	v_cmp_eq_f32_e64 s[2:3], s12, 0
	v_pk_add_f32 v[0:1], v[0:1], v[4:5]
	s_and_b64 vcc, exec, s[2:3]
	v_lshlrev_b32_e32 v2, 1, v2
	s_cbranch_vccz .LBB29_23
; %bb.20:
	v_ashrrev_i32_e32 v3, 31, v2
	s_waitcnt lgkmcnt(0)
	v_lshl_add_u64 v[4:5], v[2:3], 2, s[0:1]
	v_pk_mul_f32 v[6:7], s[14:15], v[0:1] op_sel_hi:[0,1]
	global_store_dwordx2 v[4:5], v[6:7], off
	s_cbranch_execnz .LBB29_22
.LBB29_21:
	v_ashrrev_i32_e32 v3, 31, v2
	s_waitcnt lgkmcnt(0)
	v_lshl_add_u64 v[2:3], v[2:3], 2, s[0:1]
	global_load_dwordx2 v[4:5], v[2:3], off
	v_pk_mul_f32 v[0:1], s[14:15], v[0:1] op_sel_hi:[0,1]
	s_waitcnt vmcnt(0)
	v_pk_fma_f32 v[0:1], s[12:13], v[4:5], v[0:1] op_sel_hi:[0,1,1]
	global_store_dwordx2 v[2:3], v[0:1], off
.LBB29_22:
	s_endpgm
.LBB29_23:
	s_branch .LBB29_21
	.section	.rodata,"a",@progbits
	.p2align	6, 0x0
	.amdhsa_kernel _ZN9rocsparseL19gebsrmvn_2xn_kernelILj128ELj7ELj64EfEEvi20rocsparse_direction_NS_24const_host_device_scalarIT2_EEPKiS6_PKS3_S8_S4_PS3_21rocsparse_index_base_b
		.amdhsa_group_segment_fixed_size 0
		.amdhsa_private_segment_fixed_size 0
		.amdhsa_kernarg_size 72
		.amdhsa_user_sgpr_count 2
		.amdhsa_user_sgpr_dispatch_ptr 0
		.amdhsa_user_sgpr_queue_ptr 0
		.amdhsa_user_sgpr_kernarg_segment_ptr 1
		.amdhsa_user_sgpr_dispatch_id 0
		.amdhsa_user_sgpr_kernarg_preload_length 0
		.amdhsa_user_sgpr_kernarg_preload_offset 0
		.amdhsa_user_sgpr_private_segment_size 0
		.amdhsa_uses_dynamic_stack 0
		.amdhsa_enable_private_segment 0
		.amdhsa_system_sgpr_workgroup_id_x 1
		.amdhsa_system_sgpr_workgroup_id_y 0
		.amdhsa_system_sgpr_workgroup_id_z 0
		.amdhsa_system_sgpr_workgroup_info 0
		.amdhsa_system_vgpr_workitem_id 0
		.amdhsa_next_free_vgpr 44
		.amdhsa_next_free_sgpr 20
		.amdhsa_accum_offset 44
		.amdhsa_reserve_vcc 1
		.amdhsa_float_round_mode_32 0
		.amdhsa_float_round_mode_16_64 0
		.amdhsa_float_denorm_mode_32 3
		.amdhsa_float_denorm_mode_16_64 3
		.amdhsa_dx10_clamp 1
		.amdhsa_ieee_mode 1
		.amdhsa_fp16_overflow 0
		.amdhsa_tg_split 0
		.amdhsa_exception_fp_ieee_invalid_op 0
		.amdhsa_exception_fp_denorm_src 0
		.amdhsa_exception_fp_ieee_div_zero 0
		.amdhsa_exception_fp_ieee_overflow 0
		.amdhsa_exception_fp_ieee_underflow 0
		.amdhsa_exception_fp_ieee_inexact 0
		.amdhsa_exception_int_div_zero 0
	.end_amdhsa_kernel
	.section	.text._ZN9rocsparseL19gebsrmvn_2xn_kernelILj128ELj7ELj64EfEEvi20rocsparse_direction_NS_24const_host_device_scalarIT2_EEPKiS6_PKS3_S8_S4_PS3_21rocsparse_index_base_b,"axG",@progbits,_ZN9rocsparseL19gebsrmvn_2xn_kernelILj128ELj7ELj64EfEEvi20rocsparse_direction_NS_24const_host_device_scalarIT2_EEPKiS6_PKS3_S8_S4_PS3_21rocsparse_index_base_b,comdat
.Lfunc_end29:
	.size	_ZN9rocsparseL19gebsrmvn_2xn_kernelILj128ELj7ELj64EfEEvi20rocsparse_direction_NS_24const_host_device_scalarIT2_EEPKiS6_PKS3_S8_S4_PS3_21rocsparse_index_base_b, .Lfunc_end29-_ZN9rocsparseL19gebsrmvn_2xn_kernelILj128ELj7ELj64EfEEvi20rocsparse_direction_NS_24const_host_device_scalarIT2_EEPKiS6_PKS3_S8_S4_PS3_21rocsparse_index_base_b
                                        ; -- End function
	.section	.AMDGPU.csdata,"",@progbits
; Kernel info:
; codeLenInByte = 1632
; NumSgprs: 26
; NumVgprs: 44
; NumAgprs: 0
; TotalNumVgprs: 44
; ScratchSize: 0
; MemoryBound: 0
; FloatMode: 240
; IeeeMode: 1
; LDSByteSize: 0 bytes/workgroup (compile time only)
; SGPRBlocks: 3
; VGPRBlocks: 5
; NumSGPRsForWavesPerEU: 26
; NumVGPRsForWavesPerEU: 44
; AccumOffset: 44
; Occupancy: 8
; WaveLimiterHint : 1
; COMPUTE_PGM_RSRC2:SCRATCH_EN: 0
; COMPUTE_PGM_RSRC2:USER_SGPR: 2
; COMPUTE_PGM_RSRC2:TRAP_HANDLER: 0
; COMPUTE_PGM_RSRC2:TGID_X_EN: 1
; COMPUTE_PGM_RSRC2:TGID_Y_EN: 0
; COMPUTE_PGM_RSRC2:TGID_Z_EN: 0
; COMPUTE_PGM_RSRC2:TIDIG_COMP_CNT: 0
; COMPUTE_PGM_RSRC3_GFX90A:ACCUM_OFFSET: 10
; COMPUTE_PGM_RSRC3_GFX90A:TG_SPLIT: 0
	.section	.text._ZN9rocsparseL19gebsrmvn_2xn_kernelILj128ELj8ELj4EfEEvi20rocsparse_direction_NS_24const_host_device_scalarIT2_EEPKiS6_PKS3_S8_S4_PS3_21rocsparse_index_base_b,"axG",@progbits,_ZN9rocsparseL19gebsrmvn_2xn_kernelILj128ELj8ELj4EfEEvi20rocsparse_direction_NS_24const_host_device_scalarIT2_EEPKiS6_PKS3_S8_S4_PS3_21rocsparse_index_base_b,comdat
	.globl	_ZN9rocsparseL19gebsrmvn_2xn_kernelILj128ELj8ELj4EfEEvi20rocsparse_direction_NS_24const_host_device_scalarIT2_EEPKiS6_PKS3_S8_S4_PS3_21rocsparse_index_base_b ; -- Begin function _ZN9rocsparseL19gebsrmvn_2xn_kernelILj128ELj8ELj4EfEEvi20rocsparse_direction_NS_24const_host_device_scalarIT2_EEPKiS6_PKS3_S8_S4_PS3_21rocsparse_index_base_b
	.p2align	8
	.type	_ZN9rocsparseL19gebsrmvn_2xn_kernelILj128ELj8ELj4EfEEvi20rocsparse_direction_NS_24const_host_device_scalarIT2_EEPKiS6_PKS3_S8_S4_PS3_21rocsparse_index_base_b,@function
_ZN9rocsparseL19gebsrmvn_2xn_kernelILj128ELj8ELj4EfEEvi20rocsparse_direction_NS_24const_host_device_scalarIT2_EEPKiS6_PKS3_S8_S4_PS3_21rocsparse_index_base_b: ; @_ZN9rocsparseL19gebsrmvn_2xn_kernelILj128ELj8ELj4EfEEvi20rocsparse_direction_NS_24const_host_device_scalarIT2_EEPKiS6_PKS3_S8_S4_PS3_21rocsparse_index_base_b
; %bb.0:
	s_load_dwordx2 s[16:17], s[0:1], 0x40
	s_load_dwordx2 s[14:15], s[0:1], 0x8
	;; [unrolled: 1-line block ×3, first 2 shown]
	s_waitcnt lgkmcnt(0)
	s_bitcmp1_b32 s17, 0
	s_cselect_b64 s[6:7], -1, 0
	s_xor_b64 s[4:5], s[6:7], -1
	s_and_b64 vcc, exec, s[6:7]
	s_cbranch_vccnz .LBB30_2
; %bb.1:
	s_load_dword s14, s[14:15], 0x0
.LBB30_2:
	s_andn2_b64 vcc, exec, s[4:5]
	s_cbranch_vccnz .LBB30_4
; %bb.3:
	s_load_dword s12, s[12:13], 0x0
.LBB30_4:
	s_waitcnt lgkmcnt(0)
	v_cmp_eq_f32_e64 s[4:5], s14, 0
	v_cmp_eq_f32_e64 s[6:7], s12, 1.0
	s_and_b64 s[4:5], s[4:5], s[6:7]
	s_and_b64 vcc, exec, s[4:5]
	s_cbranch_vccnz .LBB30_22
; %bb.5:
	s_load_dwordx2 s[18:19], s[0:1], 0x0
	v_lshrrev_b32_e32 v1, 2, v0
	v_lshl_or_b32 v2, s2, 5, v1
	s_waitcnt lgkmcnt(0)
	v_cmp_gt_i32_e32 vcc, s18, v2
	s_and_saveexec_b64 s[2:3], vcc
	s_cbranch_execz .LBB30_22
; %bb.6:
	s_load_dwordx8 s[4:11], s[0:1], 0x10
	v_ashrrev_i32_e32 v3, 31, v2
	s_cmp_lg_u32 s19, 0
	s_waitcnt lgkmcnt(0)
	v_lshl_add_u64 v[4:5], v[2:3], 2, s[4:5]
	global_load_dwordx2 v[4:5], v[4:5], off
	v_and_b32_e32 v3, 3, v0
	s_waitcnt vmcnt(0)
	v_subrev_u32_e32 v0, s16, v4
	v_subrev_u32_e32 v10, s16, v5
	v_add_u32_e32 v0, v0, v3
	v_cmp_lt_i32_e64 s[2:3], v0, v10
	s_cbranch_scc0 .LBB30_12
; %bb.7:
	v_mov_b32_e32 v5, 0
	v_mov_b32_e32 v4, v5
	s_and_saveexec_b64 s[4:5], s[2:3]
	s_cbranch_execz .LBB30_11
; %bb.8:
	v_mov_b32_e32 v7, 0
	v_lshlrev_b32_e32 v6, 4, v0
	s_mov_b64 s[18:19], 0
	v_mov_b32_e32 v8, v0
	v_mov_b32_e32 v4, v7
	;; [unrolled: 1-line block ×3, first 2 shown]
.LBB30_9:                               ; =>This Inner Loop Header: Depth=1
	v_ashrrev_i32_e32 v9, 31, v8
	v_lshl_add_u64 v[12:13], v[8:9], 2, s[6:7]
	global_load_dword v1, v[12:13], off
	v_lshl_add_u64 v[36:37], v[6:7], 2, s[8:9]
	global_load_dwordx4 v[12:15], v[36:37], off offset:16
	global_load_dwordx4 v[16:19], v[36:37], off
	v_mov_b32_e32 v21, v7
	v_add_u32_e32 v8, 4, v8
	v_cmp_ge_i32_e32 vcc, v8, v10
	v_add_u32_e32 v6, 64, v6
	s_or_b64 s[18:19], vcc, s[18:19]
	s_waitcnt vmcnt(2)
	v_subrev_u32_e32 v1, s16, v1
	v_lshlrev_b32_e32 v20, 3, v1
	v_lshl_add_u64 v[38:39], v[20:21], 2, s[10:11]
	global_load_dwordx4 v[20:23], v[38:39], off
	global_load_dwordx4 v[24:27], v[38:39], off offset:16
	global_load_dwordx4 v[28:31], v[36:37], off offset:32
	global_load_dwordx4 v[32:35], v[36:37], off offset:48
	s_waitcnt vmcnt(3)
	v_pk_fma_f32 v[4:5], v[16:17], v[20:21], v[4:5] op_sel_hi:[1,0,1]
	s_nop 0
	v_pk_fma_f32 v[4:5], v[18:19], v[20:21], v[4:5] op_sel:[0,1,0]
	v_mov_b32_e32 v16, v23
	v_pk_fma_f32 v[4:5], v[12:13], v[22:23], v[4:5] op_sel_hi:[1,0,1]
	s_waitcnt vmcnt(2)
	v_mov_b32_e32 v36, v27
	v_pk_fma_f32 v[4:5], v[14:15], v[16:17], v[4:5] op_sel_hi:[1,0,1]
	s_waitcnt vmcnt(1)
	v_pk_fma_f32 v[4:5], v[28:29], v[24:25], v[4:5] op_sel_hi:[1,0,1]
	s_nop 0
	v_pk_fma_f32 v[4:5], v[30:31], v[24:25], v[4:5] op_sel:[0,1,0]
	s_waitcnt vmcnt(0)
	v_pk_fma_f32 v[4:5], v[32:33], v[26:27], v[4:5] op_sel_hi:[1,0,1]
	s_nop 0
	v_pk_fma_f32 v[4:5], v[34:35], v[36:37], v[4:5] op_sel_hi:[1,0,1]
	s_andn2_b64 exec, exec, s[18:19]
	s_cbranch_execnz .LBB30_9
; %bb.10:
	s_or_b64 exec, exec, s[18:19]
.LBB30_11:
	s_or_b64 exec, exec, s[4:5]
	s_cbranch_execz .LBB30_13
	s_branch .LBB30_18
.LBB30_12:
                                        ; implicit-def: $vgpr5
.LBB30_13:
	v_mov_b32_e32 v5, 0
	v_mov_b32_e32 v4, v5
	s_and_saveexec_b64 s[4:5], s[2:3]
	s_cbranch_execz .LBB30_17
; %bb.14:
	v_mov_b32_e32 v7, 0
	v_lshlrev_b32_e32 v6, 4, v0
	s_mov_b64 s[2:3], 0
	v_mov_b32_e32 v4, v7
	v_mov_b32_e32 v5, v7
.LBB30_15:                              ; =>This Inner Loop Header: Depth=1
	v_ashrrev_i32_e32 v1, 31, v0
	v_lshl_add_u64 v[8:9], v[0:1], 2, s[6:7]
	global_load_dword v1, v[8:9], off
	v_lshl_add_u64 v[8:9], v[6:7], 2, s[8:9]
	v_mov_b32_e32 v29, v7
	global_load_dwordx4 v[12:15], v[8:9], off
	global_load_dwordx4 v[16:19], v[8:9], off offset:32
	global_load_dwordx4 v[20:23], v[8:9], off offset:16
	;; [unrolled: 1-line block ×3, first 2 shown]
	v_add_u32_e32 v0, 4, v0
	v_cmp_ge_i32_e32 vcc, v0, v10
	v_add_u32_e32 v6, 64, v6
	s_or_b64 s[2:3], vcc, s[2:3]
	s_waitcnt vmcnt(4)
	v_subrev_u32_e32 v1, s16, v1
	v_lshlrev_b32_e32 v28, 3, v1
	v_lshl_add_u64 v[8:9], v[28:29], 2, s[10:11]
	global_load_dwordx4 v[28:31], v[8:9], off
	global_load_dwordx4 v[32:35], v[8:9], off offset:16
	s_waitcnt vmcnt(5)
	v_mov_b32_e32 v8, v12
	s_waitcnt vmcnt(4)
	v_mov_b32_e32 v9, v16
	v_mov_b32_e32 v16, v13
	;; [unrolled: 1-line block ×5, first 2 shown]
	s_waitcnt vmcnt(3)
	v_mov_b32_e32 v14, v20
	s_waitcnt vmcnt(2)
	v_mov_b32_e32 v15, v24
	v_mov_b32_e32 v24, v21
	;; [unrolled: 1-line block ×5, first 2 shown]
	s_waitcnt vmcnt(1)
	v_pk_fma_f32 v[4:5], v[8:9], v[28:29], v[4:5] op_sel_hi:[1,0,1]
	s_nop 0
	v_pk_fma_f32 v[4:5], v[16:17], v[28:29], v[4:5] op_sel:[0,1,0]
	v_mov_b32_e32 v8, v31
	v_pk_fma_f32 v[4:5], v[12:13], v[30:31], v[4:5] op_sel_hi:[1,0,1]
	s_waitcnt vmcnt(0)
	v_mov_b32_e32 v22, v35
	v_pk_fma_f32 v[4:5], v[18:19], v[8:9], v[4:5] op_sel_hi:[1,0,1]
	s_nop 0
	v_pk_fma_f32 v[4:5], v[14:15], v[32:33], v[4:5] op_sel_hi:[1,0,1]
	s_nop 0
	v_pk_fma_f32 v[4:5], v[24:25], v[32:33], v[4:5] op_sel:[0,1,0]
	s_nop 0
	v_pk_fma_f32 v[4:5], v[20:21], v[34:35], v[4:5] op_sel_hi:[1,0,1]
	s_nop 0
	v_pk_fma_f32 v[4:5], v[26:27], v[22:23], v[4:5] op_sel_hi:[1,0,1]
	s_andn2_b64 exec, exec, s[2:3]
	s_cbranch_execnz .LBB30_15
; %bb.16:
	s_or_b64 exec, exec, s[2:3]
.LBB30_17:
	s_or_b64 exec, exec, s[4:5]
.LBB30_18:
	v_mov_b32_dpp v0, v4 row_shr:1 row_mask:0xf bank_mask:0xf
	v_mov_b32_dpp v1, v5 row_shr:1 row_mask:0xf bank_mask:0xf
	v_pk_add_f32 v[0:1], v[4:5], v[0:1]
	v_cmp_eq_u32_e32 vcc, 3, v3
	s_nop 0
	v_mov_b32_dpp v4, v0 row_shr:2 row_mask:0xf bank_mask:0xf
	v_mov_b32_dpp v5, v1 row_shr:2 row_mask:0xf bank_mask:0xf
	s_and_b64 exec, exec, vcc
	s_cbranch_execz .LBB30_22
; %bb.19:
	s_load_dwordx2 s[0:1], s[0:1], 0x38
	v_cmp_eq_f32_e64 s[2:3], s12, 0
	v_pk_add_f32 v[0:1], v[0:1], v[4:5]
	s_and_b64 vcc, exec, s[2:3]
	v_lshlrev_b32_e32 v2, 1, v2
	s_cbranch_vccz .LBB30_23
; %bb.20:
	v_ashrrev_i32_e32 v3, 31, v2
	s_waitcnt lgkmcnt(0)
	v_lshl_add_u64 v[4:5], v[2:3], 2, s[0:1]
	v_pk_mul_f32 v[6:7], s[14:15], v[0:1] op_sel_hi:[0,1]
	global_store_dwordx2 v[4:5], v[6:7], off
	s_cbranch_execnz .LBB30_22
.LBB30_21:
	v_ashrrev_i32_e32 v3, 31, v2
	s_waitcnt lgkmcnt(0)
	v_lshl_add_u64 v[2:3], v[2:3], 2, s[0:1]
	global_load_dwordx2 v[4:5], v[2:3], off
	v_pk_mul_f32 v[0:1], s[14:15], v[0:1] op_sel_hi:[0,1]
	s_waitcnt vmcnt(0)
	v_pk_fma_f32 v[0:1], s[12:13], v[4:5], v[0:1] op_sel_hi:[0,1,1]
	global_store_dwordx2 v[2:3], v[0:1], off
.LBB30_22:
	s_endpgm
.LBB30_23:
	s_branch .LBB30_21
	.section	.rodata,"a",@progbits
	.p2align	6, 0x0
	.amdhsa_kernel _ZN9rocsparseL19gebsrmvn_2xn_kernelILj128ELj8ELj4EfEEvi20rocsparse_direction_NS_24const_host_device_scalarIT2_EEPKiS6_PKS3_S8_S4_PS3_21rocsparse_index_base_b
		.amdhsa_group_segment_fixed_size 0
		.amdhsa_private_segment_fixed_size 0
		.amdhsa_kernarg_size 72
		.amdhsa_user_sgpr_count 2
		.amdhsa_user_sgpr_dispatch_ptr 0
		.amdhsa_user_sgpr_queue_ptr 0
		.amdhsa_user_sgpr_kernarg_segment_ptr 1
		.amdhsa_user_sgpr_dispatch_id 0
		.amdhsa_user_sgpr_kernarg_preload_length 0
		.amdhsa_user_sgpr_kernarg_preload_offset 0
		.amdhsa_user_sgpr_private_segment_size 0
		.amdhsa_uses_dynamic_stack 0
		.amdhsa_enable_private_segment 0
		.amdhsa_system_sgpr_workgroup_id_x 1
		.amdhsa_system_sgpr_workgroup_id_y 0
		.amdhsa_system_sgpr_workgroup_id_z 0
		.amdhsa_system_sgpr_workgroup_info 0
		.amdhsa_system_vgpr_workitem_id 0
		.amdhsa_next_free_vgpr 40
		.amdhsa_next_free_sgpr 20
		.amdhsa_accum_offset 40
		.amdhsa_reserve_vcc 1
		.amdhsa_float_round_mode_32 0
		.amdhsa_float_round_mode_16_64 0
		.amdhsa_float_denorm_mode_32 3
		.amdhsa_float_denorm_mode_16_64 3
		.amdhsa_dx10_clamp 1
		.amdhsa_ieee_mode 1
		.amdhsa_fp16_overflow 0
		.amdhsa_tg_split 0
		.amdhsa_exception_fp_ieee_invalid_op 0
		.amdhsa_exception_fp_denorm_src 0
		.amdhsa_exception_fp_ieee_div_zero 0
		.amdhsa_exception_fp_ieee_overflow 0
		.amdhsa_exception_fp_ieee_underflow 0
		.amdhsa_exception_fp_ieee_inexact 0
		.amdhsa_exception_int_div_zero 0
	.end_amdhsa_kernel
	.section	.text._ZN9rocsparseL19gebsrmvn_2xn_kernelILj128ELj8ELj4EfEEvi20rocsparse_direction_NS_24const_host_device_scalarIT2_EEPKiS6_PKS3_S8_S4_PS3_21rocsparse_index_base_b,"axG",@progbits,_ZN9rocsparseL19gebsrmvn_2xn_kernelILj128ELj8ELj4EfEEvi20rocsparse_direction_NS_24const_host_device_scalarIT2_EEPKiS6_PKS3_S8_S4_PS3_21rocsparse_index_base_b,comdat
.Lfunc_end30:
	.size	_ZN9rocsparseL19gebsrmvn_2xn_kernelILj128ELj8ELj4EfEEvi20rocsparse_direction_NS_24const_host_device_scalarIT2_EEPKiS6_PKS3_S8_S4_PS3_21rocsparse_index_base_b, .Lfunc_end30-_ZN9rocsparseL19gebsrmvn_2xn_kernelILj128ELj8ELj4EfEEvi20rocsparse_direction_NS_24const_host_device_scalarIT2_EEPKiS6_PKS3_S8_S4_PS3_21rocsparse_index_base_b
                                        ; -- End function
	.section	.AMDGPU.csdata,"",@progbits
; Kernel info:
; codeLenInByte = 1008
; NumSgprs: 26
; NumVgprs: 40
; NumAgprs: 0
; TotalNumVgprs: 40
; ScratchSize: 0
; MemoryBound: 0
; FloatMode: 240
; IeeeMode: 1
; LDSByteSize: 0 bytes/workgroup (compile time only)
; SGPRBlocks: 3
; VGPRBlocks: 4
; NumSGPRsForWavesPerEU: 26
; NumVGPRsForWavesPerEU: 40
; AccumOffset: 40
; Occupancy: 8
; WaveLimiterHint : 1
; COMPUTE_PGM_RSRC2:SCRATCH_EN: 0
; COMPUTE_PGM_RSRC2:USER_SGPR: 2
; COMPUTE_PGM_RSRC2:TRAP_HANDLER: 0
; COMPUTE_PGM_RSRC2:TGID_X_EN: 1
; COMPUTE_PGM_RSRC2:TGID_Y_EN: 0
; COMPUTE_PGM_RSRC2:TGID_Z_EN: 0
; COMPUTE_PGM_RSRC2:TIDIG_COMP_CNT: 0
; COMPUTE_PGM_RSRC3_GFX90A:ACCUM_OFFSET: 9
; COMPUTE_PGM_RSRC3_GFX90A:TG_SPLIT: 0
	.section	.text._ZN9rocsparseL19gebsrmvn_2xn_kernelILj128ELj8ELj8EfEEvi20rocsparse_direction_NS_24const_host_device_scalarIT2_EEPKiS6_PKS3_S8_S4_PS3_21rocsparse_index_base_b,"axG",@progbits,_ZN9rocsparseL19gebsrmvn_2xn_kernelILj128ELj8ELj8EfEEvi20rocsparse_direction_NS_24const_host_device_scalarIT2_EEPKiS6_PKS3_S8_S4_PS3_21rocsparse_index_base_b,comdat
	.globl	_ZN9rocsparseL19gebsrmvn_2xn_kernelILj128ELj8ELj8EfEEvi20rocsparse_direction_NS_24const_host_device_scalarIT2_EEPKiS6_PKS3_S8_S4_PS3_21rocsparse_index_base_b ; -- Begin function _ZN9rocsparseL19gebsrmvn_2xn_kernelILj128ELj8ELj8EfEEvi20rocsparse_direction_NS_24const_host_device_scalarIT2_EEPKiS6_PKS3_S8_S4_PS3_21rocsparse_index_base_b
	.p2align	8
	.type	_ZN9rocsparseL19gebsrmvn_2xn_kernelILj128ELj8ELj8EfEEvi20rocsparse_direction_NS_24const_host_device_scalarIT2_EEPKiS6_PKS3_S8_S4_PS3_21rocsparse_index_base_b,@function
_ZN9rocsparseL19gebsrmvn_2xn_kernelILj128ELj8ELj8EfEEvi20rocsparse_direction_NS_24const_host_device_scalarIT2_EEPKiS6_PKS3_S8_S4_PS3_21rocsparse_index_base_b: ; @_ZN9rocsparseL19gebsrmvn_2xn_kernelILj128ELj8ELj8EfEEvi20rocsparse_direction_NS_24const_host_device_scalarIT2_EEPKiS6_PKS3_S8_S4_PS3_21rocsparse_index_base_b
; %bb.0:
	s_load_dwordx2 s[16:17], s[0:1], 0x40
	s_load_dwordx2 s[14:15], s[0:1], 0x8
	;; [unrolled: 1-line block ×3, first 2 shown]
	s_waitcnt lgkmcnt(0)
	s_bitcmp1_b32 s17, 0
	s_cselect_b64 s[6:7], -1, 0
	s_xor_b64 s[4:5], s[6:7], -1
	s_and_b64 vcc, exec, s[6:7]
	s_cbranch_vccnz .LBB31_2
; %bb.1:
	s_load_dword s14, s[14:15], 0x0
.LBB31_2:
	s_andn2_b64 vcc, exec, s[4:5]
	s_cbranch_vccnz .LBB31_4
; %bb.3:
	s_load_dword s12, s[12:13], 0x0
.LBB31_4:
	s_waitcnt lgkmcnt(0)
	v_cmp_eq_f32_e64 s[4:5], s14, 0
	v_cmp_eq_f32_e64 s[6:7], s12, 1.0
	s_and_b64 s[4:5], s[4:5], s[6:7]
	s_and_b64 vcc, exec, s[4:5]
	s_cbranch_vccnz .LBB31_22
; %bb.5:
	s_load_dwordx2 s[18:19], s[0:1], 0x0
	v_lshrrev_b32_e32 v1, 3, v0
	v_lshl_or_b32 v2, s2, 4, v1
	s_waitcnt lgkmcnt(0)
	v_cmp_gt_i32_e32 vcc, s18, v2
	s_and_saveexec_b64 s[2:3], vcc
	s_cbranch_execz .LBB31_22
; %bb.6:
	s_load_dwordx8 s[4:11], s[0:1], 0x10
	v_ashrrev_i32_e32 v3, 31, v2
	s_cmp_lg_u32 s19, 0
	s_waitcnt lgkmcnt(0)
	v_lshl_add_u64 v[4:5], v[2:3], 2, s[4:5]
	global_load_dwordx2 v[4:5], v[4:5], off
	v_and_b32_e32 v3, 7, v0
	s_waitcnt vmcnt(0)
	v_subrev_u32_e32 v0, s16, v4
	v_subrev_u32_e32 v10, s16, v5
	v_add_u32_e32 v0, v0, v3
	v_cmp_lt_i32_e64 s[2:3], v0, v10
	s_cbranch_scc0 .LBB31_12
; %bb.7:
	v_mov_b32_e32 v5, 0
	v_mov_b32_e32 v4, v5
	s_and_saveexec_b64 s[4:5], s[2:3]
	s_cbranch_execz .LBB31_11
; %bb.8:
	v_mov_b32_e32 v7, 0
	v_lshlrev_b32_e32 v6, 4, v0
	s_mov_b64 s[18:19], 0
	v_mov_b32_e32 v8, v0
	v_mov_b32_e32 v4, v7
	v_mov_b32_e32 v5, v7
.LBB31_9:                               ; =>This Inner Loop Header: Depth=1
	v_ashrrev_i32_e32 v9, 31, v8
	v_lshl_add_u64 v[12:13], v[8:9], 2, s[6:7]
	global_load_dword v1, v[12:13], off
	v_lshl_add_u64 v[36:37], v[6:7], 2, s[8:9]
	global_load_dwordx4 v[12:15], v[36:37], off offset:16
	global_load_dwordx4 v[16:19], v[36:37], off
	v_mov_b32_e32 v21, v7
	v_add_u32_e32 v8, 8, v8
	v_cmp_ge_i32_e32 vcc, v8, v10
	v_add_u32_e32 v6, 0x80, v6
	s_or_b64 s[18:19], vcc, s[18:19]
	s_waitcnt vmcnt(2)
	v_subrev_u32_e32 v1, s16, v1
	v_lshlrev_b32_e32 v20, 3, v1
	v_lshl_add_u64 v[38:39], v[20:21], 2, s[10:11]
	global_load_dwordx4 v[20:23], v[38:39], off
	global_load_dwordx4 v[24:27], v[38:39], off offset:16
	global_load_dwordx4 v[28:31], v[36:37], off offset:32
	;; [unrolled: 1-line block ×3, first 2 shown]
	s_waitcnt vmcnt(3)
	v_pk_fma_f32 v[4:5], v[16:17], v[20:21], v[4:5] op_sel_hi:[1,0,1]
	s_nop 0
	v_pk_fma_f32 v[4:5], v[18:19], v[20:21], v[4:5] op_sel:[0,1,0]
	v_mov_b32_e32 v16, v23
	v_pk_fma_f32 v[4:5], v[12:13], v[22:23], v[4:5] op_sel_hi:[1,0,1]
	s_waitcnt vmcnt(2)
	v_mov_b32_e32 v36, v27
	v_pk_fma_f32 v[4:5], v[14:15], v[16:17], v[4:5] op_sel_hi:[1,0,1]
	s_waitcnt vmcnt(1)
	v_pk_fma_f32 v[4:5], v[28:29], v[24:25], v[4:5] op_sel_hi:[1,0,1]
	s_nop 0
	v_pk_fma_f32 v[4:5], v[30:31], v[24:25], v[4:5] op_sel:[0,1,0]
	s_waitcnt vmcnt(0)
	v_pk_fma_f32 v[4:5], v[32:33], v[26:27], v[4:5] op_sel_hi:[1,0,1]
	s_nop 0
	v_pk_fma_f32 v[4:5], v[34:35], v[36:37], v[4:5] op_sel_hi:[1,0,1]
	s_andn2_b64 exec, exec, s[18:19]
	s_cbranch_execnz .LBB31_9
; %bb.10:
	s_or_b64 exec, exec, s[18:19]
.LBB31_11:
	s_or_b64 exec, exec, s[4:5]
	s_cbranch_execz .LBB31_13
	s_branch .LBB31_18
.LBB31_12:
                                        ; implicit-def: $vgpr5
.LBB31_13:
	v_mov_b32_e32 v5, 0
	v_mov_b32_e32 v4, v5
	s_and_saveexec_b64 s[4:5], s[2:3]
	s_cbranch_execz .LBB31_17
; %bb.14:
	v_mov_b32_e32 v7, 0
	v_lshlrev_b32_e32 v6, 4, v0
	s_mov_b64 s[2:3], 0
	v_mov_b32_e32 v4, v7
	v_mov_b32_e32 v5, v7
.LBB31_15:                              ; =>This Inner Loop Header: Depth=1
	v_ashrrev_i32_e32 v1, 31, v0
	v_lshl_add_u64 v[8:9], v[0:1], 2, s[6:7]
	global_load_dword v1, v[8:9], off
	v_lshl_add_u64 v[8:9], v[6:7], 2, s[8:9]
	v_mov_b32_e32 v29, v7
	global_load_dwordx4 v[12:15], v[8:9], off
	global_load_dwordx4 v[16:19], v[8:9], off offset:32
	global_load_dwordx4 v[20:23], v[8:9], off offset:16
	global_load_dwordx4 v[24:27], v[8:9], off offset:48
	v_add_u32_e32 v0, 8, v0
	v_cmp_ge_i32_e32 vcc, v0, v10
	v_add_u32_e32 v6, 0x80, v6
	s_or_b64 s[2:3], vcc, s[2:3]
	s_waitcnt vmcnt(4)
	v_subrev_u32_e32 v1, s16, v1
	v_lshlrev_b32_e32 v28, 3, v1
	v_lshl_add_u64 v[8:9], v[28:29], 2, s[10:11]
	global_load_dwordx4 v[28:31], v[8:9], off
	global_load_dwordx4 v[32:35], v[8:9], off offset:16
	s_waitcnt vmcnt(5)
	v_mov_b32_e32 v8, v12
	s_waitcnt vmcnt(4)
	v_mov_b32_e32 v9, v16
	v_mov_b32_e32 v16, v13
	;; [unrolled: 1-line block ×5, first 2 shown]
	s_waitcnt vmcnt(3)
	v_mov_b32_e32 v14, v20
	s_waitcnt vmcnt(2)
	v_mov_b32_e32 v15, v24
	v_mov_b32_e32 v24, v21
	;; [unrolled: 1-line block ×5, first 2 shown]
	s_waitcnt vmcnt(1)
	v_pk_fma_f32 v[4:5], v[8:9], v[28:29], v[4:5] op_sel_hi:[1,0,1]
	s_nop 0
	v_pk_fma_f32 v[4:5], v[16:17], v[28:29], v[4:5] op_sel:[0,1,0]
	v_mov_b32_e32 v8, v31
	v_pk_fma_f32 v[4:5], v[12:13], v[30:31], v[4:5] op_sel_hi:[1,0,1]
	s_waitcnt vmcnt(0)
	v_mov_b32_e32 v22, v35
	v_pk_fma_f32 v[4:5], v[18:19], v[8:9], v[4:5] op_sel_hi:[1,0,1]
	s_nop 0
	v_pk_fma_f32 v[4:5], v[14:15], v[32:33], v[4:5] op_sel_hi:[1,0,1]
	s_nop 0
	v_pk_fma_f32 v[4:5], v[24:25], v[32:33], v[4:5] op_sel:[0,1,0]
	s_nop 0
	v_pk_fma_f32 v[4:5], v[20:21], v[34:35], v[4:5] op_sel_hi:[1,0,1]
	s_nop 0
	v_pk_fma_f32 v[4:5], v[26:27], v[22:23], v[4:5] op_sel_hi:[1,0,1]
	s_andn2_b64 exec, exec, s[2:3]
	s_cbranch_execnz .LBB31_15
; %bb.16:
	s_or_b64 exec, exec, s[2:3]
.LBB31_17:
	s_or_b64 exec, exec, s[4:5]
.LBB31_18:
	v_mov_b32_dpp v0, v4 row_shr:1 row_mask:0xf bank_mask:0xf
	v_mov_b32_dpp v1, v5 row_shr:1 row_mask:0xf bank_mask:0xf
	v_pk_add_f32 v[0:1], v[4:5], v[0:1]
	v_cmp_eq_u32_e32 vcc, 7, v3
	s_nop 0
	v_mov_b32_dpp v4, v0 row_shr:2 row_mask:0xf bank_mask:0xf
	v_mov_b32_dpp v5, v1 row_shr:2 row_mask:0xf bank_mask:0xf
	v_pk_add_f32 v[0:1], v[0:1], v[4:5]
	s_nop 1
	v_mov_b32_dpp v4, v0 row_shr:4 row_mask:0xf bank_mask:0xe
	v_mov_b32_dpp v5, v1 row_shr:4 row_mask:0xf bank_mask:0xe
	s_and_b64 exec, exec, vcc
	s_cbranch_execz .LBB31_22
; %bb.19:
	s_load_dwordx2 s[0:1], s[0:1], 0x38
	v_cmp_eq_f32_e64 s[2:3], s12, 0
	v_pk_add_f32 v[0:1], v[0:1], v[4:5]
	s_and_b64 vcc, exec, s[2:3]
	v_lshlrev_b32_e32 v2, 1, v2
	s_cbranch_vccz .LBB31_23
; %bb.20:
	v_ashrrev_i32_e32 v3, 31, v2
	s_waitcnt lgkmcnt(0)
	v_lshl_add_u64 v[4:5], v[2:3], 2, s[0:1]
	v_pk_mul_f32 v[6:7], s[14:15], v[0:1] op_sel_hi:[0,1]
	global_store_dwordx2 v[4:5], v[6:7], off
	s_cbranch_execnz .LBB31_22
.LBB31_21:
	v_ashrrev_i32_e32 v3, 31, v2
	s_waitcnt lgkmcnt(0)
	v_lshl_add_u64 v[2:3], v[2:3], 2, s[0:1]
	global_load_dwordx2 v[4:5], v[2:3], off
	v_pk_mul_f32 v[0:1], s[14:15], v[0:1] op_sel_hi:[0,1]
	s_waitcnt vmcnt(0)
	v_pk_fma_f32 v[0:1], s[12:13], v[4:5], v[0:1] op_sel_hi:[0,1,1]
	global_store_dwordx2 v[2:3], v[0:1], off
.LBB31_22:
	s_endpgm
.LBB31_23:
	s_branch .LBB31_21
	.section	.rodata,"a",@progbits
	.p2align	6, 0x0
	.amdhsa_kernel _ZN9rocsparseL19gebsrmvn_2xn_kernelILj128ELj8ELj8EfEEvi20rocsparse_direction_NS_24const_host_device_scalarIT2_EEPKiS6_PKS3_S8_S4_PS3_21rocsparse_index_base_b
		.amdhsa_group_segment_fixed_size 0
		.amdhsa_private_segment_fixed_size 0
		.amdhsa_kernarg_size 72
		.amdhsa_user_sgpr_count 2
		.amdhsa_user_sgpr_dispatch_ptr 0
		.amdhsa_user_sgpr_queue_ptr 0
		.amdhsa_user_sgpr_kernarg_segment_ptr 1
		.amdhsa_user_sgpr_dispatch_id 0
		.amdhsa_user_sgpr_kernarg_preload_length 0
		.amdhsa_user_sgpr_kernarg_preload_offset 0
		.amdhsa_user_sgpr_private_segment_size 0
		.amdhsa_uses_dynamic_stack 0
		.amdhsa_enable_private_segment 0
		.amdhsa_system_sgpr_workgroup_id_x 1
		.amdhsa_system_sgpr_workgroup_id_y 0
		.amdhsa_system_sgpr_workgroup_id_z 0
		.amdhsa_system_sgpr_workgroup_info 0
		.amdhsa_system_vgpr_workitem_id 0
		.amdhsa_next_free_vgpr 40
		.amdhsa_next_free_sgpr 20
		.amdhsa_accum_offset 40
		.amdhsa_reserve_vcc 1
		.amdhsa_float_round_mode_32 0
		.amdhsa_float_round_mode_16_64 0
		.amdhsa_float_denorm_mode_32 3
		.amdhsa_float_denorm_mode_16_64 3
		.amdhsa_dx10_clamp 1
		.amdhsa_ieee_mode 1
		.amdhsa_fp16_overflow 0
		.amdhsa_tg_split 0
		.amdhsa_exception_fp_ieee_invalid_op 0
		.amdhsa_exception_fp_denorm_src 0
		.amdhsa_exception_fp_ieee_div_zero 0
		.amdhsa_exception_fp_ieee_overflow 0
		.amdhsa_exception_fp_ieee_underflow 0
		.amdhsa_exception_fp_ieee_inexact 0
		.amdhsa_exception_int_div_zero 0
	.end_amdhsa_kernel
	.section	.text._ZN9rocsparseL19gebsrmvn_2xn_kernelILj128ELj8ELj8EfEEvi20rocsparse_direction_NS_24const_host_device_scalarIT2_EEPKiS6_PKS3_S8_S4_PS3_21rocsparse_index_base_b,"axG",@progbits,_ZN9rocsparseL19gebsrmvn_2xn_kernelILj128ELj8ELj8EfEEvi20rocsparse_direction_NS_24const_host_device_scalarIT2_EEPKiS6_PKS3_S8_S4_PS3_21rocsparse_index_base_b,comdat
.Lfunc_end31:
	.size	_ZN9rocsparseL19gebsrmvn_2xn_kernelILj128ELj8ELj8EfEEvi20rocsparse_direction_NS_24const_host_device_scalarIT2_EEPKiS6_PKS3_S8_S4_PS3_21rocsparse_index_base_b, .Lfunc_end31-_ZN9rocsparseL19gebsrmvn_2xn_kernelILj128ELj8ELj8EfEEvi20rocsparse_direction_NS_24const_host_device_scalarIT2_EEPKiS6_PKS3_S8_S4_PS3_21rocsparse_index_base_b
                                        ; -- End function
	.section	.AMDGPU.csdata,"",@progbits
; Kernel info:
; codeLenInByte = 1044
; NumSgprs: 26
; NumVgprs: 40
; NumAgprs: 0
; TotalNumVgprs: 40
; ScratchSize: 0
; MemoryBound: 0
; FloatMode: 240
; IeeeMode: 1
; LDSByteSize: 0 bytes/workgroup (compile time only)
; SGPRBlocks: 3
; VGPRBlocks: 4
; NumSGPRsForWavesPerEU: 26
; NumVGPRsForWavesPerEU: 40
; AccumOffset: 40
; Occupancy: 8
; WaveLimiterHint : 1
; COMPUTE_PGM_RSRC2:SCRATCH_EN: 0
; COMPUTE_PGM_RSRC2:USER_SGPR: 2
; COMPUTE_PGM_RSRC2:TRAP_HANDLER: 0
; COMPUTE_PGM_RSRC2:TGID_X_EN: 1
; COMPUTE_PGM_RSRC2:TGID_Y_EN: 0
; COMPUTE_PGM_RSRC2:TGID_Z_EN: 0
; COMPUTE_PGM_RSRC2:TIDIG_COMP_CNT: 0
; COMPUTE_PGM_RSRC3_GFX90A:ACCUM_OFFSET: 9
; COMPUTE_PGM_RSRC3_GFX90A:TG_SPLIT: 0
	.section	.text._ZN9rocsparseL19gebsrmvn_2xn_kernelILj128ELj8ELj16EfEEvi20rocsparse_direction_NS_24const_host_device_scalarIT2_EEPKiS6_PKS3_S8_S4_PS3_21rocsparse_index_base_b,"axG",@progbits,_ZN9rocsparseL19gebsrmvn_2xn_kernelILj128ELj8ELj16EfEEvi20rocsparse_direction_NS_24const_host_device_scalarIT2_EEPKiS6_PKS3_S8_S4_PS3_21rocsparse_index_base_b,comdat
	.globl	_ZN9rocsparseL19gebsrmvn_2xn_kernelILj128ELj8ELj16EfEEvi20rocsparse_direction_NS_24const_host_device_scalarIT2_EEPKiS6_PKS3_S8_S4_PS3_21rocsparse_index_base_b ; -- Begin function _ZN9rocsparseL19gebsrmvn_2xn_kernelILj128ELj8ELj16EfEEvi20rocsparse_direction_NS_24const_host_device_scalarIT2_EEPKiS6_PKS3_S8_S4_PS3_21rocsparse_index_base_b
	.p2align	8
	.type	_ZN9rocsparseL19gebsrmvn_2xn_kernelILj128ELj8ELj16EfEEvi20rocsparse_direction_NS_24const_host_device_scalarIT2_EEPKiS6_PKS3_S8_S4_PS3_21rocsparse_index_base_b,@function
_ZN9rocsparseL19gebsrmvn_2xn_kernelILj128ELj8ELj16EfEEvi20rocsparse_direction_NS_24const_host_device_scalarIT2_EEPKiS6_PKS3_S8_S4_PS3_21rocsparse_index_base_b: ; @_ZN9rocsparseL19gebsrmvn_2xn_kernelILj128ELj8ELj16EfEEvi20rocsparse_direction_NS_24const_host_device_scalarIT2_EEPKiS6_PKS3_S8_S4_PS3_21rocsparse_index_base_b
; %bb.0:
	s_load_dwordx2 s[16:17], s[0:1], 0x40
	s_load_dwordx2 s[14:15], s[0:1], 0x8
	;; [unrolled: 1-line block ×3, first 2 shown]
	s_waitcnt lgkmcnt(0)
	s_bitcmp1_b32 s17, 0
	s_cselect_b64 s[6:7], -1, 0
	s_xor_b64 s[4:5], s[6:7], -1
	s_and_b64 vcc, exec, s[6:7]
	s_cbranch_vccnz .LBB32_2
; %bb.1:
	s_load_dword s14, s[14:15], 0x0
.LBB32_2:
	s_andn2_b64 vcc, exec, s[4:5]
	s_cbranch_vccnz .LBB32_4
; %bb.3:
	s_load_dword s12, s[12:13], 0x0
.LBB32_4:
	s_waitcnt lgkmcnt(0)
	v_cmp_eq_f32_e64 s[4:5], s14, 0
	v_cmp_eq_f32_e64 s[6:7], s12, 1.0
	s_and_b64 s[4:5], s[4:5], s[6:7]
	s_and_b64 vcc, exec, s[4:5]
	s_cbranch_vccnz .LBB32_22
; %bb.5:
	s_load_dwordx2 s[18:19], s[0:1], 0x0
	v_lshrrev_b32_e32 v1, 4, v0
	v_lshl_or_b32 v2, s2, 3, v1
	s_waitcnt lgkmcnt(0)
	v_cmp_gt_i32_e32 vcc, s18, v2
	s_and_saveexec_b64 s[2:3], vcc
	s_cbranch_execz .LBB32_22
; %bb.6:
	s_load_dwordx8 s[4:11], s[0:1], 0x10
	v_ashrrev_i32_e32 v3, 31, v2
	s_cmp_lg_u32 s19, 0
	s_waitcnt lgkmcnt(0)
	v_lshl_add_u64 v[4:5], v[2:3], 2, s[4:5]
	global_load_dwordx2 v[4:5], v[4:5], off
	v_and_b32_e32 v3, 15, v0
	s_waitcnt vmcnt(0)
	v_subrev_u32_e32 v0, s16, v4
	v_subrev_u32_e32 v10, s16, v5
	v_add_u32_e32 v0, v0, v3
	v_cmp_lt_i32_e64 s[2:3], v0, v10
	s_cbranch_scc0 .LBB32_12
; %bb.7:
	v_mov_b32_e32 v5, 0
	v_mov_b32_e32 v4, v5
	s_and_saveexec_b64 s[4:5], s[2:3]
	s_cbranch_execz .LBB32_11
; %bb.8:
	v_mov_b32_e32 v7, 0
	v_lshlrev_b32_e32 v6, 4, v0
	s_mov_b64 s[18:19], 0
	v_mov_b32_e32 v8, v0
	v_mov_b32_e32 v4, v7
	;; [unrolled: 1-line block ×3, first 2 shown]
.LBB32_9:                               ; =>This Inner Loop Header: Depth=1
	v_ashrrev_i32_e32 v9, 31, v8
	v_lshl_add_u64 v[12:13], v[8:9], 2, s[6:7]
	global_load_dword v1, v[12:13], off
	v_lshl_add_u64 v[36:37], v[6:7], 2, s[8:9]
	global_load_dwordx4 v[12:15], v[36:37], off offset:16
	global_load_dwordx4 v[16:19], v[36:37], off
	v_mov_b32_e32 v21, v7
	v_add_u32_e32 v8, 16, v8
	v_cmp_ge_i32_e32 vcc, v8, v10
	v_add_u32_e32 v6, 0x100, v6
	s_or_b64 s[18:19], vcc, s[18:19]
	s_waitcnt vmcnt(2)
	v_subrev_u32_e32 v1, s16, v1
	v_lshlrev_b32_e32 v20, 3, v1
	v_lshl_add_u64 v[38:39], v[20:21], 2, s[10:11]
	global_load_dwordx4 v[20:23], v[38:39], off
	global_load_dwordx4 v[24:27], v[38:39], off offset:16
	global_load_dwordx4 v[28:31], v[36:37], off offset:32
	;; [unrolled: 1-line block ×3, first 2 shown]
	s_waitcnt vmcnt(3)
	v_pk_fma_f32 v[4:5], v[16:17], v[20:21], v[4:5] op_sel_hi:[1,0,1]
	s_nop 0
	v_pk_fma_f32 v[4:5], v[18:19], v[20:21], v[4:5] op_sel:[0,1,0]
	v_mov_b32_e32 v16, v23
	v_pk_fma_f32 v[4:5], v[12:13], v[22:23], v[4:5] op_sel_hi:[1,0,1]
	s_waitcnt vmcnt(2)
	v_mov_b32_e32 v36, v27
	v_pk_fma_f32 v[4:5], v[14:15], v[16:17], v[4:5] op_sel_hi:[1,0,1]
	s_waitcnt vmcnt(1)
	v_pk_fma_f32 v[4:5], v[28:29], v[24:25], v[4:5] op_sel_hi:[1,0,1]
	s_nop 0
	v_pk_fma_f32 v[4:5], v[30:31], v[24:25], v[4:5] op_sel:[0,1,0]
	s_waitcnt vmcnt(0)
	v_pk_fma_f32 v[4:5], v[32:33], v[26:27], v[4:5] op_sel_hi:[1,0,1]
	s_nop 0
	v_pk_fma_f32 v[4:5], v[34:35], v[36:37], v[4:5] op_sel_hi:[1,0,1]
	s_andn2_b64 exec, exec, s[18:19]
	s_cbranch_execnz .LBB32_9
; %bb.10:
	s_or_b64 exec, exec, s[18:19]
.LBB32_11:
	s_or_b64 exec, exec, s[4:5]
	s_cbranch_execz .LBB32_13
	s_branch .LBB32_18
.LBB32_12:
                                        ; implicit-def: $vgpr5
.LBB32_13:
	v_mov_b32_e32 v5, 0
	v_mov_b32_e32 v4, v5
	s_and_saveexec_b64 s[4:5], s[2:3]
	s_cbranch_execz .LBB32_17
; %bb.14:
	v_mov_b32_e32 v7, 0
	v_lshlrev_b32_e32 v6, 4, v0
	s_mov_b64 s[2:3], 0
	v_mov_b32_e32 v4, v7
	v_mov_b32_e32 v5, v7
.LBB32_15:                              ; =>This Inner Loop Header: Depth=1
	v_ashrrev_i32_e32 v1, 31, v0
	v_lshl_add_u64 v[8:9], v[0:1], 2, s[6:7]
	global_load_dword v1, v[8:9], off
	v_lshl_add_u64 v[8:9], v[6:7], 2, s[8:9]
	v_mov_b32_e32 v29, v7
	global_load_dwordx4 v[12:15], v[8:9], off
	global_load_dwordx4 v[16:19], v[8:9], off offset:32
	global_load_dwordx4 v[20:23], v[8:9], off offset:16
	;; [unrolled: 1-line block ×3, first 2 shown]
	v_add_u32_e32 v0, 16, v0
	v_cmp_ge_i32_e32 vcc, v0, v10
	v_add_u32_e32 v6, 0x100, v6
	s_or_b64 s[2:3], vcc, s[2:3]
	s_waitcnt vmcnt(4)
	v_subrev_u32_e32 v1, s16, v1
	v_lshlrev_b32_e32 v28, 3, v1
	v_lshl_add_u64 v[8:9], v[28:29], 2, s[10:11]
	global_load_dwordx4 v[28:31], v[8:9], off
	global_load_dwordx4 v[32:35], v[8:9], off offset:16
	s_waitcnt vmcnt(5)
	v_mov_b32_e32 v8, v12
	s_waitcnt vmcnt(4)
	v_mov_b32_e32 v9, v16
	v_mov_b32_e32 v16, v13
	;; [unrolled: 1-line block ×5, first 2 shown]
	s_waitcnt vmcnt(3)
	v_mov_b32_e32 v14, v20
	s_waitcnt vmcnt(2)
	v_mov_b32_e32 v15, v24
	v_mov_b32_e32 v24, v21
	;; [unrolled: 1-line block ×5, first 2 shown]
	s_waitcnt vmcnt(1)
	v_pk_fma_f32 v[4:5], v[8:9], v[28:29], v[4:5] op_sel_hi:[1,0,1]
	s_nop 0
	v_pk_fma_f32 v[4:5], v[16:17], v[28:29], v[4:5] op_sel:[0,1,0]
	v_mov_b32_e32 v8, v31
	v_pk_fma_f32 v[4:5], v[12:13], v[30:31], v[4:5] op_sel_hi:[1,0,1]
	s_waitcnt vmcnt(0)
	v_mov_b32_e32 v22, v35
	v_pk_fma_f32 v[4:5], v[18:19], v[8:9], v[4:5] op_sel_hi:[1,0,1]
	s_nop 0
	v_pk_fma_f32 v[4:5], v[14:15], v[32:33], v[4:5] op_sel_hi:[1,0,1]
	s_nop 0
	v_pk_fma_f32 v[4:5], v[24:25], v[32:33], v[4:5] op_sel:[0,1,0]
	s_nop 0
	v_pk_fma_f32 v[4:5], v[20:21], v[34:35], v[4:5] op_sel_hi:[1,0,1]
	s_nop 0
	v_pk_fma_f32 v[4:5], v[26:27], v[22:23], v[4:5] op_sel_hi:[1,0,1]
	s_andn2_b64 exec, exec, s[2:3]
	s_cbranch_execnz .LBB32_15
; %bb.16:
	s_or_b64 exec, exec, s[2:3]
.LBB32_17:
	s_or_b64 exec, exec, s[4:5]
.LBB32_18:
	v_mov_b32_dpp v0, v4 row_shr:1 row_mask:0xf bank_mask:0xf
	v_mov_b32_dpp v1, v5 row_shr:1 row_mask:0xf bank_mask:0xf
	v_pk_add_f32 v[0:1], v[4:5], v[0:1]
	v_cmp_eq_u32_e32 vcc, 15, v3
	s_nop 0
	v_mov_b32_dpp v4, v0 row_shr:2 row_mask:0xf bank_mask:0xf
	v_mov_b32_dpp v5, v1 row_shr:2 row_mask:0xf bank_mask:0xf
	v_pk_add_f32 v[0:1], v[0:1], v[4:5]
	s_nop 1
	v_mov_b32_dpp v4, v0 row_shr:4 row_mask:0xf bank_mask:0xe
	v_mov_b32_dpp v5, v1 row_shr:4 row_mask:0xf bank_mask:0xe
	v_pk_add_f32 v[0:1], v[0:1], v[4:5]
	s_nop 1
	v_mov_b32_dpp v4, v0 row_shr:8 row_mask:0xf bank_mask:0xc
	v_mov_b32_dpp v5, v1 row_shr:8 row_mask:0xf bank_mask:0xc
	s_and_b64 exec, exec, vcc
	s_cbranch_execz .LBB32_22
; %bb.19:
	s_load_dwordx2 s[0:1], s[0:1], 0x38
	v_cmp_eq_f32_e64 s[2:3], s12, 0
	v_pk_add_f32 v[0:1], v[0:1], v[4:5]
	s_and_b64 vcc, exec, s[2:3]
	v_lshlrev_b32_e32 v2, 1, v2
	s_cbranch_vccz .LBB32_23
; %bb.20:
	v_ashrrev_i32_e32 v3, 31, v2
	s_waitcnt lgkmcnt(0)
	v_lshl_add_u64 v[4:5], v[2:3], 2, s[0:1]
	v_pk_mul_f32 v[6:7], s[14:15], v[0:1] op_sel_hi:[0,1]
	global_store_dwordx2 v[4:5], v[6:7], off
	s_cbranch_execnz .LBB32_22
.LBB32_21:
	v_ashrrev_i32_e32 v3, 31, v2
	s_waitcnt lgkmcnt(0)
	v_lshl_add_u64 v[2:3], v[2:3], 2, s[0:1]
	global_load_dwordx2 v[4:5], v[2:3], off
	v_pk_mul_f32 v[0:1], s[14:15], v[0:1] op_sel_hi:[0,1]
	s_waitcnt vmcnt(0)
	v_pk_fma_f32 v[0:1], s[12:13], v[4:5], v[0:1] op_sel_hi:[0,1,1]
	global_store_dwordx2 v[2:3], v[0:1], off
.LBB32_22:
	s_endpgm
.LBB32_23:
	s_branch .LBB32_21
	.section	.rodata,"a",@progbits
	.p2align	6, 0x0
	.amdhsa_kernel _ZN9rocsparseL19gebsrmvn_2xn_kernelILj128ELj8ELj16EfEEvi20rocsparse_direction_NS_24const_host_device_scalarIT2_EEPKiS6_PKS3_S8_S4_PS3_21rocsparse_index_base_b
		.amdhsa_group_segment_fixed_size 0
		.amdhsa_private_segment_fixed_size 0
		.amdhsa_kernarg_size 72
		.amdhsa_user_sgpr_count 2
		.amdhsa_user_sgpr_dispatch_ptr 0
		.amdhsa_user_sgpr_queue_ptr 0
		.amdhsa_user_sgpr_kernarg_segment_ptr 1
		.amdhsa_user_sgpr_dispatch_id 0
		.amdhsa_user_sgpr_kernarg_preload_length 0
		.amdhsa_user_sgpr_kernarg_preload_offset 0
		.amdhsa_user_sgpr_private_segment_size 0
		.amdhsa_uses_dynamic_stack 0
		.amdhsa_enable_private_segment 0
		.amdhsa_system_sgpr_workgroup_id_x 1
		.amdhsa_system_sgpr_workgroup_id_y 0
		.amdhsa_system_sgpr_workgroup_id_z 0
		.amdhsa_system_sgpr_workgroup_info 0
		.amdhsa_system_vgpr_workitem_id 0
		.amdhsa_next_free_vgpr 40
		.amdhsa_next_free_sgpr 20
		.amdhsa_accum_offset 40
		.amdhsa_reserve_vcc 1
		.amdhsa_float_round_mode_32 0
		.amdhsa_float_round_mode_16_64 0
		.amdhsa_float_denorm_mode_32 3
		.amdhsa_float_denorm_mode_16_64 3
		.amdhsa_dx10_clamp 1
		.amdhsa_ieee_mode 1
		.amdhsa_fp16_overflow 0
		.amdhsa_tg_split 0
		.amdhsa_exception_fp_ieee_invalid_op 0
		.amdhsa_exception_fp_denorm_src 0
		.amdhsa_exception_fp_ieee_div_zero 0
		.amdhsa_exception_fp_ieee_overflow 0
		.amdhsa_exception_fp_ieee_underflow 0
		.amdhsa_exception_fp_ieee_inexact 0
		.amdhsa_exception_int_div_zero 0
	.end_amdhsa_kernel
	.section	.text._ZN9rocsparseL19gebsrmvn_2xn_kernelILj128ELj8ELj16EfEEvi20rocsparse_direction_NS_24const_host_device_scalarIT2_EEPKiS6_PKS3_S8_S4_PS3_21rocsparse_index_base_b,"axG",@progbits,_ZN9rocsparseL19gebsrmvn_2xn_kernelILj128ELj8ELj16EfEEvi20rocsparse_direction_NS_24const_host_device_scalarIT2_EEPKiS6_PKS3_S8_S4_PS3_21rocsparse_index_base_b,comdat
.Lfunc_end32:
	.size	_ZN9rocsparseL19gebsrmvn_2xn_kernelILj128ELj8ELj16EfEEvi20rocsparse_direction_NS_24const_host_device_scalarIT2_EEPKiS6_PKS3_S8_S4_PS3_21rocsparse_index_base_b, .Lfunc_end32-_ZN9rocsparseL19gebsrmvn_2xn_kernelILj128ELj8ELj16EfEEvi20rocsparse_direction_NS_24const_host_device_scalarIT2_EEPKiS6_PKS3_S8_S4_PS3_21rocsparse_index_base_b
                                        ; -- End function
	.section	.AMDGPU.csdata,"",@progbits
; Kernel info:
; codeLenInByte = 1072
; NumSgprs: 26
; NumVgprs: 40
; NumAgprs: 0
; TotalNumVgprs: 40
; ScratchSize: 0
; MemoryBound: 0
; FloatMode: 240
; IeeeMode: 1
; LDSByteSize: 0 bytes/workgroup (compile time only)
; SGPRBlocks: 3
; VGPRBlocks: 4
; NumSGPRsForWavesPerEU: 26
; NumVGPRsForWavesPerEU: 40
; AccumOffset: 40
; Occupancy: 8
; WaveLimiterHint : 1
; COMPUTE_PGM_RSRC2:SCRATCH_EN: 0
; COMPUTE_PGM_RSRC2:USER_SGPR: 2
; COMPUTE_PGM_RSRC2:TRAP_HANDLER: 0
; COMPUTE_PGM_RSRC2:TGID_X_EN: 1
; COMPUTE_PGM_RSRC2:TGID_Y_EN: 0
; COMPUTE_PGM_RSRC2:TGID_Z_EN: 0
; COMPUTE_PGM_RSRC2:TIDIG_COMP_CNT: 0
; COMPUTE_PGM_RSRC3_GFX90A:ACCUM_OFFSET: 9
; COMPUTE_PGM_RSRC3_GFX90A:TG_SPLIT: 0
	.section	.text._ZN9rocsparseL19gebsrmvn_2xn_kernelILj128ELj8ELj32EfEEvi20rocsparse_direction_NS_24const_host_device_scalarIT2_EEPKiS6_PKS3_S8_S4_PS3_21rocsparse_index_base_b,"axG",@progbits,_ZN9rocsparseL19gebsrmvn_2xn_kernelILj128ELj8ELj32EfEEvi20rocsparse_direction_NS_24const_host_device_scalarIT2_EEPKiS6_PKS3_S8_S4_PS3_21rocsparse_index_base_b,comdat
	.globl	_ZN9rocsparseL19gebsrmvn_2xn_kernelILj128ELj8ELj32EfEEvi20rocsparse_direction_NS_24const_host_device_scalarIT2_EEPKiS6_PKS3_S8_S4_PS3_21rocsparse_index_base_b ; -- Begin function _ZN9rocsparseL19gebsrmvn_2xn_kernelILj128ELj8ELj32EfEEvi20rocsparse_direction_NS_24const_host_device_scalarIT2_EEPKiS6_PKS3_S8_S4_PS3_21rocsparse_index_base_b
	.p2align	8
	.type	_ZN9rocsparseL19gebsrmvn_2xn_kernelILj128ELj8ELj32EfEEvi20rocsparse_direction_NS_24const_host_device_scalarIT2_EEPKiS6_PKS3_S8_S4_PS3_21rocsparse_index_base_b,@function
_ZN9rocsparseL19gebsrmvn_2xn_kernelILj128ELj8ELj32EfEEvi20rocsparse_direction_NS_24const_host_device_scalarIT2_EEPKiS6_PKS3_S8_S4_PS3_21rocsparse_index_base_b: ; @_ZN9rocsparseL19gebsrmvn_2xn_kernelILj128ELj8ELj32EfEEvi20rocsparse_direction_NS_24const_host_device_scalarIT2_EEPKiS6_PKS3_S8_S4_PS3_21rocsparse_index_base_b
; %bb.0:
	s_load_dwordx2 s[16:17], s[0:1], 0x40
	s_load_dwordx2 s[14:15], s[0:1], 0x8
	;; [unrolled: 1-line block ×3, first 2 shown]
	s_waitcnt lgkmcnt(0)
	s_bitcmp1_b32 s17, 0
	s_cselect_b64 s[6:7], -1, 0
	s_xor_b64 s[4:5], s[6:7], -1
	s_and_b64 vcc, exec, s[6:7]
	s_cbranch_vccnz .LBB33_2
; %bb.1:
	s_load_dword s14, s[14:15], 0x0
.LBB33_2:
	s_andn2_b64 vcc, exec, s[4:5]
	s_cbranch_vccnz .LBB33_4
; %bb.3:
	s_load_dword s12, s[12:13], 0x0
.LBB33_4:
	s_waitcnt lgkmcnt(0)
	v_cmp_eq_f32_e64 s[4:5], s14, 0
	v_cmp_eq_f32_e64 s[6:7], s12, 1.0
	s_and_b64 s[4:5], s[4:5], s[6:7]
	s_and_b64 vcc, exec, s[4:5]
	s_cbranch_vccnz .LBB33_22
; %bb.5:
	s_load_dwordx2 s[18:19], s[0:1], 0x0
	v_lshrrev_b32_e32 v1, 5, v0
	v_lshl_or_b32 v2, s2, 2, v1
	s_waitcnt lgkmcnt(0)
	v_cmp_gt_i32_e32 vcc, s18, v2
	s_and_saveexec_b64 s[2:3], vcc
	s_cbranch_execz .LBB33_22
; %bb.6:
	s_load_dwordx8 s[4:11], s[0:1], 0x10
	v_ashrrev_i32_e32 v3, 31, v2
	s_cmp_lg_u32 s19, 0
	s_waitcnt lgkmcnt(0)
	v_lshl_add_u64 v[4:5], v[2:3], 2, s[4:5]
	global_load_dwordx2 v[4:5], v[4:5], off
	v_and_b32_e32 v3, 31, v0
	s_waitcnt vmcnt(0)
	v_subrev_u32_e32 v0, s16, v4
	v_subrev_u32_e32 v10, s16, v5
	v_add_u32_e32 v0, v0, v3
	v_cmp_lt_i32_e64 s[2:3], v0, v10
	s_cbranch_scc0 .LBB33_12
; %bb.7:
	v_mov_b32_e32 v5, 0
	v_mov_b32_e32 v4, v5
	s_and_saveexec_b64 s[4:5], s[2:3]
	s_cbranch_execz .LBB33_11
; %bb.8:
	v_mov_b32_e32 v7, 0
	v_lshlrev_b32_e32 v6, 4, v0
	s_mov_b64 s[18:19], 0
	v_mov_b32_e32 v8, v0
	v_mov_b32_e32 v4, v7
	;; [unrolled: 1-line block ×3, first 2 shown]
.LBB33_9:                               ; =>This Inner Loop Header: Depth=1
	v_ashrrev_i32_e32 v9, 31, v8
	v_lshl_add_u64 v[12:13], v[8:9], 2, s[6:7]
	global_load_dword v1, v[12:13], off
	v_lshl_add_u64 v[36:37], v[6:7], 2, s[8:9]
	global_load_dwordx4 v[12:15], v[36:37], off offset:16
	global_load_dwordx4 v[16:19], v[36:37], off
	v_mov_b32_e32 v21, v7
	v_add_u32_e32 v8, 32, v8
	v_cmp_ge_i32_e32 vcc, v8, v10
	v_add_u32_e32 v6, 0x200, v6
	s_or_b64 s[18:19], vcc, s[18:19]
	s_waitcnt vmcnt(2)
	v_subrev_u32_e32 v1, s16, v1
	v_lshlrev_b32_e32 v20, 3, v1
	v_lshl_add_u64 v[38:39], v[20:21], 2, s[10:11]
	global_load_dwordx4 v[20:23], v[38:39], off
	global_load_dwordx4 v[24:27], v[38:39], off offset:16
	global_load_dwordx4 v[28:31], v[36:37], off offset:32
	;; [unrolled: 1-line block ×3, first 2 shown]
	s_waitcnt vmcnt(3)
	v_pk_fma_f32 v[4:5], v[16:17], v[20:21], v[4:5] op_sel_hi:[1,0,1]
	s_nop 0
	v_pk_fma_f32 v[4:5], v[18:19], v[20:21], v[4:5] op_sel:[0,1,0]
	v_mov_b32_e32 v16, v23
	v_pk_fma_f32 v[4:5], v[12:13], v[22:23], v[4:5] op_sel_hi:[1,0,1]
	s_waitcnt vmcnt(2)
	v_mov_b32_e32 v36, v27
	v_pk_fma_f32 v[4:5], v[14:15], v[16:17], v[4:5] op_sel_hi:[1,0,1]
	s_waitcnt vmcnt(1)
	v_pk_fma_f32 v[4:5], v[28:29], v[24:25], v[4:5] op_sel_hi:[1,0,1]
	s_nop 0
	v_pk_fma_f32 v[4:5], v[30:31], v[24:25], v[4:5] op_sel:[0,1,0]
	s_waitcnt vmcnt(0)
	v_pk_fma_f32 v[4:5], v[32:33], v[26:27], v[4:5] op_sel_hi:[1,0,1]
	s_nop 0
	v_pk_fma_f32 v[4:5], v[34:35], v[36:37], v[4:5] op_sel_hi:[1,0,1]
	s_andn2_b64 exec, exec, s[18:19]
	s_cbranch_execnz .LBB33_9
; %bb.10:
	s_or_b64 exec, exec, s[18:19]
.LBB33_11:
	s_or_b64 exec, exec, s[4:5]
	s_cbranch_execz .LBB33_13
	s_branch .LBB33_18
.LBB33_12:
                                        ; implicit-def: $vgpr5
.LBB33_13:
	v_mov_b32_e32 v5, 0
	v_mov_b32_e32 v4, v5
	s_and_saveexec_b64 s[4:5], s[2:3]
	s_cbranch_execz .LBB33_17
; %bb.14:
	v_mov_b32_e32 v7, 0
	v_lshlrev_b32_e32 v6, 4, v0
	s_mov_b64 s[2:3], 0
	v_mov_b32_e32 v4, v7
	v_mov_b32_e32 v5, v7
.LBB33_15:                              ; =>This Inner Loop Header: Depth=1
	v_ashrrev_i32_e32 v1, 31, v0
	v_lshl_add_u64 v[8:9], v[0:1], 2, s[6:7]
	global_load_dword v1, v[8:9], off
	v_lshl_add_u64 v[8:9], v[6:7], 2, s[8:9]
	v_mov_b32_e32 v29, v7
	global_load_dwordx4 v[12:15], v[8:9], off
	global_load_dwordx4 v[16:19], v[8:9], off offset:32
	global_load_dwordx4 v[20:23], v[8:9], off offset:16
	;; [unrolled: 1-line block ×3, first 2 shown]
	v_add_u32_e32 v0, 32, v0
	v_cmp_ge_i32_e32 vcc, v0, v10
	v_add_u32_e32 v6, 0x200, v6
	s_or_b64 s[2:3], vcc, s[2:3]
	s_waitcnt vmcnt(4)
	v_subrev_u32_e32 v1, s16, v1
	v_lshlrev_b32_e32 v28, 3, v1
	v_lshl_add_u64 v[8:9], v[28:29], 2, s[10:11]
	global_load_dwordx4 v[28:31], v[8:9], off
	global_load_dwordx4 v[32:35], v[8:9], off offset:16
	s_waitcnt vmcnt(5)
	v_mov_b32_e32 v8, v12
	s_waitcnt vmcnt(4)
	v_mov_b32_e32 v9, v16
	v_mov_b32_e32 v16, v13
	;; [unrolled: 1-line block ×5, first 2 shown]
	s_waitcnt vmcnt(3)
	v_mov_b32_e32 v14, v20
	s_waitcnt vmcnt(2)
	v_mov_b32_e32 v15, v24
	v_mov_b32_e32 v24, v21
	;; [unrolled: 1-line block ×5, first 2 shown]
	s_waitcnt vmcnt(1)
	v_pk_fma_f32 v[4:5], v[8:9], v[28:29], v[4:5] op_sel_hi:[1,0,1]
	s_nop 0
	v_pk_fma_f32 v[4:5], v[16:17], v[28:29], v[4:5] op_sel:[0,1,0]
	v_mov_b32_e32 v8, v31
	v_pk_fma_f32 v[4:5], v[12:13], v[30:31], v[4:5] op_sel_hi:[1,0,1]
	s_waitcnt vmcnt(0)
	v_mov_b32_e32 v22, v35
	v_pk_fma_f32 v[4:5], v[18:19], v[8:9], v[4:5] op_sel_hi:[1,0,1]
	s_nop 0
	v_pk_fma_f32 v[4:5], v[14:15], v[32:33], v[4:5] op_sel_hi:[1,0,1]
	s_nop 0
	v_pk_fma_f32 v[4:5], v[24:25], v[32:33], v[4:5] op_sel:[0,1,0]
	s_nop 0
	v_pk_fma_f32 v[4:5], v[20:21], v[34:35], v[4:5] op_sel_hi:[1,0,1]
	s_nop 0
	v_pk_fma_f32 v[4:5], v[26:27], v[22:23], v[4:5] op_sel_hi:[1,0,1]
	s_andn2_b64 exec, exec, s[2:3]
	s_cbranch_execnz .LBB33_15
; %bb.16:
	s_or_b64 exec, exec, s[2:3]
.LBB33_17:
	s_or_b64 exec, exec, s[4:5]
.LBB33_18:
	v_mov_b32_dpp v0, v4 row_shr:1 row_mask:0xf bank_mask:0xf
	v_mov_b32_dpp v1, v5 row_shr:1 row_mask:0xf bank_mask:0xf
	v_pk_add_f32 v[0:1], v[4:5], v[0:1]
	v_cmp_eq_u32_e32 vcc, 31, v3
	s_nop 0
	v_mov_b32_dpp v4, v0 row_shr:2 row_mask:0xf bank_mask:0xf
	v_mov_b32_dpp v5, v1 row_shr:2 row_mask:0xf bank_mask:0xf
	v_pk_add_f32 v[0:1], v[0:1], v[4:5]
	s_nop 1
	v_mov_b32_dpp v4, v0 row_shr:4 row_mask:0xf bank_mask:0xe
	v_mov_b32_dpp v5, v1 row_shr:4 row_mask:0xf bank_mask:0xe
	v_pk_add_f32 v[0:1], v[0:1], v[4:5]
	;; [unrolled: 4-line block ×3, first 2 shown]
	s_nop 1
	v_mov_b32_dpp v4, v0 row_bcast:15 row_mask:0xa bank_mask:0xf
	v_mov_b32_dpp v5, v1 row_bcast:15 row_mask:0xa bank_mask:0xf
	s_and_b64 exec, exec, vcc
	s_cbranch_execz .LBB33_22
; %bb.19:
	s_load_dwordx2 s[0:1], s[0:1], 0x38
	v_cmp_eq_f32_e64 s[2:3], s12, 0
	v_pk_add_f32 v[0:1], v[0:1], v[4:5]
	s_and_b64 vcc, exec, s[2:3]
	v_lshlrev_b32_e32 v2, 1, v2
	s_cbranch_vccz .LBB33_23
; %bb.20:
	v_ashrrev_i32_e32 v3, 31, v2
	s_waitcnt lgkmcnt(0)
	v_lshl_add_u64 v[4:5], v[2:3], 2, s[0:1]
	v_pk_mul_f32 v[6:7], s[14:15], v[0:1] op_sel_hi:[0,1]
	global_store_dwordx2 v[4:5], v[6:7], off
	s_cbranch_execnz .LBB33_22
.LBB33_21:
	v_ashrrev_i32_e32 v3, 31, v2
	s_waitcnt lgkmcnt(0)
	v_lshl_add_u64 v[2:3], v[2:3], 2, s[0:1]
	global_load_dwordx2 v[4:5], v[2:3], off
	v_pk_mul_f32 v[0:1], s[14:15], v[0:1] op_sel_hi:[0,1]
	s_waitcnt vmcnt(0)
	v_pk_fma_f32 v[0:1], s[12:13], v[4:5], v[0:1] op_sel_hi:[0,1,1]
	global_store_dwordx2 v[2:3], v[0:1], off
.LBB33_22:
	s_endpgm
.LBB33_23:
	s_branch .LBB33_21
	.section	.rodata,"a",@progbits
	.p2align	6, 0x0
	.amdhsa_kernel _ZN9rocsparseL19gebsrmvn_2xn_kernelILj128ELj8ELj32EfEEvi20rocsparse_direction_NS_24const_host_device_scalarIT2_EEPKiS6_PKS3_S8_S4_PS3_21rocsparse_index_base_b
		.amdhsa_group_segment_fixed_size 0
		.amdhsa_private_segment_fixed_size 0
		.amdhsa_kernarg_size 72
		.amdhsa_user_sgpr_count 2
		.amdhsa_user_sgpr_dispatch_ptr 0
		.amdhsa_user_sgpr_queue_ptr 0
		.amdhsa_user_sgpr_kernarg_segment_ptr 1
		.amdhsa_user_sgpr_dispatch_id 0
		.amdhsa_user_sgpr_kernarg_preload_length 0
		.amdhsa_user_sgpr_kernarg_preload_offset 0
		.amdhsa_user_sgpr_private_segment_size 0
		.amdhsa_uses_dynamic_stack 0
		.amdhsa_enable_private_segment 0
		.amdhsa_system_sgpr_workgroup_id_x 1
		.amdhsa_system_sgpr_workgroup_id_y 0
		.amdhsa_system_sgpr_workgroup_id_z 0
		.amdhsa_system_sgpr_workgroup_info 0
		.amdhsa_system_vgpr_workitem_id 0
		.amdhsa_next_free_vgpr 40
		.amdhsa_next_free_sgpr 20
		.amdhsa_accum_offset 40
		.amdhsa_reserve_vcc 1
		.amdhsa_float_round_mode_32 0
		.amdhsa_float_round_mode_16_64 0
		.amdhsa_float_denorm_mode_32 3
		.amdhsa_float_denorm_mode_16_64 3
		.amdhsa_dx10_clamp 1
		.amdhsa_ieee_mode 1
		.amdhsa_fp16_overflow 0
		.amdhsa_tg_split 0
		.amdhsa_exception_fp_ieee_invalid_op 0
		.amdhsa_exception_fp_denorm_src 0
		.amdhsa_exception_fp_ieee_div_zero 0
		.amdhsa_exception_fp_ieee_overflow 0
		.amdhsa_exception_fp_ieee_underflow 0
		.amdhsa_exception_fp_ieee_inexact 0
		.amdhsa_exception_int_div_zero 0
	.end_amdhsa_kernel
	.section	.text._ZN9rocsparseL19gebsrmvn_2xn_kernelILj128ELj8ELj32EfEEvi20rocsparse_direction_NS_24const_host_device_scalarIT2_EEPKiS6_PKS3_S8_S4_PS3_21rocsparse_index_base_b,"axG",@progbits,_ZN9rocsparseL19gebsrmvn_2xn_kernelILj128ELj8ELj32EfEEvi20rocsparse_direction_NS_24const_host_device_scalarIT2_EEPKiS6_PKS3_S8_S4_PS3_21rocsparse_index_base_b,comdat
.Lfunc_end33:
	.size	_ZN9rocsparseL19gebsrmvn_2xn_kernelILj128ELj8ELj32EfEEvi20rocsparse_direction_NS_24const_host_device_scalarIT2_EEPKiS6_PKS3_S8_S4_PS3_21rocsparse_index_base_b, .Lfunc_end33-_ZN9rocsparseL19gebsrmvn_2xn_kernelILj128ELj8ELj32EfEEvi20rocsparse_direction_NS_24const_host_device_scalarIT2_EEPKiS6_PKS3_S8_S4_PS3_21rocsparse_index_base_b
                                        ; -- End function
	.section	.AMDGPU.csdata,"",@progbits
; Kernel info:
; codeLenInByte = 1100
; NumSgprs: 26
; NumVgprs: 40
; NumAgprs: 0
; TotalNumVgprs: 40
; ScratchSize: 0
; MemoryBound: 0
; FloatMode: 240
; IeeeMode: 1
; LDSByteSize: 0 bytes/workgroup (compile time only)
; SGPRBlocks: 3
; VGPRBlocks: 4
; NumSGPRsForWavesPerEU: 26
; NumVGPRsForWavesPerEU: 40
; AccumOffset: 40
; Occupancy: 8
; WaveLimiterHint : 1
; COMPUTE_PGM_RSRC2:SCRATCH_EN: 0
; COMPUTE_PGM_RSRC2:USER_SGPR: 2
; COMPUTE_PGM_RSRC2:TRAP_HANDLER: 0
; COMPUTE_PGM_RSRC2:TGID_X_EN: 1
; COMPUTE_PGM_RSRC2:TGID_Y_EN: 0
; COMPUTE_PGM_RSRC2:TGID_Z_EN: 0
; COMPUTE_PGM_RSRC2:TIDIG_COMP_CNT: 0
; COMPUTE_PGM_RSRC3_GFX90A:ACCUM_OFFSET: 9
; COMPUTE_PGM_RSRC3_GFX90A:TG_SPLIT: 0
	.section	.text._ZN9rocsparseL19gebsrmvn_2xn_kernelILj128ELj8ELj64EfEEvi20rocsparse_direction_NS_24const_host_device_scalarIT2_EEPKiS6_PKS3_S8_S4_PS3_21rocsparse_index_base_b,"axG",@progbits,_ZN9rocsparseL19gebsrmvn_2xn_kernelILj128ELj8ELj64EfEEvi20rocsparse_direction_NS_24const_host_device_scalarIT2_EEPKiS6_PKS3_S8_S4_PS3_21rocsparse_index_base_b,comdat
	.globl	_ZN9rocsparseL19gebsrmvn_2xn_kernelILj128ELj8ELj64EfEEvi20rocsparse_direction_NS_24const_host_device_scalarIT2_EEPKiS6_PKS3_S8_S4_PS3_21rocsparse_index_base_b ; -- Begin function _ZN9rocsparseL19gebsrmvn_2xn_kernelILj128ELj8ELj64EfEEvi20rocsparse_direction_NS_24const_host_device_scalarIT2_EEPKiS6_PKS3_S8_S4_PS3_21rocsparse_index_base_b
	.p2align	8
	.type	_ZN9rocsparseL19gebsrmvn_2xn_kernelILj128ELj8ELj64EfEEvi20rocsparse_direction_NS_24const_host_device_scalarIT2_EEPKiS6_PKS3_S8_S4_PS3_21rocsparse_index_base_b,@function
_ZN9rocsparseL19gebsrmvn_2xn_kernelILj128ELj8ELj64EfEEvi20rocsparse_direction_NS_24const_host_device_scalarIT2_EEPKiS6_PKS3_S8_S4_PS3_21rocsparse_index_base_b: ; @_ZN9rocsparseL19gebsrmvn_2xn_kernelILj128ELj8ELj64EfEEvi20rocsparse_direction_NS_24const_host_device_scalarIT2_EEPKiS6_PKS3_S8_S4_PS3_21rocsparse_index_base_b
; %bb.0:
	s_load_dwordx2 s[16:17], s[0:1], 0x40
	s_load_dwordx2 s[14:15], s[0:1], 0x8
	;; [unrolled: 1-line block ×3, first 2 shown]
	s_waitcnt lgkmcnt(0)
	s_bitcmp1_b32 s17, 0
	s_cselect_b64 s[6:7], -1, 0
	s_xor_b64 s[4:5], s[6:7], -1
	s_and_b64 vcc, exec, s[6:7]
	s_cbranch_vccnz .LBB34_2
; %bb.1:
	s_load_dword s14, s[14:15], 0x0
.LBB34_2:
	s_andn2_b64 vcc, exec, s[4:5]
	s_cbranch_vccnz .LBB34_4
; %bb.3:
	s_load_dword s12, s[12:13], 0x0
.LBB34_4:
	s_waitcnt lgkmcnt(0)
	v_cmp_eq_f32_e64 s[4:5], s14, 0
	v_cmp_eq_f32_e64 s[6:7], s12, 1.0
	s_and_b64 s[4:5], s[4:5], s[6:7]
	s_and_b64 vcc, exec, s[4:5]
	s_cbranch_vccnz .LBB34_22
; %bb.5:
	s_load_dwordx2 s[18:19], s[0:1], 0x0
	v_lshrrev_b32_e32 v1, 6, v0
	v_lshl_or_b32 v2, s2, 1, v1
	s_waitcnt lgkmcnt(0)
	v_cmp_gt_i32_e32 vcc, s18, v2
	s_and_saveexec_b64 s[2:3], vcc
	s_cbranch_execz .LBB34_22
; %bb.6:
	s_load_dwordx8 s[4:11], s[0:1], 0x10
	v_ashrrev_i32_e32 v3, 31, v2
	s_cmp_lg_u32 s19, 0
	s_waitcnt lgkmcnt(0)
	v_lshl_add_u64 v[4:5], v[2:3], 2, s[4:5]
	global_load_dwordx2 v[4:5], v[4:5], off
	v_and_b32_e32 v3, 63, v0
	s_waitcnt vmcnt(0)
	v_subrev_u32_e32 v0, s16, v4
	v_subrev_u32_e32 v10, s16, v5
	v_add_u32_e32 v0, v0, v3
	v_cmp_lt_i32_e64 s[2:3], v0, v10
	s_cbranch_scc0 .LBB34_12
; %bb.7:
	v_mov_b32_e32 v5, 0
	v_mov_b32_e32 v4, v5
	s_and_saveexec_b64 s[4:5], s[2:3]
	s_cbranch_execz .LBB34_11
; %bb.8:
	v_mov_b32_e32 v7, 0
	v_lshlrev_b32_e32 v6, 4, v0
	s_mov_b64 s[18:19], 0
	v_mov_b32_e32 v8, v0
	v_mov_b32_e32 v4, v7
	;; [unrolled: 1-line block ×3, first 2 shown]
.LBB34_9:                               ; =>This Inner Loop Header: Depth=1
	v_ashrrev_i32_e32 v9, 31, v8
	v_lshl_add_u64 v[12:13], v[8:9], 2, s[6:7]
	global_load_dword v1, v[12:13], off
	v_lshl_add_u64 v[36:37], v[6:7], 2, s[8:9]
	global_load_dwordx4 v[12:15], v[36:37], off offset:16
	global_load_dwordx4 v[16:19], v[36:37], off
	v_mov_b32_e32 v21, v7
	v_add_u32_e32 v8, 64, v8
	v_cmp_ge_i32_e32 vcc, v8, v10
	v_add_u32_e32 v6, 0x400, v6
	s_or_b64 s[18:19], vcc, s[18:19]
	s_waitcnt vmcnt(2)
	v_subrev_u32_e32 v1, s16, v1
	v_lshlrev_b32_e32 v20, 3, v1
	v_lshl_add_u64 v[38:39], v[20:21], 2, s[10:11]
	global_load_dwordx4 v[20:23], v[38:39], off
	global_load_dwordx4 v[24:27], v[38:39], off offset:16
	global_load_dwordx4 v[28:31], v[36:37], off offset:32
	;; [unrolled: 1-line block ×3, first 2 shown]
	s_waitcnt vmcnt(3)
	v_pk_fma_f32 v[4:5], v[16:17], v[20:21], v[4:5] op_sel_hi:[1,0,1]
	s_nop 0
	v_pk_fma_f32 v[4:5], v[18:19], v[20:21], v[4:5] op_sel:[0,1,0]
	v_mov_b32_e32 v16, v23
	v_pk_fma_f32 v[4:5], v[12:13], v[22:23], v[4:5] op_sel_hi:[1,0,1]
	s_waitcnt vmcnt(2)
	v_mov_b32_e32 v36, v27
	v_pk_fma_f32 v[4:5], v[14:15], v[16:17], v[4:5] op_sel_hi:[1,0,1]
	s_waitcnt vmcnt(1)
	v_pk_fma_f32 v[4:5], v[28:29], v[24:25], v[4:5] op_sel_hi:[1,0,1]
	s_nop 0
	v_pk_fma_f32 v[4:5], v[30:31], v[24:25], v[4:5] op_sel:[0,1,0]
	s_waitcnt vmcnt(0)
	v_pk_fma_f32 v[4:5], v[32:33], v[26:27], v[4:5] op_sel_hi:[1,0,1]
	s_nop 0
	v_pk_fma_f32 v[4:5], v[34:35], v[36:37], v[4:5] op_sel_hi:[1,0,1]
	s_andn2_b64 exec, exec, s[18:19]
	s_cbranch_execnz .LBB34_9
; %bb.10:
	s_or_b64 exec, exec, s[18:19]
.LBB34_11:
	s_or_b64 exec, exec, s[4:5]
	s_cbranch_execz .LBB34_13
	s_branch .LBB34_18
.LBB34_12:
                                        ; implicit-def: $vgpr5
.LBB34_13:
	v_mov_b32_e32 v5, 0
	v_mov_b32_e32 v4, v5
	s_and_saveexec_b64 s[4:5], s[2:3]
	s_cbranch_execz .LBB34_17
; %bb.14:
	v_mov_b32_e32 v7, 0
	v_lshlrev_b32_e32 v6, 4, v0
	s_mov_b64 s[2:3], 0
	v_mov_b32_e32 v4, v7
	v_mov_b32_e32 v5, v7
.LBB34_15:                              ; =>This Inner Loop Header: Depth=1
	v_ashrrev_i32_e32 v1, 31, v0
	v_lshl_add_u64 v[8:9], v[0:1], 2, s[6:7]
	global_load_dword v1, v[8:9], off
	v_lshl_add_u64 v[8:9], v[6:7], 2, s[8:9]
	v_mov_b32_e32 v29, v7
	global_load_dwordx4 v[12:15], v[8:9], off
	global_load_dwordx4 v[16:19], v[8:9], off offset:32
	global_load_dwordx4 v[20:23], v[8:9], off offset:16
	;; [unrolled: 1-line block ×3, first 2 shown]
	v_add_u32_e32 v0, 64, v0
	v_cmp_ge_i32_e32 vcc, v0, v10
	v_add_u32_e32 v6, 0x400, v6
	s_or_b64 s[2:3], vcc, s[2:3]
	s_waitcnt vmcnt(4)
	v_subrev_u32_e32 v1, s16, v1
	v_lshlrev_b32_e32 v28, 3, v1
	v_lshl_add_u64 v[8:9], v[28:29], 2, s[10:11]
	global_load_dwordx4 v[28:31], v[8:9], off
	global_load_dwordx4 v[32:35], v[8:9], off offset:16
	s_waitcnt vmcnt(5)
	v_mov_b32_e32 v8, v12
	s_waitcnt vmcnt(4)
	v_mov_b32_e32 v9, v16
	v_mov_b32_e32 v16, v13
	;; [unrolled: 1-line block ×5, first 2 shown]
	s_waitcnt vmcnt(3)
	v_mov_b32_e32 v14, v20
	s_waitcnt vmcnt(2)
	v_mov_b32_e32 v15, v24
	v_mov_b32_e32 v24, v21
	;; [unrolled: 1-line block ×5, first 2 shown]
	s_waitcnt vmcnt(1)
	v_pk_fma_f32 v[4:5], v[8:9], v[28:29], v[4:5] op_sel_hi:[1,0,1]
	s_nop 0
	v_pk_fma_f32 v[4:5], v[16:17], v[28:29], v[4:5] op_sel:[0,1,0]
	v_mov_b32_e32 v8, v31
	v_pk_fma_f32 v[4:5], v[12:13], v[30:31], v[4:5] op_sel_hi:[1,0,1]
	s_waitcnt vmcnt(0)
	v_mov_b32_e32 v22, v35
	v_pk_fma_f32 v[4:5], v[18:19], v[8:9], v[4:5] op_sel_hi:[1,0,1]
	s_nop 0
	v_pk_fma_f32 v[4:5], v[14:15], v[32:33], v[4:5] op_sel_hi:[1,0,1]
	s_nop 0
	v_pk_fma_f32 v[4:5], v[24:25], v[32:33], v[4:5] op_sel:[0,1,0]
	s_nop 0
	v_pk_fma_f32 v[4:5], v[20:21], v[34:35], v[4:5] op_sel_hi:[1,0,1]
	s_nop 0
	v_pk_fma_f32 v[4:5], v[26:27], v[22:23], v[4:5] op_sel_hi:[1,0,1]
	s_andn2_b64 exec, exec, s[2:3]
	s_cbranch_execnz .LBB34_15
; %bb.16:
	s_or_b64 exec, exec, s[2:3]
.LBB34_17:
	s_or_b64 exec, exec, s[4:5]
.LBB34_18:
	v_mov_b32_dpp v0, v4 row_shr:1 row_mask:0xf bank_mask:0xf
	v_mov_b32_dpp v1, v5 row_shr:1 row_mask:0xf bank_mask:0xf
	v_pk_add_f32 v[0:1], v[4:5], v[0:1]
	v_cmp_eq_u32_e32 vcc, 63, v3
	s_nop 0
	v_mov_b32_dpp v4, v0 row_shr:2 row_mask:0xf bank_mask:0xf
	v_mov_b32_dpp v5, v1 row_shr:2 row_mask:0xf bank_mask:0xf
	v_pk_add_f32 v[0:1], v[0:1], v[4:5]
	s_nop 1
	v_mov_b32_dpp v4, v0 row_shr:4 row_mask:0xf bank_mask:0xe
	v_mov_b32_dpp v5, v1 row_shr:4 row_mask:0xf bank_mask:0xe
	v_pk_add_f32 v[0:1], v[0:1], v[4:5]
	;; [unrolled: 4-line block ×3, first 2 shown]
	s_nop 1
	v_mov_b32_dpp v4, v0 row_bcast:15 row_mask:0xa bank_mask:0xf
	v_mov_b32_dpp v5, v1 row_bcast:15 row_mask:0xa bank_mask:0xf
	v_pk_add_f32 v[0:1], v[0:1], v[4:5]
	s_nop 1
	v_mov_b32_dpp v4, v0 row_bcast:31 row_mask:0xc bank_mask:0xf
	v_mov_b32_dpp v5, v1 row_bcast:31 row_mask:0xc bank_mask:0xf
	s_and_b64 exec, exec, vcc
	s_cbranch_execz .LBB34_22
; %bb.19:
	s_load_dwordx2 s[0:1], s[0:1], 0x38
	v_cmp_eq_f32_e64 s[2:3], s12, 0
	v_pk_add_f32 v[0:1], v[0:1], v[4:5]
	s_and_b64 vcc, exec, s[2:3]
	v_lshlrev_b32_e32 v2, 1, v2
	s_cbranch_vccz .LBB34_23
; %bb.20:
	v_ashrrev_i32_e32 v3, 31, v2
	s_waitcnt lgkmcnt(0)
	v_lshl_add_u64 v[4:5], v[2:3], 2, s[0:1]
	v_pk_mul_f32 v[6:7], s[14:15], v[0:1] op_sel_hi:[0,1]
	global_store_dwordx2 v[4:5], v[6:7], off
	s_cbranch_execnz .LBB34_22
.LBB34_21:
	v_ashrrev_i32_e32 v3, 31, v2
	s_waitcnt lgkmcnt(0)
	v_lshl_add_u64 v[2:3], v[2:3], 2, s[0:1]
	global_load_dwordx2 v[4:5], v[2:3], off
	v_pk_mul_f32 v[0:1], s[14:15], v[0:1] op_sel_hi:[0,1]
	s_waitcnt vmcnt(0)
	v_pk_fma_f32 v[0:1], s[12:13], v[4:5], v[0:1] op_sel_hi:[0,1,1]
	global_store_dwordx2 v[2:3], v[0:1], off
.LBB34_22:
	s_endpgm
.LBB34_23:
	s_branch .LBB34_21
	.section	.rodata,"a",@progbits
	.p2align	6, 0x0
	.amdhsa_kernel _ZN9rocsparseL19gebsrmvn_2xn_kernelILj128ELj8ELj64EfEEvi20rocsparse_direction_NS_24const_host_device_scalarIT2_EEPKiS6_PKS3_S8_S4_PS3_21rocsparse_index_base_b
		.amdhsa_group_segment_fixed_size 0
		.amdhsa_private_segment_fixed_size 0
		.amdhsa_kernarg_size 72
		.amdhsa_user_sgpr_count 2
		.amdhsa_user_sgpr_dispatch_ptr 0
		.amdhsa_user_sgpr_queue_ptr 0
		.amdhsa_user_sgpr_kernarg_segment_ptr 1
		.amdhsa_user_sgpr_dispatch_id 0
		.amdhsa_user_sgpr_kernarg_preload_length 0
		.amdhsa_user_sgpr_kernarg_preload_offset 0
		.amdhsa_user_sgpr_private_segment_size 0
		.amdhsa_uses_dynamic_stack 0
		.amdhsa_enable_private_segment 0
		.amdhsa_system_sgpr_workgroup_id_x 1
		.amdhsa_system_sgpr_workgroup_id_y 0
		.amdhsa_system_sgpr_workgroup_id_z 0
		.amdhsa_system_sgpr_workgroup_info 0
		.amdhsa_system_vgpr_workitem_id 0
		.amdhsa_next_free_vgpr 40
		.amdhsa_next_free_sgpr 20
		.amdhsa_accum_offset 40
		.amdhsa_reserve_vcc 1
		.amdhsa_float_round_mode_32 0
		.amdhsa_float_round_mode_16_64 0
		.amdhsa_float_denorm_mode_32 3
		.amdhsa_float_denorm_mode_16_64 3
		.amdhsa_dx10_clamp 1
		.amdhsa_ieee_mode 1
		.amdhsa_fp16_overflow 0
		.amdhsa_tg_split 0
		.amdhsa_exception_fp_ieee_invalid_op 0
		.amdhsa_exception_fp_denorm_src 0
		.amdhsa_exception_fp_ieee_div_zero 0
		.amdhsa_exception_fp_ieee_overflow 0
		.amdhsa_exception_fp_ieee_underflow 0
		.amdhsa_exception_fp_ieee_inexact 0
		.amdhsa_exception_int_div_zero 0
	.end_amdhsa_kernel
	.section	.text._ZN9rocsparseL19gebsrmvn_2xn_kernelILj128ELj8ELj64EfEEvi20rocsparse_direction_NS_24const_host_device_scalarIT2_EEPKiS6_PKS3_S8_S4_PS3_21rocsparse_index_base_b,"axG",@progbits,_ZN9rocsparseL19gebsrmvn_2xn_kernelILj128ELj8ELj64EfEEvi20rocsparse_direction_NS_24const_host_device_scalarIT2_EEPKiS6_PKS3_S8_S4_PS3_21rocsparse_index_base_b,comdat
.Lfunc_end34:
	.size	_ZN9rocsparseL19gebsrmvn_2xn_kernelILj128ELj8ELj64EfEEvi20rocsparse_direction_NS_24const_host_device_scalarIT2_EEPKiS6_PKS3_S8_S4_PS3_21rocsparse_index_base_b, .Lfunc_end34-_ZN9rocsparseL19gebsrmvn_2xn_kernelILj128ELj8ELj64EfEEvi20rocsparse_direction_NS_24const_host_device_scalarIT2_EEPKiS6_PKS3_S8_S4_PS3_21rocsparse_index_base_b
                                        ; -- End function
	.section	.AMDGPU.csdata,"",@progbits
; Kernel info:
; codeLenInByte = 1128
; NumSgprs: 26
; NumVgprs: 40
; NumAgprs: 0
; TotalNumVgprs: 40
; ScratchSize: 0
; MemoryBound: 0
; FloatMode: 240
; IeeeMode: 1
; LDSByteSize: 0 bytes/workgroup (compile time only)
; SGPRBlocks: 3
; VGPRBlocks: 4
; NumSGPRsForWavesPerEU: 26
; NumVGPRsForWavesPerEU: 40
; AccumOffset: 40
; Occupancy: 8
; WaveLimiterHint : 1
; COMPUTE_PGM_RSRC2:SCRATCH_EN: 0
; COMPUTE_PGM_RSRC2:USER_SGPR: 2
; COMPUTE_PGM_RSRC2:TRAP_HANDLER: 0
; COMPUTE_PGM_RSRC2:TGID_X_EN: 1
; COMPUTE_PGM_RSRC2:TGID_Y_EN: 0
; COMPUTE_PGM_RSRC2:TGID_Z_EN: 0
; COMPUTE_PGM_RSRC2:TIDIG_COMP_CNT: 0
; COMPUTE_PGM_RSRC3_GFX90A:ACCUM_OFFSET: 9
; COMPUTE_PGM_RSRC3_GFX90A:TG_SPLIT: 0
	.section	.text._ZN9rocsparseL19gebsrmvn_2xn_kernelILj128ELj9ELj4EfEEvi20rocsparse_direction_NS_24const_host_device_scalarIT2_EEPKiS6_PKS3_S8_S4_PS3_21rocsparse_index_base_b,"axG",@progbits,_ZN9rocsparseL19gebsrmvn_2xn_kernelILj128ELj9ELj4EfEEvi20rocsparse_direction_NS_24const_host_device_scalarIT2_EEPKiS6_PKS3_S8_S4_PS3_21rocsparse_index_base_b,comdat
	.globl	_ZN9rocsparseL19gebsrmvn_2xn_kernelILj128ELj9ELj4EfEEvi20rocsparse_direction_NS_24const_host_device_scalarIT2_EEPKiS6_PKS3_S8_S4_PS3_21rocsparse_index_base_b ; -- Begin function _ZN9rocsparseL19gebsrmvn_2xn_kernelILj128ELj9ELj4EfEEvi20rocsparse_direction_NS_24const_host_device_scalarIT2_EEPKiS6_PKS3_S8_S4_PS3_21rocsparse_index_base_b
	.p2align	8
	.type	_ZN9rocsparseL19gebsrmvn_2xn_kernelILj128ELj9ELj4EfEEvi20rocsparse_direction_NS_24const_host_device_scalarIT2_EEPKiS6_PKS3_S8_S4_PS3_21rocsparse_index_base_b,@function
_ZN9rocsparseL19gebsrmvn_2xn_kernelILj128ELj9ELj4EfEEvi20rocsparse_direction_NS_24const_host_device_scalarIT2_EEPKiS6_PKS3_S8_S4_PS3_21rocsparse_index_base_b: ; @_ZN9rocsparseL19gebsrmvn_2xn_kernelILj128ELj9ELj4EfEEvi20rocsparse_direction_NS_24const_host_device_scalarIT2_EEPKiS6_PKS3_S8_S4_PS3_21rocsparse_index_base_b
; %bb.0:
	s_load_dwordx2 s[16:17], s[0:1], 0x40
	s_load_dwordx2 s[14:15], s[0:1], 0x8
	;; [unrolled: 1-line block ×3, first 2 shown]
	s_waitcnt lgkmcnt(0)
	s_bitcmp1_b32 s17, 0
	s_cselect_b64 s[6:7], -1, 0
	s_xor_b64 s[4:5], s[6:7], -1
	s_and_b64 vcc, exec, s[6:7]
	s_cbranch_vccnz .LBB35_2
; %bb.1:
	s_load_dword s14, s[14:15], 0x0
.LBB35_2:
	s_andn2_b64 vcc, exec, s[4:5]
	s_cbranch_vccnz .LBB35_4
; %bb.3:
	s_load_dword s12, s[12:13], 0x0
.LBB35_4:
	s_waitcnt lgkmcnt(0)
	v_cmp_eq_f32_e64 s[4:5], s14, 0
	v_cmp_eq_f32_e64 s[6:7], s12, 1.0
	s_and_b64 s[4:5], s[4:5], s[6:7]
	s_and_b64 vcc, exec, s[4:5]
	s_cbranch_vccnz .LBB35_22
; %bb.5:
	s_load_dwordx2 s[18:19], s[0:1], 0x0
	v_lshrrev_b32_e32 v1, 2, v0
	v_lshl_or_b32 v2, s2, 5, v1
	s_waitcnt lgkmcnt(0)
	v_cmp_gt_i32_e32 vcc, s18, v2
	s_and_saveexec_b64 s[2:3], vcc
	s_cbranch_execz .LBB35_22
; %bb.6:
	s_load_dwordx8 s[4:11], s[0:1], 0x10
	v_ashrrev_i32_e32 v3, 31, v2
	s_cmp_lg_u32 s19, 0
	s_waitcnt lgkmcnt(0)
	v_lshl_add_u64 v[4:5], v[2:3], 2, s[4:5]
	global_load_dwordx2 v[4:5], v[4:5], off
	v_and_b32_e32 v3, 3, v0
	s_waitcnt vmcnt(0)
	v_subrev_u32_e32 v0, s16, v4
	v_subrev_u32_e32 v12, s16, v5
	v_add_u32_e32 v0, v0, v3
	v_cmp_lt_i32_e64 s[2:3], v0, v12
	s_cbranch_scc0 .LBB35_12
; %bb.7:
	v_mov_b32_e32 v5, 0
	v_mov_b32_e32 v4, v5
	s_and_saveexec_b64 s[4:5], s[2:3]
	s_cbranch_execz .LBB35_11
; %bb.8:
	v_mad_u64_u32 v[6:7], s[18:19], v0, 18, 16
	v_mov_b32_e32 v9, 0
	s_mov_b64 s[18:19], 0
	v_mov_b32_e32 v10, v0
	v_mov_b32_e32 v4, v9
	;; [unrolled: 1-line block ×3, first 2 shown]
.LBB35_9:                               ; =>This Inner Loop Header: Depth=1
	v_ashrrev_i32_e32 v11, 31, v10
	v_lshl_add_u64 v[14:15], v[10:11], 2, s[6:7]
	global_load_dword v1, v[14:15], off
	v_add_u32_e32 v8, -16, v6
	v_mov_b32_e32 v7, v9
	v_lshl_add_u64 v[16:17], v[8:9], 2, s[8:9]
	v_add_u32_e32 v8, -14, v6
	v_lshl_add_u64 v[18:19], v[6:7], 2, s[8:9]
	v_lshl_add_u64 v[20:21], v[8:9], 2, s[8:9]
	global_load_dwordx2 v[16:17], v[16:17], off
	s_nop 0
	global_load_dwordx2 v[22:23], v[18:19], off
	global_load_dwordx2 v[24:25], v[20:21], off
	v_mov_b32_e32 v15, v9
	v_add_u32_e32 v10, 4, v10
	v_cmp_ge_i32_e32 vcc, v10, v12
	s_or_b64 s[18:19], vcc, s[18:19]
	s_waitcnt vmcnt(3)
	v_subrev_u32_e32 v1, s16, v1
	v_lshl_add_u32 v14, v1, 3, v1
	v_add_u32_e32 v8, 1, v14
	v_lshl_add_u64 v[20:21], v[8:9], 2, s[10:11]
	v_add_u32_e32 v8, -12, v6
	v_lshl_add_u64 v[26:27], v[8:9], 2, s[8:9]
	v_add_u32_e32 v8, 2, v14
	v_lshl_add_u64 v[28:29], v[8:9], 2, s[10:11]
	v_add_u32_e32 v8, -10, v6
	v_lshl_add_u64 v[30:31], v[8:9], 2, s[8:9]
	;; [unrolled: 4-line block ×3, first 2 shown]
	v_lshl_add_u64 v[34:35], v[8:9], 2, s[8:9]
	v_add_u32_e32 v8, 4, v14
	global_load_dword v18, v[18:19], off
	v_lshl_add_u64 v[36:37], v[8:9], 2, s[10:11]
	global_load_dword v20, v[20:21], off
	v_add_u32_e32 v8, -6, v6
	v_lshl_add_u64 v[38:39], v[8:9], 2, s[8:9]
	v_add_u32_e32 v8, 5, v14
	global_load_dwordx2 v[26:27], v[26:27], off
	v_lshl_add_u64 v[40:41], v[8:9], 2, s[10:11]
	global_load_dword v28, v[28:29], off
	v_add_u32_e32 v8, -4, v6
	global_load_dwordx2 v[30:31], v[30:31], off
	v_lshl_add_u64 v[42:43], v[8:9], 2, s[8:9]
	global_load_dword v32, v[32:33], off
	v_add_u32_e32 v8, 6, v14
	global_load_dwordx2 v[34:35], v[34:35], off
	v_lshl_add_u64 v[44:45], v[8:9], 2, s[10:11]
	global_load_dword v36, v[36:37], off
	v_add_u32_e32 v8, -2, v6
	global_load_dwordx2 v[38:39], v[38:39], off
	v_lshl_add_u64 v[46:47], v[8:9], 2, s[8:9]
	global_load_dword v40, v[40:41], off
	v_add_u32_e32 v8, 7, v14
	global_load_dwordx2 v[42:43], v[42:43], off
	v_lshl_add_u64 v[48:49], v[8:9], 2, s[10:11]
	global_load_dword v44, v[44:45], off
	v_add_u32_e32 v8, 8, v14
	global_load_dwordx2 v[46:47], v[46:47], off
	v_add_u32_e32 v6, 0x48, v6
	global_load_dword v14, v[48:49], off
	v_lshl_add_u64 v[48:49], v[8:9], 2, s[10:11]
	global_load_dword v8, v[48:49], off
	s_waitcnt vmcnt(14)
	v_pk_fma_f32 v[4:5], v[16:17], v[18:19], v[4:5] op_sel_hi:[1,0,1]
	s_waitcnt vmcnt(13)
	v_pk_fma_f32 v[4:5], v[24:25], v[20:21], v[4:5] op_sel_hi:[1,0,1]
	s_waitcnt vmcnt(11)
	v_pk_fma_f32 v[4:5], v[26:27], v[28:29], v[4:5] op_sel_hi:[1,0,1]
	s_waitcnt vmcnt(9)
	v_pk_fma_f32 v[4:5], v[30:31], v[32:33], v[4:5] op_sel_hi:[1,0,1]
	s_waitcnt vmcnt(7)
	v_pk_fma_f32 v[4:5], v[34:35], v[36:37], v[4:5] op_sel_hi:[1,0,1]
	s_waitcnt vmcnt(5)
	v_pk_fma_f32 v[4:5], v[38:39], v[40:41], v[4:5] op_sel_hi:[1,0,1]
	s_waitcnt vmcnt(3)
	v_pk_fma_f32 v[4:5], v[42:43], v[44:45], v[4:5] op_sel_hi:[1,0,1]
	s_waitcnt vmcnt(1)
	v_pk_fma_f32 v[4:5], v[46:47], v[14:15], v[4:5] op_sel_hi:[1,0,1]
	s_waitcnt vmcnt(0)
	v_pk_fma_f32 v[4:5], v[22:23], v[8:9], v[4:5] op_sel_hi:[1,0,1]
	s_andn2_b64 exec, exec, s[18:19]
	s_cbranch_execnz .LBB35_9
; %bb.10:
	s_or_b64 exec, exec, s[18:19]
.LBB35_11:
	s_or_b64 exec, exec, s[4:5]
	s_cbranch_execz .LBB35_13
	s_branch .LBB35_18
.LBB35_12:
                                        ; implicit-def: $vgpr5
.LBB35_13:
	v_mov_b32_e32 v5, 0
	v_mov_b32_e32 v4, v5
	s_and_saveexec_b64 s[4:5], s[2:3]
	s_cbranch_execz .LBB35_17
; %bb.14:
	v_mad_u64_u32 v[6:7], s[2:3], v0, 18, 17
	v_mov_b32_e32 v9, 0
	s_mov_b64 s[2:3], 0
	v_mov_b32_e32 v4, v9
	v_mov_b32_e32 v5, v9
.LBB35_15:                              ; =>This Inner Loop Header: Depth=1
	v_ashrrev_i32_e32 v1, 31, v0
	v_lshl_add_u64 v[10:11], v[0:1], 2, s[6:7]
	global_load_dword v1, v[10:11], off
	v_subrev_u32_e32 v8, 17, v6
	v_add_u32_e32 v10, -8, v6
	v_mov_b32_e32 v11, v9
	v_mov_b32_e32 v7, v9
	v_lshl_add_u64 v[16:17], v[8:9], 2, s[8:9]
	v_lshl_add_u64 v[10:11], v[10:11], 2, s[8:9]
	v_lshl_add_u64 v[18:19], v[6:7], 2, s[8:9]
	global_load_dwordx2 v[20:21], v[16:17], off
	global_load_dword v23, v[10:11], off
	global_load_dword v25, v[18:19], off
	v_mov_b32_e32 v15, v9
	v_add_u32_e32 v0, 4, v0
	v_cmp_ge_i32_e32 vcc, v0, v12
	s_or_b64 s[2:3], vcc, s[2:3]
	s_waitcnt vmcnt(3)
	v_subrev_u32_e32 v1, s16, v1
	v_lshl_add_u32 v14, v1, 3, v1
	v_add_u32_e32 v8, 1, v14
	v_lshl_add_u64 v[16:17], v[8:9], 2, s[10:11]
	v_add_u32_e32 v8, -7, v6
	v_lshl_add_u64 v[18:19], v[8:9], 2, s[8:9]
	v_add_u32_e32 v8, -15, v6
	v_lshl_add_u64 v[10:11], v[14:15], 2, s[10:11]
	v_lshl_add_u64 v[26:27], v[8:9], 2, s[8:9]
	v_add_u32_e32 v8, 2, v14
	global_load_dword v10, v[10:11], off
	s_waitcnt vmcnt(3)
	v_mov_b32_e32 v22, v20
	global_load_dword v16, v[16:17], off
	s_nop 0
	global_load_dword v15, v[18:19], off
	global_load_dword v28, v[26:27], off
	v_lshl_add_u64 v[18:19], v[8:9], 2, s[10:11]
	v_add_u32_e32 v8, -6, v6
	v_lshl_add_u64 v[26:27], v[8:9], 2, s[8:9]
	v_add_u32_e32 v8, -14, v6
	v_lshl_add_u64 v[30:31], v[8:9], 2, s[8:9]
	v_add_u32_e32 v8, 3, v14
	global_load_dword v18, v[18:19], off
	s_nop 0
	global_load_dword v29, v[26:27], off
	global_load_dword v32, v[30:31], off
	v_lshl_add_u64 v[26:27], v[8:9], 2, s[10:11]
	v_add_u32_e32 v8, -5, v6
	v_lshl_add_u64 v[30:31], v[8:9], 2, s[8:9]
	v_add_u32_e32 v8, -13, v6
	v_lshl_add_u64 v[34:35], v[8:9], 2, s[8:9]
	v_add_u32_e32 v8, 4, v14
	;; [unrolled: 10-line block ×6, first 2 shown]
	global_load_dword v42, v[42:43], off
	s_nop 0
	global_load_dword v49, v[46:47], off
	global_load_dword v24, v[50:51], off
	v_lshl_add_u64 v[46:47], v[8:9], 2, s[10:11]
	global_load_dword v8, v[46:47], off
	v_mov_b32_e32 v14, v21
	v_add_u32_e32 v6, 0x48, v6
	s_waitcnt vmcnt(22)
	v_pk_fma_f32 v[4:5], v[22:23], v[10:11], v[4:5] op_sel_hi:[1,0,1]
	s_waitcnt vmcnt(20)
	v_pk_fma_f32 v[4:5], v[14:15], v[16:17], v[4:5] op_sel_hi:[1,0,1]
	;; [unrolled: 2-line block ×9, first 2 shown]
	s_andn2_b64 exec, exec, s[2:3]
	s_cbranch_execnz .LBB35_15
; %bb.16:
	s_or_b64 exec, exec, s[2:3]
.LBB35_17:
	s_or_b64 exec, exec, s[4:5]
.LBB35_18:
	v_mov_b32_dpp v0, v4 row_shr:1 row_mask:0xf bank_mask:0xf
	v_mov_b32_dpp v1, v5 row_shr:1 row_mask:0xf bank_mask:0xf
	v_pk_add_f32 v[0:1], v[4:5], v[0:1]
	v_cmp_eq_u32_e32 vcc, 3, v3
	s_nop 0
	v_mov_b32_dpp v4, v0 row_shr:2 row_mask:0xf bank_mask:0xf
	v_mov_b32_dpp v5, v1 row_shr:2 row_mask:0xf bank_mask:0xf
	s_and_b64 exec, exec, vcc
	s_cbranch_execz .LBB35_22
; %bb.19:
	s_load_dwordx2 s[0:1], s[0:1], 0x38
	v_cmp_eq_f32_e64 s[2:3], s12, 0
	v_pk_add_f32 v[0:1], v[0:1], v[4:5]
	s_and_b64 vcc, exec, s[2:3]
	v_lshlrev_b32_e32 v2, 1, v2
	s_cbranch_vccz .LBB35_23
; %bb.20:
	v_ashrrev_i32_e32 v3, 31, v2
	s_waitcnt lgkmcnt(0)
	v_lshl_add_u64 v[4:5], v[2:3], 2, s[0:1]
	v_pk_mul_f32 v[6:7], s[14:15], v[0:1] op_sel_hi:[0,1]
	global_store_dwordx2 v[4:5], v[6:7], off
	s_cbranch_execnz .LBB35_22
.LBB35_21:
	v_ashrrev_i32_e32 v3, 31, v2
	s_waitcnt lgkmcnt(0)
	v_lshl_add_u64 v[2:3], v[2:3], 2, s[0:1]
	global_load_dwordx2 v[4:5], v[2:3], off
	v_pk_mul_f32 v[0:1], s[14:15], v[0:1] op_sel_hi:[0,1]
	s_waitcnt vmcnt(0)
	v_pk_fma_f32 v[0:1], s[12:13], v[4:5], v[0:1] op_sel_hi:[0,1,1]
	global_store_dwordx2 v[2:3], v[0:1], off
.LBB35_22:
	s_endpgm
.LBB35_23:
	s_branch .LBB35_21
	.section	.rodata,"a",@progbits
	.p2align	6, 0x0
	.amdhsa_kernel _ZN9rocsparseL19gebsrmvn_2xn_kernelILj128ELj9ELj4EfEEvi20rocsparse_direction_NS_24const_host_device_scalarIT2_EEPKiS6_PKS3_S8_S4_PS3_21rocsparse_index_base_b
		.amdhsa_group_segment_fixed_size 0
		.amdhsa_private_segment_fixed_size 0
		.amdhsa_kernarg_size 72
		.amdhsa_user_sgpr_count 2
		.amdhsa_user_sgpr_dispatch_ptr 0
		.amdhsa_user_sgpr_queue_ptr 0
		.amdhsa_user_sgpr_kernarg_segment_ptr 1
		.amdhsa_user_sgpr_dispatch_id 0
		.amdhsa_user_sgpr_kernarg_preload_length 0
		.amdhsa_user_sgpr_kernarg_preload_offset 0
		.amdhsa_user_sgpr_private_segment_size 0
		.amdhsa_uses_dynamic_stack 0
		.amdhsa_enable_private_segment 0
		.amdhsa_system_sgpr_workgroup_id_x 1
		.amdhsa_system_sgpr_workgroup_id_y 0
		.amdhsa_system_sgpr_workgroup_id_z 0
		.amdhsa_system_sgpr_workgroup_info 0
		.amdhsa_system_vgpr_workitem_id 0
		.amdhsa_next_free_vgpr 52
		.amdhsa_next_free_sgpr 20
		.amdhsa_accum_offset 52
		.amdhsa_reserve_vcc 1
		.amdhsa_float_round_mode_32 0
		.amdhsa_float_round_mode_16_64 0
		.amdhsa_float_denorm_mode_32 3
		.amdhsa_float_denorm_mode_16_64 3
		.amdhsa_dx10_clamp 1
		.amdhsa_ieee_mode 1
		.amdhsa_fp16_overflow 0
		.amdhsa_tg_split 0
		.amdhsa_exception_fp_ieee_invalid_op 0
		.amdhsa_exception_fp_denorm_src 0
		.amdhsa_exception_fp_ieee_div_zero 0
		.amdhsa_exception_fp_ieee_overflow 0
		.amdhsa_exception_fp_ieee_underflow 0
		.amdhsa_exception_fp_ieee_inexact 0
		.amdhsa_exception_int_div_zero 0
	.end_amdhsa_kernel
	.section	.text._ZN9rocsparseL19gebsrmvn_2xn_kernelILj128ELj9ELj4EfEEvi20rocsparse_direction_NS_24const_host_device_scalarIT2_EEPKiS6_PKS3_S8_S4_PS3_21rocsparse_index_base_b,"axG",@progbits,_ZN9rocsparseL19gebsrmvn_2xn_kernelILj128ELj9ELj4EfEEvi20rocsparse_direction_NS_24const_host_device_scalarIT2_EEPKiS6_PKS3_S8_S4_PS3_21rocsparse_index_base_b,comdat
.Lfunc_end35:
	.size	_ZN9rocsparseL19gebsrmvn_2xn_kernelILj128ELj9ELj4EfEEvi20rocsparse_direction_NS_24const_host_device_scalarIT2_EEPKiS6_PKS3_S8_S4_PS3_21rocsparse_index_base_b, .Lfunc_end35-_ZN9rocsparseL19gebsrmvn_2xn_kernelILj128ELj9ELj4EfEEvi20rocsparse_direction_NS_24const_host_device_scalarIT2_EEPKiS6_PKS3_S8_S4_PS3_21rocsparse_index_base_b
                                        ; -- End function
	.section	.AMDGPU.csdata,"",@progbits
; Kernel info:
; codeLenInByte = 1776
; NumSgprs: 26
; NumVgprs: 52
; NumAgprs: 0
; TotalNumVgprs: 52
; ScratchSize: 0
; MemoryBound: 0
; FloatMode: 240
; IeeeMode: 1
; LDSByteSize: 0 bytes/workgroup (compile time only)
; SGPRBlocks: 3
; VGPRBlocks: 6
; NumSGPRsForWavesPerEU: 26
; NumVGPRsForWavesPerEU: 52
; AccumOffset: 52
; Occupancy: 8
; WaveLimiterHint : 1
; COMPUTE_PGM_RSRC2:SCRATCH_EN: 0
; COMPUTE_PGM_RSRC2:USER_SGPR: 2
; COMPUTE_PGM_RSRC2:TRAP_HANDLER: 0
; COMPUTE_PGM_RSRC2:TGID_X_EN: 1
; COMPUTE_PGM_RSRC2:TGID_Y_EN: 0
; COMPUTE_PGM_RSRC2:TGID_Z_EN: 0
; COMPUTE_PGM_RSRC2:TIDIG_COMP_CNT: 0
; COMPUTE_PGM_RSRC3_GFX90A:ACCUM_OFFSET: 12
; COMPUTE_PGM_RSRC3_GFX90A:TG_SPLIT: 0
	.section	.text._ZN9rocsparseL19gebsrmvn_2xn_kernelILj128ELj9ELj8EfEEvi20rocsparse_direction_NS_24const_host_device_scalarIT2_EEPKiS6_PKS3_S8_S4_PS3_21rocsparse_index_base_b,"axG",@progbits,_ZN9rocsparseL19gebsrmvn_2xn_kernelILj128ELj9ELj8EfEEvi20rocsparse_direction_NS_24const_host_device_scalarIT2_EEPKiS6_PKS3_S8_S4_PS3_21rocsparse_index_base_b,comdat
	.globl	_ZN9rocsparseL19gebsrmvn_2xn_kernelILj128ELj9ELj8EfEEvi20rocsparse_direction_NS_24const_host_device_scalarIT2_EEPKiS6_PKS3_S8_S4_PS3_21rocsparse_index_base_b ; -- Begin function _ZN9rocsparseL19gebsrmvn_2xn_kernelILj128ELj9ELj8EfEEvi20rocsparse_direction_NS_24const_host_device_scalarIT2_EEPKiS6_PKS3_S8_S4_PS3_21rocsparse_index_base_b
	.p2align	8
	.type	_ZN9rocsparseL19gebsrmvn_2xn_kernelILj128ELj9ELj8EfEEvi20rocsparse_direction_NS_24const_host_device_scalarIT2_EEPKiS6_PKS3_S8_S4_PS3_21rocsparse_index_base_b,@function
_ZN9rocsparseL19gebsrmvn_2xn_kernelILj128ELj9ELj8EfEEvi20rocsparse_direction_NS_24const_host_device_scalarIT2_EEPKiS6_PKS3_S8_S4_PS3_21rocsparse_index_base_b: ; @_ZN9rocsparseL19gebsrmvn_2xn_kernelILj128ELj9ELj8EfEEvi20rocsparse_direction_NS_24const_host_device_scalarIT2_EEPKiS6_PKS3_S8_S4_PS3_21rocsparse_index_base_b
; %bb.0:
	s_load_dwordx2 s[16:17], s[0:1], 0x40
	s_load_dwordx2 s[14:15], s[0:1], 0x8
	;; [unrolled: 1-line block ×3, first 2 shown]
	s_waitcnt lgkmcnt(0)
	s_bitcmp1_b32 s17, 0
	s_cselect_b64 s[6:7], -1, 0
	s_xor_b64 s[4:5], s[6:7], -1
	s_and_b64 vcc, exec, s[6:7]
	s_cbranch_vccnz .LBB36_2
; %bb.1:
	s_load_dword s14, s[14:15], 0x0
.LBB36_2:
	s_andn2_b64 vcc, exec, s[4:5]
	s_cbranch_vccnz .LBB36_4
; %bb.3:
	s_load_dword s12, s[12:13], 0x0
.LBB36_4:
	s_waitcnt lgkmcnt(0)
	v_cmp_eq_f32_e64 s[4:5], s14, 0
	v_cmp_eq_f32_e64 s[6:7], s12, 1.0
	s_and_b64 s[4:5], s[4:5], s[6:7]
	s_and_b64 vcc, exec, s[4:5]
	s_cbranch_vccnz .LBB36_22
; %bb.5:
	s_load_dwordx2 s[18:19], s[0:1], 0x0
	v_lshrrev_b32_e32 v1, 3, v0
	v_lshl_or_b32 v2, s2, 4, v1
	s_waitcnt lgkmcnt(0)
	v_cmp_gt_i32_e32 vcc, s18, v2
	s_and_saveexec_b64 s[2:3], vcc
	s_cbranch_execz .LBB36_22
; %bb.6:
	s_load_dwordx8 s[4:11], s[0:1], 0x10
	v_ashrrev_i32_e32 v3, 31, v2
	s_cmp_lg_u32 s19, 0
	s_waitcnt lgkmcnt(0)
	v_lshl_add_u64 v[4:5], v[2:3], 2, s[4:5]
	global_load_dwordx2 v[4:5], v[4:5], off
	v_and_b32_e32 v3, 7, v0
	s_waitcnt vmcnt(0)
	v_subrev_u32_e32 v0, s16, v4
	v_subrev_u32_e32 v12, s16, v5
	v_add_u32_e32 v0, v0, v3
	v_cmp_lt_i32_e64 s[2:3], v0, v12
	s_cbranch_scc0 .LBB36_12
; %bb.7:
	v_mov_b32_e32 v5, 0
	v_mov_b32_e32 v4, v5
	s_and_saveexec_b64 s[4:5], s[2:3]
	s_cbranch_execz .LBB36_11
; %bb.8:
	v_mad_u64_u32 v[6:7], s[18:19], v0, 18, 16
	v_mov_b32_e32 v9, 0
	s_mov_b64 s[18:19], 0
	v_mov_b32_e32 v10, v0
	v_mov_b32_e32 v4, v9
	;; [unrolled: 1-line block ×3, first 2 shown]
.LBB36_9:                               ; =>This Inner Loop Header: Depth=1
	v_ashrrev_i32_e32 v11, 31, v10
	v_lshl_add_u64 v[14:15], v[10:11], 2, s[6:7]
	global_load_dword v1, v[14:15], off
	v_add_u32_e32 v8, -16, v6
	v_mov_b32_e32 v7, v9
	v_lshl_add_u64 v[16:17], v[8:9], 2, s[8:9]
	v_add_u32_e32 v8, -14, v6
	v_lshl_add_u64 v[18:19], v[6:7], 2, s[8:9]
	v_lshl_add_u64 v[20:21], v[8:9], 2, s[8:9]
	global_load_dwordx2 v[16:17], v[16:17], off
	s_nop 0
	global_load_dwordx2 v[22:23], v[18:19], off
	global_load_dwordx2 v[24:25], v[20:21], off
	v_mov_b32_e32 v15, v9
	v_add_u32_e32 v10, 8, v10
	v_cmp_ge_i32_e32 vcc, v10, v12
	s_or_b64 s[18:19], vcc, s[18:19]
	s_waitcnt vmcnt(3)
	v_subrev_u32_e32 v1, s16, v1
	v_lshl_add_u32 v14, v1, 3, v1
	v_add_u32_e32 v8, 1, v14
	v_lshl_add_u64 v[20:21], v[8:9], 2, s[10:11]
	v_add_u32_e32 v8, -12, v6
	v_lshl_add_u64 v[26:27], v[8:9], 2, s[8:9]
	v_add_u32_e32 v8, 2, v14
	v_lshl_add_u64 v[28:29], v[8:9], 2, s[10:11]
	v_add_u32_e32 v8, -10, v6
	v_lshl_add_u64 v[30:31], v[8:9], 2, s[8:9]
	;; [unrolled: 4-line block ×3, first 2 shown]
	v_lshl_add_u64 v[34:35], v[8:9], 2, s[8:9]
	v_add_u32_e32 v8, 4, v14
	global_load_dword v18, v[18:19], off
	v_lshl_add_u64 v[36:37], v[8:9], 2, s[10:11]
	global_load_dword v20, v[20:21], off
	v_add_u32_e32 v8, -6, v6
	v_lshl_add_u64 v[38:39], v[8:9], 2, s[8:9]
	v_add_u32_e32 v8, 5, v14
	global_load_dwordx2 v[26:27], v[26:27], off
	v_lshl_add_u64 v[40:41], v[8:9], 2, s[10:11]
	global_load_dword v28, v[28:29], off
	v_add_u32_e32 v8, -4, v6
	global_load_dwordx2 v[30:31], v[30:31], off
	v_lshl_add_u64 v[42:43], v[8:9], 2, s[8:9]
	global_load_dword v32, v[32:33], off
	v_add_u32_e32 v8, 6, v14
	global_load_dwordx2 v[34:35], v[34:35], off
	v_lshl_add_u64 v[44:45], v[8:9], 2, s[10:11]
	global_load_dword v36, v[36:37], off
	v_add_u32_e32 v8, -2, v6
	global_load_dwordx2 v[38:39], v[38:39], off
	v_lshl_add_u64 v[46:47], v[8:9], 2, s[8:9]
	global_load_dword v40, v[40:41], off
	v_add_u32_e32 v8, 7, v14
	global_load_dwordx2 v[42:43], v[42:43], off
	v_lshl_add_u64 v[48:49], v[8:9], 2, s[10:11]
	global_load_dword v44, v[44:45], off
	v_add_u32_e32 v8, 8, v14
	global_load_dwordx2 v[46:47], v[46:47], off
	v_add_u32_e32 v6, 0x90, v6
	global_load_dword v14, v[48:49], off
	v_lshl_add_u64 v[48:49], v[8:9], 2, s[10:11]
	global_load_dword v8, v[48:49], off
	s_waitcnt vmcnt(14)
	v_pk_fma_f32 v[4:5], v[16:17], v[18:19], v[4:5] op_sel_hi:[1,0,1]
	s_waitcnt vmcnt(13)
	v_pk_fma_f32 v[4:5], v[24:25], v[20:21], v[4:5] op_sel_hi:[1,0,1]
	s_waitcnt vmcnt(11)
	v_pk_fma_f32 v[4:5], v[26:27], v[28:29], v[4:5] op_sel_hi:[1,0,1]
	s_waitcnt vmcnt(9)
	v_pk_fma_f32 v[4:5], v[30:31], v[32:33], v[4:5] op_sel_hi:[1,0,1]
	s_waitcnt vmcnt(7)
	v_pk_fma_f32 v[4:5], v[34:35], v[36:37], v[4:5] op_sel_hi:[1,0,1]
	s_waitcnt vmcnt(5)
	v_pk_fma_f32 v[4:5], v[38:39], v[40:41], v[4:5] op_sel_hi:[1,0,1]
	s_waitcnt vmcnt(3)
	v_pk_fma_f32 v[4:5], v[42:43], v[44:45], v[4:5] op_sel_hi:[1,0,1]
	s_waitcnt vmcnt(1)
	v_pk_fma_f32 v[4:5], v[46:47], v[14:15], v[4:5] op_sel_hi:[1,0,1]
	s_waitcnt vmcnt(0)
	v_pk_fma_f32 v[4:5], v[22:23], v[8:9], v[4:5] op_sel_hi:[1,0,1]
	s_andn2_b64 exec, exec, s[18:19]
	s_cbranch_execnz .LBB36_9
; %bb.10:
	s_or_b64 exec, exec, s[18:19]
.LBB36_11:
	s_or_b64 exec, exec, s[4:5]
	s_cbranch_execz .LBB36_13
	s_branch .LBB36_18
.LBB36_12:
                                        ; implicit-def: $vgpr5
.LBB36_13:
	v_mov_b32_e32 v5, 0
	v_mov_b32_e32 v4, v5
	s_and_saveexec_b64 s[4:5], s[2:3]
	s_cbranch_execz .LBB36_17
; %bb.14:
	v_mad_u64_u32 v[6:7], s[2:3], v0, 18, 17
	v_mov_b32_e32 v9, 0
	s_mov_b64 s[2:3], 0
	v_mov_b32_e32 v4, v9
	v_mov_b32_e32 v5, v9
.LBB36_15:                              ; =>This Inner Loop Header: Depth=1
	v_ashrrev_i32_e32 v1, 31, v0
	v_lshl_add_u64 v[10:11], v[0:1], 2, s[6:7]
	global_load_dword v1, v[10:11], off
	v_subrev_u32_e32 v8, 17, v6
	v_add_u32_e32 v10, -8, v6
	v_mov_b32_e32 v11, v9
	v_mov_b32_e32 v7, v9
	v_lshl_add_u64 v[16:17], v[8:9], 2, s[8:9]
	v_lshl_add_u64 v[10:11], v[10:11], 2, s[8:9]
	;; [unrolled: 1-line block ×3, first 2 shown]
	global_load_dwordx2 v[20:21], v[16:17], off
	global_load_dword v23, v[10:11], off
	global_load_dword v25, v[18:19], off
	v_mov_b32_e32 v15, v9
	v_add_u32_e32 v0, 8, v0
	v_cmp_ge_i32_e32 vcc, v0, v12
	s_or_b64 s[2:3], vcc, s[2:3]
	s_waitcnt vmcnt(3)
	v_subrev_u32_e32 v1, s16, v1
	v_lshl_add_u32 v14, v1, 3, v1
	v_add_u32_e32 v8, 1, v14
	v_lshl_add_u64 v[16:17], v[8:9], 2, s[10:11]
	v_add_u32_e32 v8, -7, v6
	v_lshl_add_u64 v[18:19], v[8:9], 2, s[8:9]
	v_add_u32_e32 v8, -15, v6
	v_lshl_add_u64 v[10:11], v[14:15], 2, s[10:11]
	v_lshl_add_u64 v[26:27], v[8:9], 2, s[8:9]
	v_add_u32_e32 v8, 2, v14
	global_load_dword v10, v[10:11], off
	s_waitcnt vmcnt(3)
	v_mov_b32_e32 v22, v20
	global_load_dword v16, v[16:17], off
	s_nop 0
	global_load_dword v15, v[18:19], off
	global_load_dword v28, v[26:27], off
	v_lshl_add_u64 v[18:19], v[8:9], 2, s[10:11]
	v_add_u32_e32 v8, -6, v6
	v_lshl_add_u64 v[26:27], v[8:9], 2, s[8:9]
	v_add_u32_e32 v8, -14, v6
	v_lshl_add_u64 v[30:31], v[8:9], 2, s[8:9]
	v_add_u32_e32 v8, 3, v14
	global_load_dword v18, v[18:19], off
	s_nop 0
	global_load_dword v29, v[26:27], off
	global_load_dword v32, v[30:31], off
	v_lshl_add_u64 v[26:27], v[8:9], 2, s[10:11]
	v_add_u32_e32 v8, -5, v6
	v_lshl_add_u64 v[30:31], v[8:9], 2, s[8:9]
	v_add_u32_e32 v8, -13, v6
	v_lshl_add_u64 v[34:35], v[8:9], 2, s[8:9]
	v_add_u32_e32 v8, 4, v14
	;; [unrolled: 10-line block ×6, first 2 shown]
	global_load_dword v42, v[42:43], off
	s_nop 0
	global_load_dword v49, v[46:47], off
	global_load_dword v24, v[50:51], off
	v_lshl_add_u64 v[46:47], v[8:9], 2, s[10:11]
	global_load_dword v8, v[46:47], off
	v_mov_b32_e32 v14, v21
	v_add_u32_e32 v6, 0x90, v6
	s_waitcnt vmcnt(22)
	v_pk_fma_f32 v[4:5], v[22:23], v[10:11], v[4:5] op_sel_hi:[1,0,1]
	s_waitcnt vmcnt(20)
	v_pk_fma_f32 v[4:5], v[14:15], v[16:17], v[4:5] op_sel_hi:[1,0,1]
	;; [unrolled: 2-line block ×9, first 2 shown]
	s_andn2_b64 exec, exec, s[2:3]
	s_cbranch_execnz .LBB36_15
; %bb.16:
	s_or_b64 exec, exec, s[2:3]
.LBB36_17:
	s_or_b64 exec, exec, s[4:5]
.LBB36_18:
	v_mov_b32_dpp v0, v4 row_shr:1 row_mask:0xf bank_mask:0xf
	v_mov_b32_dpp v1, v5 row_shr:1 row_mask:0xf bank_mask:0xf
	v_pk_add_f32 v[0:1], v[4:5], v[0:1]
	v_cmp_eq_u32_e32 vcc, 7, v3
	s_nop 0
	v_mov_b32_dpp v4, v0 row_shr:2 row_mask:0xf bank_mask:0xf
	v_mov_b32_dpp v5, v1 row_shr:2 row_mask:0xf bank_mask:0xf
	v_pk_add_f32 v[0:1], v[0:1], v[4:5]
	s_nop 1
	v_mov_b32_dpp v4, v0 row_shr:4 row_mask:0xf bank_mask:0xe
	v_mov_b32_dpp v5, v1 row_shr:4 row_mask:0xf bank_mask:0xe
	s_and_b64 exec, exec, vcc
	s_cbranch_execz .LBB36_22
; %bb.19:
	s_load_dwordx2 s[0:1], s[0:1], 0x38
	v_cmp_eq_f32_e64 s[2:3], s12, 0
	v_pk_add_f32 v[0:1], v[0:1], v[4:5]
	s_and_b64 vcc, exec, s[2:3]
	v_lshlrev_b32_e32 v2, 1, v2
	s_cbranch_vccz .LBB36_23
; %bb.20:
	v_ashrrev_i32_e32 v3, 31, v2
	s_waitcnt lgkmcnt(0)
	v_lshl_add_u64 v[4:5], v[2:3], 2, s[0:1]
	v_pk_mul_f32 v[6:7], s[14:15], v[0:1] op_sel_hi:[0,1]
	global_store_dwordx2 v[4:5], v[6:7], off
	s_cbranch_execnz .LBB36_22
.LBB36_21:
	v_ashrrev_i32_e32 v3, 31, v2
	s_waitcnt lgkmcnt(0)
	v_lshl_add_u64 v[2:3], v[2:3], 2, s[0:1]
	global_load_dwordx2 v[4:5], v[2:3], off
	v_pk_mul_f32 v[0:1], s[14:15], v[0:1] op_sel_hi:[0,1]
	s_waitcnt vmcnt(0)
	v_pk_fma_f32 v[0:1], s[12:13], v[4:5], v[0:1] op_sel_hi:[0,1,1]
	global_store_dwordx2 v[2:3], v[0:1], off
.LBB36_22:
	s_endpgm
.LBB36_23:
	s_branch .LBB36_21
	.section	.rodata,"a",@progbits
	.p2align	6, 0x0
	.amdhsa_kernel _ZN9rocsparseL19gebsrmvn_2xn_kernelILj128ELj9ELj8EfEEvi20rocsparse_direction_NS_24const_host_device_scalarIT2_EEPKiS6_PKS3_S8_S4_PS3_21rocsparse_index_base_b
		.amdhsa_group_segment_fixed_size 0
		.amdhsa_private_segment_fixed_size 0
		.amdhsa_kernarg_size 72
		.amdhsa_user_sgpr_count 2
		.amdhsa_user_sgpr_dispatch_ptr 0
		.amdhsa_user_sgpr_queue_ptr 0
		.amdhsa_user_sgpr_kernarg_segment_ptr 1
		.amdhsa_user_sgpr_dispatch_id 0
		.amdhsa_user_sgpr_kernarg_preload_length 0
		.amdhsa_user_sgpr_kernarg_preload_offset 0
		.amdhsa_user_sgpr_private_segment_size 0
		.amdhsa_uses_dynamic_stack 0
		.amdhsa_enable_private_segment 0
		.amdhsa_system_sgpr_workgroup_id_x 1
		.amdhsa_system_sgpr_workgroup_id_y 0
		.amdhsa_system_sgpr_workgroup_id_z 0
		.amdhsa_system_sgpr_workgroup_info 0
		.amdhsa_system_vgpr_workitem_id 0
		.amdhsa_next_free_vgpr 52
		.amdhsa_next_free_sgpr 20
		.amdhsa_accum_offset 52
		.amdhsa_reserve_vcc 1
		.amdhsa_float_round_mode_32 0
		.amdhsa_float_round_mode_16_64 0
		.amdhsa_float_denorm_mode_32 3
		.amdhsa_float_denorm_mode_16_64 3
		.amdhsa_dx10_clamp 1
		.amdhsa_ieee_mode 1
		.amdhsa_fp16_overflow 0
		.amdhsa_tg_split 0
		.amdhsa_exception_fp_ieee_invalid_op 0
		.amdhsa_exception_fp_denorm_src 0
		.amdhsa_exception_fp_ieee_div_zero 0
		.amdhsa_exception_fp_ieee_overflow 0
		.amdhsa_exception_fp_ieee_underflow 0
		.amdhsa_exception_fp_ieee_inexact 0
		.amdhsa_exception_int_div_zero 0
	.end_amdhsa_kernel
	.section	.text._ZN9rocsparseL19gebsrmvn_2xn_kernelILj128ELj9ELj8EfEEvi20rocsparse_direction_NS_24const_host_device_scalarIT2_EEPKiS6_PKS3_S8_S4_PS3_21rocsparse_index_base_b,"axG",@progbits,_ZN9rocsparseL19gebsrmvn_2xn_kernelILj128ELj9ELj8EfEEvi20rocsparse_direction_NS_24const_host_device_scalarIT2_EEPKiS6_PKS3_S8_S4_PS3_21rocsparse_index_base_b,comdat
.Lfunc_end36:
	.size	_ZN9rocsparseL19gebsrmvn_2xn_kernelILj128ELj9ELj8EfEEvi20rocsparse_direction_NS_24const_host_device_scalarIT2_EEPKiS6_PKS3_S8_S4_PS3_21rocsparse_index_base_b, .Lfunc_end36-_ZN9rocsparseL19gebsrmvn_2xn_kernelILj128ELj9ELj8EfEEvi20rocsparse_direction_NS_24const_host_device_scalarIT2_EEPKiS6_PKS3_S8_S4_PS3_21rocsparse_index_base_b
                                        ; -- End function
	.section	.AMDGPU.csdata,"",@progbits
; Kernel info:
; codeLenInByte = 1804
; NumSgprs: 26
; NumVgprs: 52
; NumAgprs: 0
; TotalNumVgprs: 52
; ScratchSize: 0
; MemoryBound: 0
; FloatMode: 240
; IeeeMode: 1
; LDSByteSize: 0 bytes/workgroup (compile time only)
; SGPRBlocks: 3
; VGPRBlocks: 6
; NumSGPRsForWavesPerEU: 26
; NumVGPRsForWavesPerEU: 52
; AccumOffset: 52
; Occupancy: 8
; WaveLimiterHint : 1
; COMPUTE_PGM_RSRC2:SCRATCH_EN: 0
; COMPUTE_PGM_RSRC2:USER_SGPR: 2
; COMPUTE_PGM_RSRC2:TRAP_HANDLER: 0
; COMPUTE_PGM_RSRC2:TGID_X_EN: 1
; COMPUTE_PGM_RSRC2:TGID_Y_EN: 0
; COMPUTE_PGM_RSRC2:TGID_Z_EN: 0
; COMPUTE_PGM_RSRC2:TIDIG_COMP_CNT: 0
; COMPUTE_PGM_RSRC3_GFX90A:ACCUM_OFFSET: 12
; COMPUTE_PGM_RSRC3_GFX90A:TG_SPLIT: 0
	.section	.text._ZN9rocsparseL19gebsrmvn_2xn_kernelILj128ELj9ELj16EfEEvi20rocsparse_direction_NS_24const_host_device_scalarIT2_EEPKiS6_PKS3_S8_S4_PS3_21rocsparse_index_base_b,"axG",@progbits,_ZN9rocsparseL19gebsrmvn_2xn_kernelILj128ELj9ELj16EfEEvi20rocsparse_direction_NS_24const_host_device_scalarIT2_EEPKiS6_PKS3_S8_S4_PS3_21rocsparse_index_base_b,comdat
	.globl	_ZN9rocsparseL19gebsrmvn_2xn_kernelILj128ELj9ELj16EfEEvi20rocsparse_direction_NS_24const_host_device_scalarIT2_EEPKiS6_PKS3_S8_S4_PS3_21rocsparse_index_base_b ; -- Begin function _ZN9rocsparseL19gebsrmvn_2xn_kernelILj128ELj9ELj16EfEEvi20rocsparse_direction_NS_24const_host_device_scalarIT2_EEPKiS6_PKS3_S8_S4_PS3_21rocsparse_index_base_b
	.p2align	8
	.type	_ZN9rocsparseL19gebsrmvn_2xn_kernelILj128ELj9ELj16EfEEvi20rocsparse_direction_NS_24const_host_device_scalarIT2_EEPKiS6_PKS3_S8_S4_PS3_21rocsparse_index_base_b,@function
_ZN9rocsparseL19gebsrmvn_2xn_kernelILj128ELj9ELj16EfEEvi20rocsparse_direction_NS_24const_host_device_scalarIT2_EEPKiS6_PKS3_S8_S4_PS3_21rocsparse_index_base_b: ; @_ZN9rocsparseL19gebsrmvn_2xn_kernelILj128ELj9ELj16EfEEvi20rocsparse_direction_NS_24const_host_device_scalarIT2_EEPKiS6_PKS3_S8_S4_PS3_21rocsparse_index_base_b
; %bb.0:
	s_load_dwordx2 s[16:17], s[0:1], 0x40
	s_load_dwordx2 s[14:15], s[0:1], 0x8
	;; [unrolled: 1-line block ×3, first 2 shown]
	s_waitcnt lgkmcnt(0)
	s_bitcmp1_b32 s17, 0
	s_cselect_b64 s[6:7], -1, 0
	s_xor_b64 s[4:5], s[6:7], -1
	s_and_b64 vcc, exec, s[6:7]
	s_cbranch_vccnz .LBB37_2
; %bb.1:
	s_load_dword s14, s[14:15], 0x0
.LBB37_2:
	s_andn2_b64 vcc, exec, s[4:5]
	s_cbranch_vccnz .LBB37_4
; %bb.3:
	s_load_dword s12, s[12:13], 0x0
.LBB37_4:
	s_waitcnt lgkmcnt(0)
	v_cmp_eq_f32_e64 s[4:5], s14, 0
	v_cmp_eq_f32_e64 s[6:7], s12, 1.0
	s_and_b64 s[4:5], s[4:5], s[6:7]
	s_and_b64 vcc, exec, s[4:5]
	s_cbranch_vccnz .LBB37_22
; %bb.5:
	s_load_dwordx2 s[18:19], s[0:1], 0x0
	v_lshrrev_b32_e32 v1, 4, v0
	v_lshl_or_b32 v2, s2, 3, v1
	s_waitcnt lgkmcnt(0)
	v_cmp_gt_i32_e32 vcc, s18, v2
	s_and_saveexec_b64 s[2:3], vcc
	s_cbranch_execz .LBB37_22
; %bb.6:
	s_load_dwordx8 s[4:11], s[0:1], 0x10
	v_ashrrev_i32_e32 v3, 31, v2
	s_cmp_lg_u32 s19, 0
	s_waitcnt lgkmcnt(0)
	v_lshl_add_u64 v[4:5], v[2:3], 2, s[4:5]
	global_load_dwordx2 v[4:5], v[4:5], off
	v_and_b32_e32 v3, 15, v0
	s_waitcnt vmcnt(0)
	v_subrev_u32_e32 v0, s16, v4
	v_subrev_u32_e32 v12, s16, v5
	v_add_u32_e32 v0, v0, v3
	v_cmp_lt_i32_e64 s[2:3], v0, v12
	s_cbranch_scc0 .LBB37_12
; %bb.7:
	v_mov_b32_e32 v5, 0
	v_mov_b32_e32 v4, v5
	s_and_saveexec_b64 s[4:5], s[2:3]
	s_cbranch_execz .LBB37_11
; %bb.8:
	v_mad_u64_u32 v[6:7], s[18:19], v0, 18, 16
	v_mov_b32_e32 v9, 0
	s_mov_b64 s[18:19], 0
	v_mov_b32_e32 v10, v0
	v_mov_b32_e32 v4, v9
	;; [unrolled: 1-line block ×3, first 2 shown]
.LBB37_9:                               ; =>This Inner Loop Header: Depth=1
	v_ashrrev_i32_e32 v11, 31, v10
	v_lshl_add_u64 v[14:15], v[10:11], 2, s[6:7]
	global_load_dword v1, v[14:15], off
	v_add_u32_e32 v8, -16, v6
	v_mov_b32_e32 v7, v9
	v_lshl_add_u64 v[16:17], v[8:9], 2, s[8:9]
	v_add_u32_e32 v8, -14, v6
	v_lshl_add_u64 v[18:19], v[6:7], 2, s[8:9]
	v_lshl_add_u64 v[20:21], v[8:9], 2, s[8:9]
	global_load_dwordx2 v[16:17], v[16:17], off
	s_nop 0
	global_load_dwordx2 v[22:23], v[18:19], off
	global_load_dwordx2 v[24:25], v[20:21], off
	v_mov_b32_e32 v15, v9
	v_add_u32_e32 v10, 16, v10
	v_cmp_ge_i32_e32 vcc, v10, v12
	s_or_b64 s[18:19], vcc, s[18:19]
	s_waitcnt vmcnt(3)
	v_subrev_u32_e32 v1, s16, v1
	v_lshl_add_u32 v14, v1, 3, v1
	v_add_u32_e32 v8, 1, v14
	v_lshl_add_u64 v[20:21], v[8:9], 2, s[10:11]
	v_add_u32_e32 v8, -12, v6
	v_lshl_add_u64 v[26:27], v[8:9], 2, s[8:9]
	v_add_u32_e32 v8, 2, v14
	v_lshl_add_u64 v[28:29], v[8:9], 2, s[10:11]
	v_add_u32_e32 v8, -10, v6
	v_lshl_add_u64 v[30:31], v[8:9], 2, s[8:9]
	;; [unrolled: 4-line block ×3, first 2 shown]
	v_lshl_add_u64 v[34:35], v[8:9], 2, s[8:9]
	v_add_u32_e32 v8, 4, v14
	global_load_dword v18, v[18:19], off
	v_lshl_add_u64 v[36:37], v[8:9], 2, s[10:11]
	global_load_dword v20, v[20:21], off
	v_add_u32_e32 v8, -6, v6
	v_lshl_add_u64 v[38:39], v[8:9], 2, s[8:9]
	v_add_u32_e32 v8, 5, v14
	global_load_dwordx2 v[26:27], v[26:27], off
	v_lshl_add_u64 v[40:41], v[8:9], 2, s[10:11]
	global_load_dword v28, v[28:29], off
	v_add_u32_e32 v8, -4, v6
	global_load_dwordx2 v[30:31], v[30:31], off
	v_lshl_add_u64 v[42:43], v[8:9], 2, s[8:9]
	global_load_dword v32, v[32:33], off
	v_add_u32_e32 v8, 6, v14
	global_load_dwordx2 v[34:35], v[34:35], off
	v_lshl_add_u64 v[44:45], v[8:9], 2, s[10:11]
	global_load_dword v36, v[36:37], off
	v_add_u32_e32 v8, -2, v6
	global_load_dwordx2 v[38:39], v[38:39], off
	v_lshl_add_u64 v[46:47], v[8:9], 2, s[8:9]
	global_load_dword v40, v[40:41], off
	v_add_u32_e32 v8, 7, v14
	global_load_dwordx2 v[42:43], v[42:43], off
	v_lshl_add_u64 v[48:49], v[8:9], 2, s[10:11]
	global_load_dword v44, v[44:45], off
	v_add_u32_e32 v8, 8, v14
	global_load_dwordx2 v[46:47], v[46:47], off
	v_add_u32_e32 v6, 0x120, v6
	global_load_dword v14, v[48:49], off
	v_lshl_add_u64 v[48:49], v[8:9], 2, s[10:11]
	global_load_dword v8, v[48:49], off
	s_waitcnt vmcnt(14)
	v_pk_fma_f32 v[4:5], v[16:17], v[18:19], v[4:5] op_sel_hi:[1,0,1]
	s_waitcnt vmcnt(13)
	v_pk_fma_f32 v[4:5], v[24:25], v[20:21], v[4:5] op_sel_hi:[1,0,1]
	;; [unrolled: 2-line block ×9, first 2 shown]
	s_andn2_b64 exec, exec, s[18:19]
	s_cbranch_execnz .LBB37_9
; %bb.10:
	s_or_b64 exec, exec, s[18:19]
.LBB37_11:
	s_or_b64 exec, exec, s[4:5]
	s_cbranch_execz .LBB37_13
	s_branch .LBB37_18
.LBB37_12:
                                        ; implicit-def: $vgpr5
.LBB37_13:
	v_mov_b32_e32 v5, 0
	v_mov_b32_e32 v4, v5
	s_and_saveexec_b64 s[4:5], s[2:3]
	s_cbranch_execz .LBB37_17
; %bb.14:
	v_mad_u64_u32 v[6:7], s[2:3], v0, 18, 17
	v_mov_b32_e32 v9, 0
	s_mov_b64 s[2:3], 0
	v_mov_b32_e32 v4, v9
	v_mov_b32_e32 v5, v9
.LBB37_15:                              ; =>This Inner Loop Header: Depth=1
	v_ashrrev_i32_e32 v1, 31, v0
	v_lshl_add_u64 v[10:11], v[0:1], 2, s[6:7]
	global_load_dword v1, v[10:11], off
	v_subrev_u32_e32 v8, 17, v6
	v_add_u32_e32 v10, -8, v6
	v_mov_b32_e32 v11, v9
	v_mov_b32_e32 v7, v9
	v_lshl_add_u64 v[16:17], v[8:9], 2, s[8:9]
	v_lshl_add_u64 v[10:11], v[10:11], 2, s[8:9]
	;; [unrolled: 1-line block ×3, first 2 shown]
	global_load_dwordx2 v[20:21], v[16:17], off
	global_load_dword v23, v[10:11], off
	global_load_dword v25, v[18:19], off
	v_mov_b32_e32 v15, v9
	v_add_u32_e32 v0, 16, v0
	v_cmp_ge_i32_e32 vcc, v0, v12
	s_or_b64 s[2:3], vcc, s[2:3]
	s_waitcnt vmcnt(3)
	v_subrev_u32_e32 v1, s16, v1
	v_lshl_add_u32 v14, v1, 3, v1
	v_add_u32_e32 v8, 1, v14
	v_lshl_add_u64 v[16:17], v[8:9], 2, s[10:11]
	v_add_u32_e32 v8, -7, v6
	v_lshl_add_u64 v[18:19], v[8:9], 2, s[8:9]
	v_add_u32_e32 v8, -15, v6
	v_lshl_add_u64 v[10:11], v[14:15], 2, s[10:11]
	v_lshl_add_u64 v[26:27], v[8:9], 2, s[8:9]
	v_add_u32_e32 v8, 2, v14
	global_load_dword v10, v[10:11], off
	s_waitcnt vmcnt(3)
	v_mov_b32_e32 v22, v20
	global_load_dword v16, v[16:17], off
	s_nop 0
	global_load_dword v15, v[18:19], off
	global_load_dword v28, v[26:27], off
	v_lshl_add_u64 v[18:19], v[8:9], 2, s[10:11]
	v_add_u32_e32 v8, -6, v6
	v_lshl_add_u64 v[26:27], v[8:9], 2, s[8:9]
	v_add_u32_e32 v8, -14, v6
	v_lshl_add_u64 v[30:31], v[8:9], 2, s[8:9]
	v_add_u32_e32 v8, 3, v14
	global_load_dword v18, v[18:19], off
	s_nop 0
	global_load_dword v29, v[26:27], off
	global_load_dword v32, v[30:31], off
	v_lshl_add_u64 v[26:27], v[8:9], 2, s[10:11]
	v_add_u32_e32 v8, -5, v6
	v_lshl_add_u64 v[30:31], v[8:9], 2, s[8:9]
	v_add_u32_e32 v8, -13, v6
	v_lshl_add_u64 v[34:35], v[8:9], 2, s[8:9]
	v_add_u32_e32 v8, 4, v14
	;; [unrolled: 10-line block ×6, first 2 shown]
	global_load_dword v42, v[42:43], off
	s_nop 0
	global_load_dword v49, v[46:47], off
	global_load_dword v24, v[50:51], off
	v_lshl_add_u64 v[46:47], v[8:9], 2, s[10:11]
	global_load_dword v8, v[46:47], off
	v_mov_b32_e32 v14, v21
	v_add_u32_e32 v6, 0x120, v6
	s_waitcnt vmcnt(22)
	v_pk_fma_f32 v[4:5], v[22:23], v[10:11], v[4:5] op_sel_hi:[1,0,1]
	s_waitcnt vmcnt(20)
	v_pk_fma_f32 v[4:5], v[14:15], v[16:17], v[4:5] op_sel_hi:[1,0,1]
	;; [unrolled: 2-line block ×9, first 2 shown]
	s_andn2_b64 exec, exec, s[2:3]
	s_cbranch_execnz .LBB37_15
; %bb.16:
	s_or_b64 exec, exec, s[2:3]
.LBB37_17:
	s_or_b64 exec, exec, s[4:5]
.LBB37_18:
	v_mov_b32_dpp v0, v4 row_shr:1 row_mask:0xf bank_mask:0xf
	v_mov_b32_dpp v1, v5 row_shr:1 row_mask:0xf bank_mask:0xf
	v_pk_add_f32 v[0:1], v[4:5], v[0:1]
	v_cmp_eq_u32_e32 vcc, 15, v3
	s_nop 0
	v_mov_b32_dpp v4, v0 row_shr:2 row_mask:0xf bank_mask:0xf
	v_mov_b32_dpp v5, v1 row_shr:2 row_mask:0xf bank_mask:0xf
	v_pk_add_f32 v[0:1], v[0:1], v[4:5]
	s_nop 1
	v_mov_b32_dpp v4, v0 row_shr:4 row_mask:0xf bank_mask:0xe
	v_mov_b32_dpp v5, v1 row_shr:4 row_mask:0xf bank_mask:0xe
	v_pk_add_f32 v[0:1], v[0:1], v[4:5]
	s_nop 1
	v_mov_b32_dpp v4, v0 row_shr:8 row_mask:0xf bank_mask:0xc
	v_mov_b32_dpp v5, v1 row_shr:8 row_mask:0xf bank_mask:0xc
	s_and_b64 exec, exec, vcc
	s_cbranch_execz .LBB37_22
; %bb.19:
	s_load_dwordx2 s[0:1], s[0:1], 0x38
	v_cmp_eq_f32_e64 s[2:3], s12, 0
	v_pk_add_f32 v[0:1], v[0:1], v[4:5]
	s_and_b64 vcc, exec, s[2:3]
	v_lshlrev_b32_e32 v2, 1, v2
	s_cbranch_vccz .LBB37_23
; %bb.20:
	v_ashrrev_i32_e32 v3, 31, v2
	s_waitcnt lgkmcnt(0)
	v_lshl_add_u64 v[4:5], v[2:3], 2, s[0:1]
	v_pk_mul_f32 v[6:7], s[14:15], v[0:1] op_sel_hi:[0,1]
	global_store_dwordx2 v[4:5], v[6:7], off
	s_cbranch_execnz .LBB37_22
.LBB37_21:
	v_ashrrev_i32_e32 v3, 31, v2
	s_waitcnt lgkmcnt(0)
	v_lshl_add_u64 v[2:3], v[2:3], 2, s[0:1]
	global_load_dwordx2 v[4:5], v[2:3], off
	v_pk_mul_f32 v[0:1], s[14:15], v[0:1] op_sel_hi:[0,1]
	s_waitcnt vmcnt(0)
	v_pk_fma_f32 v[0:1], s[12:13], v[4:5], v[0:1] op_sel_hi:[0,1,1]
	global_store_dwordx2 v[2:3], v[0:1], off
.LBB37_22:
	s_endpgm
.LBB37_23:
	s_branch .LBB37_21
	.section	.rodata,"a",@progbits
	.p2align	6, 0x0
	.amdhsa_kernel _ZN9rocsparseL19gebsrmvn_2xn_kernelILj128ELj9ELj16EfEEvi20rocsparse_direction_NS_24const_host_device_scalarIT2_EEPKiS6_PKS3_S8_S4_PS3_21rocsparse_index_base_b
		.amdhsa_group_segment_fixed_size 0
		.amdhsa_private_segment_fixed_size 0
		.amdhsa_kernarg_size 72
		.amdhsa_user_sgpr_count 2
		.amdhsa_user_sgpr_dispatch_ptr 0
		.amdhsa_user_sgpr_queue_ptr 0
		.amdhsa_user_sgpr_kernarg_segment_ptr 1
		.amdhsa_user_sgpr_dispatch_id 0
		.amdhsa_user_sgpr_kernarg_preload_length 0
		.amdhsa_user_sgpr_kernarg_preload_offset 0
		.amdhsa_user_sgpr_private_segment_size 0
		.amdhsa_uses_dynamic_stack 0
		.amdhsa_enable_private_segment 0
		.amdhsa_system_sgpr_workgroup_id_x 1
		.amdhsa_system_sgpr_workgroup_id_y 0
		.amdhsa_system_sgpr_workgroup_id_z 0
		.amdhsa_system_sgpr_workgroup_info 0
		.amdhsa_system_vgpr_workitem_id 0
		.amdhsa_next_free_vgpr 52
		.amdhsa_next_free_sgpr 20
		.amdhsa_accum_offset 52
		.amdhsa_reserve_vcc 1
		.amdhsa_float_round_mode_32 0
		.amdhsa_float_round_mode_16_64 0
		.amdhsa_float_denorm_mode_32 3
		.amdhsa_float_denorm_mode_16_64 3
		.amdhsa_dx10_clamp 1
		.amdhsa_ieee_mode 1
		.amdhsa_fp16_overflow 0
		.amdhsa_tg_split 0
		.amdhsa_exception_fp_ieee_invalid_op 0
		.amdhsa_exception_fp_denorm_src 0
		.amdhsa_exception_fp_ieee_div_zero 0
		.amdhsa_exception_fp_ieee_overflow 0
		.amdhsa_exception_fp_ieee_underflow 0
		.amdhsa_exception_fp_ieee_inexact 0
		.amdhsa_exception_int_div_zero 0
	.end_amdhsa_kernel
	.section	.text._ZN9rocsparseL19gebsrmvn_2xn_kernelILj128ELj9ELj16EfEEvi20rocsparse_direction_NS_24const_host_device_scalarIT2_EEPKiS6_PKS3_S8_S4_PS3_21rocsparse_index_base_b,"axG",@progbits,_ZN9rocsparseL19gebsrmvn_2xn_kernelILj128ELj9ELj16EfEEvi20rocsparse_direction_NS_24const_host_device_scalarIT2_EEPKiS6_PKS3_S8_S4_PS3_21rocsparse_index_base_b,comdat
.Lfunc_end37:
	.size	_ZN9rocsparseL19gebsrmvn_2xn_kernelILj128ELj9ELj16EfEEvi20rocsparse_direction_NS_24const_host_device_scalarIT2_EEPKiS6_PKS3_S8_S4_PS3_21rocsparse_index_base_b, .Lfunc_end37-_ZN9rocsparseL19gebsrmvn_2xn_kernelILj128ELj9ELj16EfEEvi20rocsparse_direction_NS_24const_host_device_scalarIT2_EEPKiS6_PKS3_S8_S4_PS3_21rocsparse_index_base_b
                                        ; -- End function
	.section	.AMDGPU.csdata,"",@progbits
; Kernel info:
; codeLenInByte = 1832
; NumSgprs: 26
; NumVgprs: 52
; NumAgprs: 0
; TotalNumVgprs: 52
; ScratchSize: 0
; MemoryBound: 0
; FloatMode: 240
; IeeeMode: 1
; LDSByteSize: 0 bytes/workgroup (compile time only)
; SGPRBlocks: 3
; VGPRBlocks: 6
; NumSGPRsForWavesPerEU: 26
; NumVGPRsForWavesPerEU: 52
; AccumOffset: 52
; Occupancy: 8
; WaveLimiterHint : 1
; COMPUTE_PGM_RSRC2:SCRATCH_EN: 0
; COMPUTE_PGM_RSRC2:USER_SGPR: 2
; COMPUTE_PGM_RSRC2:TRAP_HANDLER: 0
; COMPUTE_PGM_RSRC2:TGID_X_EN: 1
; COMPUTE_PGM_RSRC2:TGID_Y_EN: 0
; COMPUTE_PGM_RSRC2:TGID_Z_EN: 0
; COMPUTE_PGM_RSRC2:TIDIG_COMP_CNT: 0
; COMPUTE_PGM_RSRC3_GFX90A:ACCUM_OFFSET: 12
; COMPUTE_PGM_RSRC3_GFX90A:TG_SPLIT: 0
	.section	.text._ZN9rocsparseL19gebsrmvn_2xn_kernelILj128ELj9ELj32EfEEvi20rocsparse_direction_NS_24const_host_device_scalarIT2_EEPKiS6_PKS3_S8_S4_PS3_21rocsparse_index_base_b,"axG",@progbits,_ZN9rocsparseL19gebsrmvn_2xn_kernelILj128ELj9ELj32EfEEvi20rocsparse_direction_NS_24const_host_device_scalarIT2_EEPKiS6_PKS3_S8_S4_PS3_21rocsparse_index_base_b,comdat
	.globl	_ZN9rocsparseL19gebsrmvn_2xn_kernelILj128ELj9ELj32EfEEvi20rocsparse_direction_NS_24const_host_device_scalarIT2_EEPKiS6_PKS3_S8_S4_PS3_21rocsparse_index_base_b ; -- Begin function _ZN9rocsparseL19gebsrmvn_2xn_kernelILj128ELj9ELj32EfEEvi20rocsparse_direction_NS_24const_host_device_scalarIT2_EEPKiS6_PKS3_S8_S4_PS3_21rocsparse_index_base_b
	.p2align	8
	.type	_ZN9rocsparseL19gebsrmvn_2xn_kernelILj128ELj9ELj32EfEEvi20rocsparse_direction_NS_24const_host_device_scalarIT2_EEPKiS6_PKS3_S8_S4_PS3_21rocsparse_index_base_b,@function
_ZN9rocsparseL19gebsrmvn_2xn_kernelILj128ELj9ELj32EfEEvi20rocsparse_direction_NS_24const_host_device_scalarIT2_EEPKiS6_PKS3_S8_S4_PS3_21rocsparse_index_base_b: ; @_ZN9rocsparseL19gebsrmvn_2xn_kernelILj128ELj9ELj32EfEEvi20rocsparse_direction_NS_24const_host_device_scalarIT2_EEPKiS6_PKS3_S8_S4_PS3_21rocsparse_index_base_b
; %bb.0:
	s_load_dwordx2 s[16:17], s[0:1], 0x40
	s_load_dwordx2 s[14:15], s[0:1], 0x8
	;; [unrolled: 1-line block ×3, first 2 shown]
	s_waitcnt lgkmcnt(0)
	s_bitcmp1_b32 s17, 0
	s_cselect_b64 s[6:7], -1, 0
	s_xor_b64 s[4:5], s[6:7], -1
	s_and_b64 vcc, exec, s[6:7]
	s_cbranch_vccnz .LBB38_2
; %bb.1:
	s_load_dword s14, s[14:15], 0x0
.LBB38_2:
	s_andn2_b64 vcc, exec, s[4:5]
	s_cbranch_vccnz .LBB38_4
; %bb.3:
	s_load_dword s12, s[12:13], 0x0
.LBB38_4:
	s_waitcnt lgkmcnt(0)
	v_cmp_eq_f32_e64 s[4:5], s14, 0
	v_cmp_eq_f32_e64 s[6:7], s12, 1.0
	s_and_b64 s[4:5], s[4:5], s[6:7]
	s_and_b64 vcc, exec, s[4:5]
	s_cbranch_vccnz .LBB38_22
; %bb.5:
	s_load_dwordx2 s[18:19], s[0:1], 0x0
	v_lshrrev_b32_e32 v1, 5, v0
	v_lshl_or_b32 v2, s2, 2, v1
	s_waitcnt lgkmcnt(0)
	v_cmp_gt_i32_e32 vcc, s18, v2
	s_and_saveexec_b64 s[2:3], vcc
	s_cbranch_execz .LBB38_22
; %bb.6:
	s_load_dwordx8 s[4:11], s[0:1], 0x10
	v_ashrrev_i32_e32 v3, 31, v2
	s_cmp_lg_u32 s19, 0
	s_waitcnt lgkmcnt(0)
	v_lshl_add_u64 v[4:5], v[2:3], 2, s[4:5]
	global_load_dwordx2 v[4:5], v[4:5], off
	v_and_b32_e32 v3, 31, v0
	s_waitcnt vmcnt(0)
	v_subrev_u32_e32 v0, s16, v4
	v_subrev_u32_e32 v12, s16, v5
	v_add_u32_e32 v0, v0, v3
	v_cmp_lt_i32_e64 s[2:3], v0, v12
	s_cbranch_scc0 .LBB38_12
; %bb.7:
	v_mov_b32_e32 v5, 0
	v_mov_b32_e32 v4, v5
	s_and_saveexec_b64 s[4:5], s[2:3]
	s_cbranch_execz .LBB38_11
; %bb.8:
	v_mad_u64_u32 v[6:7], s[18:19], v0, 18, 16
	v_mov_b32_e32 v9, 0
	s_mov_b64 s[18:19], 0
	v_mov_b32_e32 v10, v0
	v_mov_b32_e32 v4, v9
	;; [unrolled: 1-line block ×3, first 2 shown]
.LBB38_9:                               ; =>This Inner Loop Header: Depth=1
	v_ashrrev_i32_e32 v11, 31, v10
	v_lshl_add_u64 v[14:15], v[10:11], 2, s[6:7]
	global_load_dword v1, v[14:15], off
	v_add_u32_e32 v8, -16, v6
	v_mov_b32_e32 v7, v9
	v_lshl_add_u64 v[16:17], v[8:9], 2, s[8:9]
	v_add_u32_e32 v8, -14, v6
	v_lshl_add_u64 v[18:19], v[6:7], 2, s[8:9]
	v_lshl_add_u64 v[20:21], v[8:9], 2, s[8:9]
	global_load_dwordx2 v[16:17], v[16:17], off
	s_nop 0
	global_load_dwordx2 v[22:23], v[18:19], off
	global_load_dwordx2 v[24:25], v[20:21], off
	v_mov_b32_e32 v15, v9
	v_add_u32_e32 v10, 32, v10
	v_cmp_ge_i32_e32 vcc, v10, v12
	s_or_b64 s[18:19], vcc, s[18:19]
	s_waitcnt vmcnt(3)
	v_subrev_u32_e32 v1, s16, v1
	v_lshl_add_u32 v14, v1, 3, v1
	v_add_u32_e32 v8, 1, v14
	v_lshl_add_u64 v[20:21], v[8:9], 2, s[10:11]
	v_add_u32_e32 v8, -12, v6
	v_lshl_add_u64 v[26:27], v[8:9], 2, s[8:9]
	v_add_u32_e32 v8, 2, v14
	v_lshl_add_u64 v[28:29], v[8:9], 2, s[10:11]
	v_add_u32_e32 v8, -10, v6
	v_lshl_add_u64 v[30:31], v[8:9], 2, s[8:9]
	;; [unrolled: 4-line block ×3, first 2 shown]
	v_lshl_add_u64 v[34:35], v[8:9], 2, s[8:9]
	v_add_u32_e32 v8, 4, v14
	global_load_dword v18, v[18:19], off
	v_lshl_add_u64 v[36:37], v[8:9], 2, s[10:11]
	global_load_dword v20, v[20:21], off
	v_add_u32_e32 v8, -6, v6
	v_lshl_add_u64 v[38:39], v[8:9], 2, s[8:9]
	v_add_u32_e32 v8, 5, v14
	global_load_dwordx2 v[26:27], v[26:27], off
	v_lshl_add_u64 v[40:41], v[8:9], 2, s[10:11]
	global_load_dword v28, v[28:29], off
	v_add_u32_e32 v8, -4, v6
	global_load_dwordx2 v[30:31], v[30:31], off
	v_lshl_add_u64 v[42:43], v[8:9], 2, s[8:9]
	global_load_dword v32, v[32:33], off
	v_add_u32_e32 v8, 6, v14
	global_load_dwordx2 v[34:35], v[34:35], off
	v_lshl_add_u64 v[44:45], v[8:9], 2, s[10:11]
	global_load_dword v36, v[36:37], off
	v_add_u32_e32 v8, -2, v6
	global_load_dwordx2 v[38:39], v[38:39], off
	v_lshl_add_u64 v[46:47], v[8:9], 2, s[8:9]
	global_load_dword v40, v[40:41], off
	v_add_u32_e32 v8, 7, v14
	global_load_dwordx2 v[42:43], v[42:43], off
	v_lshl_add_u64 v[48:49], v[8:9], 2, s[10:11]
	global_load_dword v44, v[44:45], off
	v_add_u32_e32 v8, 8, v14
	global_load_dwordx2 v[46:47], v[46:47], off
	v_add_u32_e32 v6, 0x240, v6
	global_load_dword v14, v[48:49], off
	v_lshl_add_u64 v[48:49], v[8:9], 2, s[10:11]
	global_load_dword v8, v[48:49], off
	s_waitcnt vmcnt(14)
	v_pk_fma_f32 v[4:5], v[16:17], v[18:19], v[4:5] op_sel_hi:[1,0,1]
	s_waitcnt vmcnt(13)
	v_pk_fma_f32 v[4:5], v[24:25], v[20:21], v[4:5] op_sel_hi:[1,0,1]
	;; [unrolled: 2-line block ×9, first 2 shown]
	s_andn2_b64 exec, exec, s[18:19]
	s_cbranch_execnz .LBB38_9
; %bb.10:
	s_or_b64 exec, exec, s[18:19]
.LBB38_11:
	s_or_b64 exec, exec, s[4:5]
	s_cbranch_execz .LBB38_13
	s_branch .LBB38_18
.LBB38_12:
                                        ; implicit-def: $vgpr5
.LBB38_13:
	v_mov_b32_e32 v5, 0
	v_mov_b32_e32 v4, v5
	s_and_saveexec_b64 s[4:5], s[2:3]
	s_cbranch_execz .LBB38_17
; %bb.14:
	v_mad_u64_u32 v[6:7], s[2:3], v0, 18, 17
	v_mov_b32_e32 v9, 0
	s_mov_b64 s[2:3], 0
	v_mov_b32_e32 v4, v9
	v_mov_b32_e32 v5, v9
.LBB38_15:                              ; =>This Inner Loop Header: Depth=1
	v_ashrrev_i32_e32 v1, 31, v0
	v_lshl_add_u64 v[10:11], v[0:1], 2, s[6:7]
	global_load_dword v1, v[10:11], off
	v_subrev_u32_e32 v8, 17, v6
	v_add_u32_e32 v10, -8, v6
	v_mov_b32_e32 v11, v9
	v_mov_b32_e32 v7, v9
	v_lshl_add_u64 v[16:17], v[8:9], 2, s[8:9]
	v_lshl_add_u64 v[10:11], v[10:11], 2, s[8:9]
	;; [unrolled: 1-line block ×3, first 2 shown]
	global_load_dwordx2 v[20:21], v[16:17], off
	global_load_dword v23, v[10:11], off
	global_load_dword v25, v[18:19], off
	v_mov_b32_e32 v15, v9
	v_add_u32_e32 v0, 32, v0
	v_cmp_ge_i32_e32 vcc, v0, v12
	s_or_b64 s[2:3], vcc, s[2:3]
	s_waitcnt vmcnt(3)
	v_subrev_u32_e32 v1, s16, v1
	v_lshl_add_u32 v14, v1, 3, v1
	v_add_u32_e32 v8, 1, v14
	v_lshl_add_u64 v[16:17], v[8:9], 2, s[10:11]
	v_add_u32_e32 v8, -7, v6
	v_lshl_add_u64 v[18:19], v[8:9], 2, s[8:9]
	v_add_u32_e32 v8, -15, v6
	v_lshl_add_u64 v[10:11], v[14:15], 2, s[10:11]
	v_lshl_add_u64 v[26:27], v[8:9], 2, s[8:9]
	v_add_u32_e32 v8, 2, v14
	global_load_dword v10, v[10:11], off
	s_waitcnt vmcnt(3)
	v_mov_b32_e32 v22, v20
	global_load_dword v16, v[16:17], off
	s_nop 0
	global_load_dword v15, v[18:19], off
	global_load_dword v28, v[26:27], off
	v_lshl_add_u64 v[18:19], v[8:9], 2, s[10:11]
	v_add_u32_e32 v8, -6, v6
	v_lshl_add_u64 v[26:27], v[8:9], 2, s[8:9]
	v_add_u32_e32 v8, -14, v6
	v_lshl_add_u64 v[30:31], v[8:9], 2, s[8:9]
	v_add_u32_e32 v8, 3, v14
	global_load_dword v18, v[18:19], off
	s_nop 0
	global_load_dword v29, v[26:27], off
	global_load_dword v32, v[30:31], off
	v_lshl_add_u64 v[26:27], v[8:9], 2, s[10:11]
	v_add_u32_e32 v8, -5, v6
	v_lshl_add_u64 v[30:31], v[8:9], 2, s[8:9]
	v_add_u32_e32 v8, -13, v6
	v_lshl_add_u64 v[34:35], v[8:9], 2, s[8:9]
	v_add_u32_e32 v8, 4, v14
	;; [unrolled: 10-line block ×6, first 2 shown]
	global_load_dword v42, v[42:43], off
	s_nop 0
	global_load_dword v49, v[46:47], off
	global_load_dword v24, v[50:51], off
	v_lshl_add_u64 v[46:47], v[8:9], 2, s[10:11]
	global_load_dword v8, v[46:47], off
	v_mov_b32_e32 v14, v21
	v_add_u32_e32 v6, 0x240, v6
	s_waitcnt vmcnt(22)
	v_pk_fma_f32 v[4:5], v[22:23], v[10:11], v[4:5] op_sel_hi:[1,0,1]
	s_waitcnt vmcnt(20)
	v_pk_fma_f32 v[4:5], v[14:15], v[16:17], v[4:5] op_sel_hi:[1,0,1]
	;; [unrolled: 2-line block ×9, first 2 shown]
	s_andn2_b64 exec, exec, s[2:3]
	s_cbranch_execnz .LBB38_15
; %bb.16:
	s_or_b64 exec, exec, s[2:3]
.LBB38_17:
	s_or_b64 exec, exec, s[4:5]
.LBB38_18:
	v_mov_b32_dpp v0, v4 row_shr:1 row_mask:0xf bank_mask:0xf
	v_mov_b32_dpp v1, v5 row_shr:1 row_mask:0xf bank_mask:0xf
	v_pk_add_f32 v[0:1], v[4:5], v[0:1]
	v_cmp_eq_u32_e32 vcc, 31, v3
	s_nop 0
	v_mov_b32_dpp v4, v0 row_shr:2 row_mask:0xf bank_mask:0xf
	v_mov_b32_dpp v5, v1 row_shr:2 row_mask:0xf bank_mask:0xf
	v_pk_add_f32 v[0:1], v[0:1], v[4:5]
	s_nop 1
	v_mov_b32_dpp v4, v0 row_shr:4 row_mask:0xf bank_mask:0xe
	v_mov_b32_dpp v5, v1 row_shr:4 row_mask:0xf bank_mask:0xe
	v_pk_add_f32 v[0:1], v[0:1], v[4:5]
	;; [unrolled: 4-line block ×3, first 2 shown]
	s_nop 1
	v_mov_b32_dpp v4, v0 row_bcast:15 row_mask:0xa bank_mask:0xf
	v_mov_b32_dpp v5, v1 row_bcast:15 row_mask:0xa bank_mask:0xf
	s_and_b64 exec, exec, vcc
	s_cbranch_execz .LBB38_22
; %bb.19:
	s_load_dwordx2 s[0:1], s[0:1], 0x38
	v_cmp_eq_f32_e64 s[2:3], s12, 0
	v_pk_add_f32 v[0:1], v[0:1], v[4:5]
	s_and_b64 vcc, exec, s[2:3]
	v_lshlrev_b32_e32 v2, 1, v2
	s_cbranch_vccz .LBB38_23
; %bb.20:
	v_ashrrev_i32_e32 v3, 31, v2
	s_waitcnt lgkmcnt(0)
	v_lshl_add_u64 v[4:5], v[2:3], 2, s[0:1]
	v_pk_mul_f32 v[6:7], s[14:15], v[0:1] op_sel_hi:[0,1]
	global_store_dwordx2 v[4:5], v[6:7], off
	s_cbranch_execnz .LBB38_22
.LBB38_21:
	v_ashrrev_i32_e32 v3, 31, v2
	s_waitcnt lgkmcnt(0)
	v_lshl_add_u64 v[2:3], v[2:3], 2, s[0:1]
	global_load_dwordx2 v[4:5], v[2:3], off
	v_pk_mul_f32 v[0:1], s[14:15], v[0:1] op_sel_hi:[0,1]
	s_waitcnt vmcnt(0)
	v_pk_fma_f32 v[0:1], s[12:13], v[4:5], v[0:1] op_sel_hi:[0,1,1]
	global_store_dwordx2 v[2:3], v[0:1], off
.LBB38_22:
	s_endpgm
.LBB38_23:
	s_branch .LBB38_21
	.section	.rodata,"a",@progbits
	.p2align	6, 0x0
	.amdhsa_kernel _ZN9rocsparseL19gebsrmvn_2xn_kernelILj128ELj9ELj32EfEEvi20rocsparse_direction_NS_24const_host_device_scalarIT2_EEPKiS6_PKS3_S8_S4_PS3_21rocsparse_index_base_b
		.amdhsa_group_segment_fixed_size 0
		.amdhsa_private_segment_fixed_size 0
		.amdhsa_kernarg_size 72
		.amdhsa_user_sgpr_count 2
		.amdhsa_user_sgpr_dispatch_ptr 0
		.amdhsa_user_sgpr_queue_ptr 0
		.amdhsa_user_sgpr_kernarg_segment_ptr 1
		.amdhsa_user_sgpr_dispatch_id 0
		.amdhsa_user_sgpr_kernarg_preload_length 0
		.amdhsa_user_sgpr_kernarg_preload_offset 0
		.amdhsa_user_sgpr_private_segment_size 0
		.amdhsa_uses_dynamic_stack 0
		.amdhsa_enable_private_segment 0
		.amdhsa_system_sgpr_workgroup_id_x 1
		.amdhsa_system_sgpr_workgroup_id_y 0
		.amdhsa_system_sgpr_workgroup_id_z 0
		.amdhsa_system_sgpr_workgroup_info 0
		.amdhsa_system_vgpr_workitem_id 0
		.amdhsa_next_free_vgpr 52
		.amdhsa_next_free_sgpr 20
		.amdhsa_accum_offset 52
		.amdhsa_reserve_vcc 1
		.amdhsa_float_round_mode_32 0
		.amdhsa_float_round_mode_16_64 0
		.amdhsa_float_denorm_mode_32 3
		.amdhsa_float_denorm_mode_16_64 3
		.amdhsa_dx10_clamp 1
		.amdhsa_ieee_mode 1
		.amdhsa_fp16_overflow 0
		.amdhsa_tg_split 0
		.amdhsa_exception_fp_ieee_invalid_op 0
		.amdhsa_exception_fp_denorm_src 0
		.amdhsa_exception_fp_ieee_div_zero 0
		.amdhsa_exception_fp_ieee_overflow 0
		.amdhsa_exception_fp_ieee_underflow 0
		.amdhsa_exception_fp_ieee_inexact 0
		.amdhsa_exception_int_div_zero 0
	.end_amdhsa_kernel
	.section	.text._ZN9rocsparseL19gebsrmvn_2xn_kernelILj128ELj9ELj32EfEEvi20rocsparse_direction_NS_24const_host_device_scalarIT2_EEPKiS6_PKS3_S8_S4_PS3_21rocsparse_index_base_b,"axG",@progbits,_ZN9rocsparseL19gebsrmvn_2xn_kernelILj128ELj9ELj32EfEEvi20rocsparse_direction_NS_24const_host_device_scalarIT2_EEPKiS6_PKS3_S8_S4_PS3_21rocsparse_index_base_b,comdat
.Lfunc_end38:
	.size	_ZN9rocsparseL19gebsrmvn_2xn_kernelILj128ELj9ELj32EfEEvi20rocsparse_direction_NS_24const_host_device_scalarIT2_EEPKiS6_PKS3_S8_S4_PS3_21rocsparse_index_base_b, .Lfunc_end38-_ZN9rocsparseL19gebsrmvn_2xn_kernelILj128ELj9ELj32EfEEvi20rocsparse_direction_NS_24const_host_device_scalarIT2_EEPKiS6_PKS3_S8_S4_PS3_21rocsparse_index_base_b
                                        ; -- End function
	.section	.AMDGPU.csdata,"",@progbits
; Kernel info:
; codeLenInByte = 1860
; NumSgprs: 26
; NumVgprs: 52
; NumAgprs: 0
; TotalNumVgprs: 52
; ScratchSize: 0
; MemoryBound: 0
; FloatMode: 240
; IeeeMode: 1
; LDSByteSize: 0 bytes/workgroup (compile time only)
; SGPRBlocks: 3
; VGPRBlocks: 6
; NumSGPRsForWavesPerEU: 26
; NumVGPRsForWavesPerEU: 52
; AccumOffset: 52
; Occupancy: 8
; WaveLimiterHint : 1
; COMPUTE_PGM_RSRC2:SCRATCH_EN: 0
; COMPUTE_PGM_RSRC2:USER_SGPR: 2
; COMPUTE_PGM_RSRC2:TRAP_HANDLER: 0
; COMPUTE_PGM_RSRC2:TGID_X_EN: 1
; COMPUTE_PGM_RSRC2:TGID_Y_EN: 0
; COMPUTE_PGM_RSRC2:TGID_Z_EN: 0
; COMPUTE_PGM_RSRC2:TIDIG_COMP_CNT: 0
; COMPUTE_PGM_RSRC3_GFX90A:ACCUM_OFFSET: 12
; COMPUTE_PGM_RSRC3_GFX90A:TG_SPLIT: 0
	.section	.text._ZN9rocsparseL19gebsrmvn_2xn_kernelILj128ELj9ELj64EfEEvi20rocsparse_direction_NS_24const_host_device_scalarIT2_EEPKiS6_PKS3_S8_S4_PS3_21rocsparse_index_base_b,"axG",@progbits,_ZN9rocsparseL19gebsrmvn_2xn_kernelILj128ELj9ELj64EfEEvi20rocsparse_direction_NS_24const_host_device_scalarIT2_EEPKiS6_PKS3_S8_S4_PS3_21rocsparse_index_base_b,comdat
	.globl	_ZN9rocsparseL19gebsrmvn_2xn_kernelILj128ELj9ELj64EfEEvi20rocsparse_direction_NS_24const_host_device_scalarIT2_EEPKiS6_PKS3_S8_S4_PS3_21rocsparse_index_base_b ; -- Begin function _ZN9rocsparseL19gebsrmvn_2xn_kernelILj128ELj9ELj64EfEEvi20rocsparse_direction_NS_24const_host_device_scalarIT2_EEPKiS6_PKS3_S8_S4_PS3_21rocsparse_index_base_b
	.p2align	8
	.type	_ZN9rocsparseL19gebsrmvn_2xn_kernelILj128ELj9ELj64EfEEvi20rocsparse_direction_NS_24const_host_device_scalarIT2_EEPKiS6_PKS3_S8_S4_PS3_21rocsparse_index_base_b,@function
_ZN9rocsparseL19gebsrmvn_2xn_kernelILj128ELj9ELj64EfEEvi20rocsparse_direction_NS_24const_host_device_scalarIT2_EEPKiS6_PKS3_S8_S4_PS3_21rocsparse_index_base_b: ; @_ZN9rocsparseL19gebsrmvn_2xn_kernelILj128ELj9ELj64EfEEvi20rocsparse_direction_NS_24const_host_device_scalarIT2_EEPKiS6_PKS3_S8_S4_PS3_21rocsparse_index_base_b
; %bb.0:
	s_load_dwordx2 s[16:17], s[0:1], 0x40
	s_load_dwordx2 s[14:15], s[0:1], 0x8
	;; [unrolled: 1-line block ×3, first 2 shown]
	s_waitcnt lgkmcnt(0)
	s_bitcmp1_b32 s17, 0
	s_cselect_b64 s[6:7], -1, 0
	s_xor_b64 s[4:5], s[6:7], -1
	s_and_b64 vcc, exec, s[6:7]
	s_cbranch_vccnz .LBB39_2
; %bb.1:
	s_load_dword s14, s[14:15], 0x0
.LBB39_2:
	s_andn2_b64 vcc, exec, s[4:5]
	s_cbranch_vccnz .LBB39_4
; %bb.3:
	s_load_dword s12, s[12:13], 0x0
.LBB39_4:
	s_waitcnt lgkmcnt(0)
	v_cmp_eq_f32_e64 s[4:5], s14, 0
	v_cmp_eq_f32_e64 s[6:7], s12, 1.0
	s_and_b64 s[4:5], s[4:5], s[6:7]
	s_and_b64 vcc, exec, s[4:5]
	s_cbranch_vccnz .LBB39_22
; %bb.5:
	s_load_dwordx2 s[18:19], s[0:1], 0x0
	v_lshrrev_b32_e32 v1, 6, v0
	v_lshl_or_b32 v2, s2, 1, v1
	s_waitcnt lgkmcnt(0)
	v_cmp_gt_i32_e32 vcc, s18, v2
	s_and_saveexec_b64 s[2:3], vcc
	s_cbranch_execz .LBB39_22
; %bb.6:
	s_load_dwordx8 s[4:11], s[0:1], 0x10
	v_ashrrev_i32_e32 v3, 31, v2
	s_cmp_lg_u32 s19, 0
	s_waitcnt lgkmcnt(0)
	v_lshl_add_u64 v[4:5], v[2:3], 2, s[4:5]
	global_load_dwordx2 v[4:5], v[4:5], off
	v_and_b32_e32 v3, 63, v0
	s_waitcnt vmcnt(0)
	v_subrev_u32_e32 v0, s16, v4
	v_subrev_u32_e32 v12, s16, v5
	v_add_u32_e32 v0, v0, v3
	v_cmp_lt_i32_e64 s[2:3], v0, v12
	s_cbranch_scc0 .LBB39_12
; %bb.7:
	v_mov_b32_e32 v5, 0
	v_mov_b32_e32 v4, v5
	s_and_saveexec_b64 s[4:5], s[2:3]
	s_cbranch_execz .LBB39_11
; %bb.8:
	v_mad_u64_u32 v[6:7], s[18:19], v0, 18, 16
	v_mov_b32_e32 v9, 0
	s_mov_b64 s[18:19], 0
	v_mov_b32_e32 v10, v0
	v_mov_b32_e32 v4, v9
	;; [unrolled: 1-line block ×3, first 2 shown]
.LBB39_9:                               ; =>This Inner Loop Header: Depth=1
	v_ashrrev_i32_e32 v11, 31, v10
	v_lshl_add_u64 v[14:15], v[10:11], 2, s[6:7]
	global_load_dword v1, v[14:15], off
	v_add_u32_e32 v8, -16, v6
	v_mov_b32_e32 v7, v9
	v_lshl_add_u64 v[16:17], v[8:9], 2, s[8:9]
	v_add_u32_e32 v8, -14, v6
	v_lshl_add_u64 v[18:19], v[6:7], 2, s[8:9]
	v_lshl_add_u64 v[20:21], v[8:9], 2, s[8:9]
	global_load_dwordx2 v[16:17], v[16:17], off
	s_nop 0
	global_load_dwordx2 v[22:23], v[18:19], off
	global_load_dwordx2 v[24:25], v[20:21], off
	v_mov_b32_e32 v15, v9
	v_add_u32_e32 v10, 64, v10
	v_cmp_ge_i32_e32 vcc, v10, v12
	s_or_b64 s[18:19], vcc, s[18:19]
	s_waitcnt vmcnt(3)
	v_subrev_u32_e32 v1, s16, v1
	v_lshl_add_u32 v14, v1, 3, v1
	v_add_u32_e32 v8, 1, v14
	v_lshl_add_u64 v[20:21], v[8:9], 2, s[10:11]
	v_add_u32_e32 v8, -12, v6
	v_lshl_add_u64 v[26:27], v[8:9], 2, s[8:9]
	v_add_u32_e32 v8, 2, v14
	v_lshl_add_u64 v[28:29], v[8:9], 2, s[10:11]
	v_add_u32_e32 v8, -10, v6
	v_lshl_add_u64 v[30:31], v[8:9], 2, s[8:9]
	;; [unrolled: 4-line block ×3, first 2 shown]
	v_lshl_add_u64 v[34:35], v[8:9], 2, s[8:9]
	v_add_u32_e32 v8, 4, v14
	global_load_dword v18, v[18:19], off
	v_lshl_add_u64 v[36:37], v[8:9], 2, s[10:11]
	global_load_dword v20, v[20:21], off
	v_add_u32_e32 v8, -6, v6
	v_lshl_add_u64 v[38:39], v[8:9], 2, s[8:9]
	v_add_u32_e32 v8, 5, v14
	global_load_dwordx2 v[26:27], v[26:27], off
	v_lshl_add_u64 v[40:41], v[8:9], 2, s[10:11]
	global_load_dword v28, v[28:29], off
	v_add_u32_e32 v8, -4, v6
	global_load_dwordx2 v[30:31], v[30:31], off
	v_lshl_add_u64 v[42:43], v[8:9], 2, s[8:9]
	global_load_dword v32, v[32:33], off
	v_add_u32_e32 v8, 6, v14
	global_load_dwordx2 v[34:35], v[34:35], off
	v_lshl_add_u64 v[44:45], v[8:9], 2, s[10:11]
	global_load_dword v36, v[36:37], off
	v_add_u32_e32 v8, -2, v6
	global_load_dwordx2 v[38:39], v[38:39], off
	v_lshl_add_u64 v[46:47], v[8:9], 2, s[8:9]
	global_load_dword v40, v[40:41], off
	v_add_u32_e32 v8, 7, v14
	global_load_dwordx2 v[42:43], v[42:43], off
	v_lshl_add_u64 v[48:49], v[8:9], 2, s[10:11]
	global_load_dword v44, v[44:45], off
	v_add_u32_e32 v8, 8, v14
	global_load_dwordx2 v[46:47], v[46:47], off
	v_add_u32_e32 v6, 0x480, v6
	global_load_dword v14, v[48:49], off
	v_lshl_add_u64 v[48:49], v[8:9], 2, s[10:11]
	global_load_dword v8, v[48:49], off
	s_waitcnt vmcnt(14)
	v_pk_fma_f32 v[4:5], v[16:17], v[18:19], v[4:5] op_sel_hi:[1,0,1]
	s_waitcnt vmcnt(13)
	v_pk_fma_f32 v[4:5], v[24:25], v[20:21], v[4:5] op_sel_hi:[1,0,1]
	;; [unrolled: 2-line block ×9, first 2 shown]
	s_andn2_b64 exec, exec, s[18:19]
	s_cbranch_execnz .LBB39_9
; %bb.10:
	s_or_b64 exec, exec, s[18:19]
.LBB39_11:
	s_or_b64 exec, exec, s[4:5]
	s_cbranch_execz .LBB39_13
	s_branch .LBB39_18
.LBB39_12:
                                        ; implicit-def: $vgpr5
.LBB39_13:
	v_mov_b32_e32 v5, 0
	v_mov_b32_e32 v4, v5
	s_and_saveexec_b64 s[4:5], s[2:3]
	s_cbranch_execz .LBB39_17
; %bb.14:
	v_mad_u64_u32 v[6:7], s[2:3], v0, 18, 17
	v_mov_b32_e32 v9, 0
	s_mov_b64 s[2:3], 0
	v_mov_b32_e32 v4, v9
	v_mov_b32_e32 v5, v9
.LBB39_15:                              ; =>This Inner Loop Header: Depth=1
	v_ashrrev_i32_e32 v1, 31, v0
	v_lshl_add_u64 v[10:11], v[0:1], 2, s[6:7]
	global_load_dword v1, v[10:11], off
	v_subrev_u32_e32 v8, 17, v6
	v_add_u32_e32 v10, -8, v6
	v_mov_b32_e32 v11, v9
	v_mov_b32_e32 v7, v9
	v_lshl_add_u64 v[16:17], v[8:9], 2, s[8:9]
	v_lshl_add_u64 v[10:11], v[10:11], 2, s[8:9]
	;; [unrolled: 1-line block ×3, first 2 shown]
	global_load_dwordx2 v[20:21], v[16:17], off
	global_load_dword v23, v[10:11], off
	global_load_dword v25, v[18:19], off
	v_mov_b32_e32 v15, v9
	v_add_u32_e32 v0, 64, v0
	v_cmp_ge_i32_e32 vcc, v0, v12
	s_or_b64 s[2:3], vcc, s[2:3]
	s_waitcnt vmcnt(3)
	v_subrev_u32_e32 v1, s16, v1
	v_lshl_add_u32 v14, v1, 3, v1
	v_add_u32_e32 v8, 1, v14
	v_lshl_add_u64 v[16:17], v[8:9], 2, s[10:11]
	v_add_u32_e32 v8, -7, v6
	v_lshl_add_u64 v[18:19], v[8:9], 2, s[8:9]
	v_add_u32_e32 v8, -15, v6
	v_lshl_add_u64 v[10:11], v[14:15], 2, s[10:11]
	v_lshl_add_u64 v[26:27], v[8:9], 2, s[8:9]
	v_add_u32_e32 v8, 2, v14
	global_load_dword v10, v[10:11], off
	s_waitcnt vmcnt(3)
	v_mov_b32_e32 v22, v20
	global_load_dword v16, v[16:17], off
	s_nop 0
	global_load_dword v15, v[18:19], off
	global_load_dword v28, v[26:27], off
	v_lshl_add_u64 v[18:19], v[8:9], 2, s[10:11]
	v_add_u32_e32 v8, -6, v6
	v_lshl_add_u64 v[26:27], v[8:9], 2, s[8:9]
	v_add_u32_e32 v8, -14, v6
	v_lshl_add_u64 v[30:31], v[8:9], 2, s[8:9]
	v_add_u32_e32 v8, 3, v14
	global_load_dword v18, v[18:19], off
	s_nop 0
	global_load_dword v29, v[26:27], off
	global_load_dword v32, v[30:31], off
	v_lshl_add_u64 v[26:27], v[8:9], 2, s[10:11]
	v_add_u32_e32 v8, -5, v6
	v_lshl_add_u64 v[30:31], v[8:9], 2, s[8:9]
	v_add_u32_e32 v8, -13, v6
	v_lshl_add_u64 v[34:35], v[8:9], 2, s[8:9]
	v_add_u32_e32 v8, 4, v14
	;; [unrolled: 10-line block ×6, first 2 shown]
	global_load_dword v42, v[42:43], off
	s_nop 0
	global_load_dword v49, v[46:47], off
	global_load_dword v24, v[50:51], off
	v_lshl_add_u64 v[46:47], v[8:9], 2, s[10:11]
	global_load_dword v8, v[46:47], off
	v_mov_b32_e32 v14, v21
	v_add_u32_e32 v6, 0x480, v6
	s_waitcnt vmcnt(22)
	v_pk_fma_f32 v[4:5], v[22:23], v[10:11], v[4:5] op_sel_hi:[1,0,1]
	s_waitcnt vmcnt(20)
	v_pk_fma_f32 v[4:5], v[14:15], v[16:17], v[4:5] op_sel_hi:[1,0,1]
	s_waitcnt vmcnt(17)
	v_pk_fma_f32 v[4:5], v[28:29], v[18:19], v[4:5] op_sel_hi:[1,0,1]
	s_waitcnt vmcnt(14)
	v_pk_fma_f32 v[4:5], v[32:33], v[26:27], v[4:5] op_sel_hi:[1,0,1]
	s_waitcnt vmcnt(11)
	v_pk_fma_f32 v[4:5], v[36:37], v[30:31], v[4:5] op_sel_hi:[1,0,1]
	s_waitcnt vmcnt(8)
	v_pk_fma_f32 v[4:5], v[40:41], v[34:35], v[4:5] op_sel_hi:[1,0,1]
	s_waitcnt vmcnt(5)
	v_pk_fma_f32 v[4:5], v[44:45], v[38:39], v[4:5] op_sel_hi:[1,0,1]
	s_waitcnt vmcnt(2)
	v_pk_fma_f32 v[4:5], v[48:49], v[42:43], v[4:5] op_sel_hi:[1,0,1]
	s_waitcnt vmcnt(0)
	v_pk_fma_f32 v[4:5], v[24:25], v[8:9], v[4:5] op_sel_hi:[1,0,1]
	s_andn2_b64 exec, exec, s[2:3]
	s_cbranch_execnz .LBB39_15
; %bb.16:
	s_or_b64 exec, exec, s[2:3]
.LBB39_17:
	s_or_b64 exec, exec, s[4:5]
.LBB39_18:
	v_mov_b32_dpp v0, v4 row_shr:1 row_mask:0xf bank_mask:0xf
	v_mov_b32_dpp v1, v5 row_shr:1 row_mask:0xf bank_mask:0xf
	v_pk_add_f32 v[0:1], v[4:5], v[0:1]
	v_cmp_eq_u32_e32 vcc, 63, v3
	s_nop 0
	v_mov_b32_dpp v4, v0 row_shr:2 row_mask:0xf bank_mask:0xf
	v_mov_b32_dpp v5, v1 row_shr:2 row_mask:0xf bank_mask:0xf
	v_pk_add_f32 v[0:1], v[0:1], v[4:5]
	s_nop 1
	v_mov_b32_dpp v4, v0 row_shr:4 row_mask:0xf bank_mask:0xe
	v_mov_b32_dpp v5, v1 row_shr:4 row_mask:0xf bank_mask:0xe
	v_pk_add_f32 v[0:1], v[0:1], v[4:5]
	;; [unrolled: 4-line block ×3, first 2 shown]
	s_nop 1
	v_mov_b32_dpp v4, v0 row_bcast:15 row_mask:0xa bank_mask:0xf
	v_mov_b32_dpp v5, v1 row_bcast:15 row_mask:0xa bank_mask:0xf
	v_pk_add_f32 v[0:1], v[0:1], v[4:5]
	s_nop 1
	v_mov_b32_dpp v4, v0 row_bcast:31 row_mask:0xc bank_mask:0xf
	v_mov_b32_dpp v5, v1 row_bcast:31 row_mask:0xc bank_mask:0xf
	s_and_b64 exec, exec, vcc
	s_cbranch_execz .LBB39_22
; %bb.19:
	s_load_dwordx2 s[0:1], s[0:1], 0x38
	v_cmp_eq_f32_e64 s[2:3], s12, 0
	v_pk_add_f32 v[0:1], v[0:1], v[4:5]
	s_and_b64 vcc, exec, s[2:3]
	v_lshlrev_b32_e32 v2, 1, v2
	s_cbranch_vccz .LBB39_23
; %bb.20:
	v_ashrrev_i32_e32 v3, 31, v2
	s_waitcnt lgkmcnt(0)
	v_lshl_add_u64 v[4:5], v[2:3], 2, s[0:1]
	v_pk_mul_f32 v[6:7], s[14:15], v[0:1] op_sel_hi:[0,1]
	global_store_dwordx2 v[4:5], v[6:7], off
	s_cbranch_execnz .LBB39_22
.LBB39_21:
	v_ashrrev_i32_e32 v3, 31, v2
	s_waitcnt lgkmcnt(0)
	v_lshl_add_u64 v[2:3], v[2:3], 2, s[0:1]
	global_load_dwordx2 v[4:5], v[2:3], off
	v_pk_mul_f32 v[0:1], s[14:15], v[0:1] op_sel_hi:[0,1]
	s_waitcnt vmcnt(0)
	v_pk_fma_f32 v[0:1], s[12:13], v[4:5], v[0:1] op_sel_hi:[0,1,1]
	global_store_dwordx2 v[2:3], v[0:1], off
.LBB39_22:
	s_endpgm
.LBB39_23:
	s_branch .LBB39_21
	.section	.rodata,"a",@progbits
	.p2align	6, 0x0
	.amdhsa_kernel _ZN9rocsparseL19gebsrmvn_2xn_kernelILj128ELj9ELj64EfEEvi20rocsparse_direction_NS_24const_host_device_scalarIT2_EEPKiS6_PKS3_S8_S4_PS3_21rocsparse_index_base_b
		.amdhsa_group_segment_fixed_size 0
		.amdhsa_private_segment_fixed_size 0
		.amdhsa_kernarg_size 72
		.amdhsa_user_sgpr_count 2
		.amdhsa_user_sgpr_dispatch_ptr 0
		.amdhsa_user_sgpr_queue_ptr 0
		.amdhsa_user_sgpr_kernarg_segment_ptr 1
		.amdhsa_user_sgpr_dispatch_id 0
		.amdhsa_user_sgpr_kernarg_preload_length 0
		.amdhsa_user_sgpr_kernarg_preload_offset 0
		.amdhsa_user_sgpr_private_segment_size 0
		.amdhsa_uses_dynamic_stack 0
		.amdhsa_enable_private_segment 0
		.amdhsa_system_sgpr_workgroup_id_x 1
		.amdhsa_system_sgpr_workgroup_id_y 0
		.amdhsa_system_sgpr_workgroup_id_z 0
		.amdhsa_system_sgpr_workgroup_info 0
		.amdhsa_system_vgpr_workitem_id 0
		.amdhsa_next_free_vgpr 52
		.amdhsa_next_free_sgpr 20
		.amdhsa_accum_offset 52
		.amdhsa_reserve_vcc 1
		.amdhsa_float_round_mode_32 0
		.amdhsa_float_round_mode_16_64 0
		.amdhsa_float_denorm_mode_32 3
		.amdhsa_float_denorm_mode_16_64 3
		.amdhsa_dx10_clamp 1
		.amdhsa_ieee_mode 1
		.amdhsa_fp16_overflow 0
		.amdhsa_tg_split 0
		.amdhsa_exception_fp_ieee_invalid_op 0
		.amdhsa_exception_fp_denorm_src 0
		.amdhsa_exception_fp_ieee_div_zero 0
		.amdhsa_exception_fp_ieee_overflow 0
		.amdhsa_exception_fp_ieee_underflow 0
		.amdhsa_exception_fp_ieee_inexact 0
		.amdhsa_exception_int_div_zero 0
	.end_amdhsa_kernel
	.section	.text._ZN9rocsparseL19gebsrmvn_2xn_kernelILj128ELj9ELj64EfEEvi20rocsparse_direction_NS_24const_host_device_scalarIT2_EEPKiS6_PKS3_S8_S4_PS3_21rocsparse_index_base_b,"axG",@progbits,_ZN9rocsparseL19gebsrmvn_2xn_kernelILj128ELj9ELj64EfEEvi20rocsparse_direction_NS_24const_host_device_scalarIT2_EEPKiS6_PKS3_S8_S4_PS3_21rocsparse_index_base_b,comdat
.Lfunc_end39:
	.size	_ZN9rocsparseL19gebsrmvn_2xn_kernelILj128ELj9ELj64EfEEvi20rocsparse_direction_NS_24const_host_device_scalarIT2_EEPKiS6_PKS3_S8_S4_PS3_21rocsparse_index_base_b, .Lfunc_end39-_ZN9rocsparseL19gebsrmvn_2xn_kernelILj128ELj9ELj64EfEEvi20rocsparse_direction_NS_24const_host_device_scalarIT2_EEPKiS6_PKS3_S8_S4_PS3_21rocsparse_index_base_b
                                        ; -- End function
	.section	.AMDGPU.csdata,"",@progbits
; Kernel info:
; codeLenInByte = 1888
; NumSgprs: 26
; NumVgprs: 52
; NumAgprs: 0
; TotalNumVgprs: 52
; ScratchSize: 0
; MemoryBound: 0
; FloatMode: 240
; IeeeMode: 1
; LDSByteSize: 0 bytes/workgroup (compile time only)
; SGPRBlocks: 3
; VGPRBlocks: 6
; NumSGPRsForWavesPerEU: 26
; NumVGPRsForWavesPerEU: 52
; AccumOffset: 52
; Occupancy: 8
; WaveLimiterHint : 1
; COMPUTE_PGM_RSRC2:SCRATCH_EN: 0
; COMPUTE_PGM_RSRC2:USER_SGPR: 2
; COMPUTE_PGM_RSRC2:TRAP_HANDLER: 0
; COMPUTE_PGM_RSRC2:TGID_X_EN: 1
; COMPUTE_PGM_RSRC2:TGID_Y_EN: 0
; COMPUTE_PGM_RSRC2:TGID_Z_EN: 0
; COMPUTE_PGM_RSRC2:TIDIG_COMP_CNT: 0
; COMPUTE_PGM_RSRC3_GFX90A:ACCUM_OFFSET: 12
; COMPUTE_PGM_RSRC3_GFX90A:TG_SPLIT: 0
	.section	.text._ZN9rocsparseL19gebsrmvn_2xn_kernelILj128ELj10ELj4EfEEvi20rocsparse_direction_NS_24const_host_device_scalarIT2_EEPKiS6_PKS3_S8_S4_PS3_21rocsparse_index_base_b,"axG",@progbits,_ZN9rocsparseL19gebsrmvn_2xn_kernelILj128ELj10ELj4EfEEvi20rocsparse_direction_NS_24const_host_device_scalarIT2_EEPKiS6_PKS3_S8_S4_PS3_21rocsparse_index_base_b,comdat
	.globl	_ZN9rocsparseL19gebsrmvn_2xn_kernelILj128ELj10ELj4EfEEvi20rocsparse_direction_NS_24const_host_device_scalarIT2_EEPKiS6_PKS3_S8_S4_PS3_21rocsparse_index_base_b ; -- Begin function _ZN9rocsparseL19gebsrmvn_2xn_kernelILj128ELj10ELj4EfEEvi20rocsparse_direction_NS_24const_host_device_scalarIT2_EEPKiS6_PKS3_S8_S4_PS3_21rocsparse_index_base_b
	.p2align	8
	.type	_ZN9rocsparseL19gebsrmvn_2xn_kernelILj128ELj10ELj4EfEEvi20rocsparse_direction_NS_24const_host_device_scalarIT2_EEPKiS6_PKS3_S8_S4_PS3_21rocsparse_index_base_b,@function
_ZN9rocsparseL19gebsrmvn_2xn_kernelILj128ELj10ELj4EfEEvi20rocsparse_direction_NS_24const_host_device_scalarIT2_EEPKiS6_PKS3_S8_S4_PS3_21rocsparse_index_base_b: ; @_ZN9rocsparseL19gebsrmvn_2xn_kernelILj128ELj10ELj4EfEEvi20rocsparse_direction_NS_24const_host_device_scalarIT2_EEPKiS6_PKS3_S8_S4_PS3_21rocsparse_index_base_b
; %bb.0:
	s_load_dwordx2 s[16:17], s[0:1], 0x40
	s_load_dwordx2 s[14:15], s[0:1], 0x8
	;; [unrolled: 1-line block ×3, first 2 shown]
	s_waitcnt lgkmcnt(0)
	s_bitcmp1_b32 s17, 0
	s_cselect_b64 s[6:7], -1, 0
	s_xor_b64 s[4:5], s[6:7], -1
	s_and_b64 vcc, exec, s[6:7]
	s_cbranch_vccnz .LBB40_2
; %bb.1:
	s_load_dword s14, s[14:15], 0x0
.LBB40_2:
	s_andn2_b64 vcc, exec, s[4:5]
	s_cbranch_vccnz .LBB40_4
; %bb.3:
	s_load_dword s12, s[12:13], 0x0
.LBB40_4:
	s_waitcnt lgkmcnt(0)
	v_cmp_eq_f32_e64 s[4:5], s14, 0
	v_cmp_eq_f32_e64 s[6:7], s12, 1.0
	s_and_b64 s[4:5], s[4:5], s[6:7]
	s_and_b64 vcc, exec, s[4:5]
	s_cbranch_vccnz .LBB40_22
; %bb.5:
	s_load_dwordx2 s[18:19], s[0:1], 0x0
	v_lshrrev_b32_e32 v1, 2, v0
	v_lshl_or_b32 v2, s2, 5, v1
	s_waitcnt lgkmcnt(0)
	v_cmp_gt_i32_e32 vcc, s18, v2
	s_and_saveexec_b64 s[2:3], vcc
	s_cbranch_execz .LBB40_22
; %bb.6:
	s_load_dwordx8 s[4:11], s[0:1], 0x10
	v_ashrrev_i32_e32 v3, 31, v2
	s_cmp_lg_u32 s19, 0
	s_waitcnt lgkmcnt(0)
	v_lshl_add_u64 v[4:5], v[2:3], 2, s[4:5]
	global_load_dwordx2 v[4:5], v[4:5], off
	v_and_b32_e32 v3, 3, v0
	s_waitcnt vmcnt(0)
	v_subrev_u32_e32 v0, s16, v4
	v_subrev_u32_e32 v12, s16, v5
	v_add_u32_e32 v0, v0, v3
	v_cmp_lt_i32_e64 s[2:3], v0, v12
	s_cbranch_scc0 .LBB40_12
; %bb.7:
	v_mov_b32_e32 v5, 0
	v_mov_b32_e32 v4, v5
	s_and_saveexec_b64 s[4:5], s[2:3]
	s_cbranch_execz .LBB40_11
; %bb.8:
	v_mad_u64_u32 v[6:7], s[18:19], v0, 20, 18
	v_mov_b32_e32 v9, 0
	s_mov_b64 s[18:19], 0
	v_mov_b32_e32 v10, v0
	v_mov_b32_e32 v4, v9
	v_mov_b32_e32 v5, v9
.LBB40_9:                               ; =>This Inner Loop Header: Depth=1
	v_ashrrev_i32_e32 v11, 31, v10
	v_lshl_add_u64 v[14:15], v[10:11], 2, s[6:7]
	global_load_dword v1, v[14:15], off
	v_subrev_u32_e32 v8, 18, v6
	v_lshl_add_u64 v[14:15], v[8:9], 2, s[8:9]
	v_add_u32_e32 v8, -14, v6
	v_mov_b32_e32 v19, v9
	v_lshl_add_u64 v[22:23], v[8:9], 2, s[8:9]
	global_load_dwordx4 v[14:17], v[14:15], off
	v_mov_b32_e32 v7, v9
	global_load_dwordx2 v[22:23], v[22:23], off
	v_lshl_add_u64 v[20:21], v[6:7], 2, s[8:9]
	v_add_u32_e32 v10, 4, v10
	v_cmp_ge_i32_e32 vcc, v10, v12
	s_or_b64 s[18:19], vcc, s[18:19]
	s_waitcnt vmcnt(2)
	v_subrev_u32_e32 v1, s16, v1
	v_mul_lo_u32 v18, v1, 10
	v_add_u32_e32 v8, 2, v18
	v_lshl_add_u64 v[24:25], v[18:19], 2, s[10:11]
	v_lshl_add_u64 v[26:27], v[8:9], 2, s[10:11]
	v_add_u32_e32 v8, -12, v6
	global_load_dwordx2 v[24:25], v[24:25], off
	v_lshl_add_u64 v[28:29], v[8:9], 2, s[8:9]
	global_load_dwordx2 v[26:27], v[26:27], off
	v_add_u32_e32 v8, -10, v6
	v_lshl_add_u64 v[30:31], v[8:9], 2, s[8:9]
	v_add_u32_e32 v8, 4, v18
	global_load_dwordx2 v[32:33], v[28:29], off
	global_load_dwordx2 v[34:35], v[30:31], off
	v_lshl_add_u64 v[28:29], v[8:9], 2, s[10:11]
	v_add_u32_e32 v8, -8, v6
	v_lshl_add_u64 v[30:31], v[8:9], 2, s[8:9]
	v_add_u32_e32 v8, -6, v6
	global_load_dwordx2 v[28:29], v[28:29], off
	v_lshl_add_u64 v[36:37], v[8:9], 2, s[8:9]
	v_add_u32_e32 v8, 6, v18
	global_load_dwordx2 v[38:39], v[30:31], off
	global_load_dwordx2 v[40:41], v[36:37], off
	v_lshl_add_u64 v[30:31], v[8:9], 2, s[10:11]
	v_add_u32_e32 v8, -4, v6
	global_load_dwordx2 v[30:31], v[30:31], off
	v_lshl_add_u64 v[36:37], v[8:9], 2, s[8:9]
	v_add_u32_e32 v8, -2, v6
	v_lshl_add_u64 v[42:43], v[8:9], 2, s[8:9]
	v_add_u32_e32 v8, 8, v18
	global_load_dwordx2 v[18:19], v[36:37], off
	global_load_dwordx2 v[44:45], v[42:43], off
	v_lshl_add_u64 v[36:37], v[8:9], 2, s[10:11]
	global_load_dwordx2 v[42:43], v[36:37], off
	global_load_dwordx2 v[46:47], v[20:21], off
	v_add_u32_e32 v6, 0x50, v6
	s_waitcnt vmcnt(11)
	v_pk_fma_f32 v[4:5], v[14:15], v[24:25], v[4:5] op_sel_hi:[1,0,1]
	s_nop 0
	v_pk_fma_f32 v[4:5], v[16:17], v[24:25], v[4:5] op_sel:[0,1,0]
	s_waitcnt vmcnt(10)
	v_pk_fma_f32 v[4:5], v[22:23], v[26:27], v[4:5] op_sel_hi:[1,0,1]
	s_waitcnt vmcnt(9)
	v_pk_fma_f32 v[4:5], v[32:33], v[26:27], v[4:5] op_sel:[0,1,0]
	s_waitcnt vmcnt(7)
	v_pk_fma_f32 v[4:5], v[34:35], v[28:29], v[4:5] op_sel_hi:[1,0,1]
	s_waitcnt vmcnt(6)
	;; [unrolled: 4-line block ×4, first 2 shown]
	v_pk_fma_f32 v[4:5], v[46:47], v[42:43], v[4:5] op_sel:[0,1,0]
	s_andn2_b64 exec, exec, s[18:19]
	s_cbranch_execnz .LBB40_9
; %bb.10:
	s_or_b64 exec, exec, s[18:19]
.LBB40_11:
	s_or_b64 exec, exec, s[4:5]
	s_cbranch_execz .LBB40_13
	s_branch .LBB40_18
.LBB40_12:
                                        ; implicit-def: $vgpr5
.LBB40_13:
	v_mov_b32_e32 v5, 0
	v_mov_b32_e32 v4, v5
	s_and_saveexec_b64 s[4:5], s[2:3]
	s_cbranch_execz .LBB40_17
; %bb.14:
	v_mad_u64_u32 v[6:7], s[2:3], v0, 20, 19
	v_mov_b32_e32 v9, 0
	s_mov_b64 s[2:3], 0
	v_mov_b32_e32 v4, v9
	v_mov_b32_e32 v5, v9
.LBB40_15:                              ; =>This Inner Loop Header: Depth=1
	v_ashrrev_i32_e32 v1, 31, v0
	v_lshl_add_u64 v[10:11], v[0:1], 2, s[6:7]
	global_load_dword v1, v[10:11], off
	v_subrev_u32_e32 v8, 19, v6
	v_add_u32_e32 v10, -9, v6
	v_mov_b32_e32 v11, v9
	v_lshl_add_u64 v[14:15], v[8:9], 2, s[8:9]
	v_add_u32_e32 v8, -8, v6
	v_lshl_add_u64 v[10:11], v[10:11], 2, s[8:9]
	v_lshl_add_u64 v[22:23], v[8:9], 2, s[8:9]
	global_load_dwordx4 v[14:17], v[14:15], off
	s_nop 0
	global_load_dword v25, v[10:11], off
	global_load_dword v27, v[22:23], off
	v_mov_b32_e32 v19, v9
	v_mov_b32_e32 v7, v9
	v_lshl_add_u64 v[20:21], v[6:7], 2, s[8:9]
	v_add_u32_e32 v0, 4, v0
	v_cmp_ge_i32_e32 vcc, v0, v12
	s_or_b64 s[2:3], vcc, s[2:3]
	s_waitcnt vmcnt(3)
	v_subrev_u32_e32 v1, s16, v1
	v_mul_lo_u32 v18, v1, 10
	v_add_u32_e32 v8, 2, v18
	v_lshl_add_u64 v[22:23], v[8:9], 2, s[10:11]
	v_add_u32_e32 v8, -7, v6
	v_lshl_add_u64 v[28:29], v[8:9], 2, s[8:9]
	v_add_u32_e32 v8, -6, v6
	v_lshl_add_u64 v[30:31], v[8:9], 2, s[8:9]
	v_add_u32_e32 v8, -15, v6
	v_lshl_add_u64 v[10:11], v[18:19], 2, s[10:11]
	global_load_dword v19, v[28:29], off
	v_lshl_add_u64 v[28:29], v[8:9], 2, s[8:9]
	v_add_u32_e32 v8, 4, v18
	global_load_dwordx2 v[10:11], v[10:11], off
	s_waitcnt vmcnt(4)
	v_mov_b32_e32 v24, v14
	global_load_dwordx2 v[22:23], v[22:23], off
	s_nop 0
	global_load_dword v33, v[30:31], off
	global_load_dword v34, v[28:29], off
	v_lshl_add_u64 v[28:29], v[8:9], 2, s[10:11]
	v_add_u32_e32 v8, -5, v6
	v_lshl_add_u64 v[30:31], v[8:9], 2, s[8:9]
	v_add_u32_e32 v8, -14, v6
	;; [unrolled: 2-line block ×3, first 2 shown]
	global_load_dword v35, v[30:31], off
	v_mov_b32_e32 v26, v15
	global_load_dword v36, v[36:37], off
	v_lshl_add_u64 v[30:31], v[8:9], 2, s[8:9]
	v_add_u32_e32 v8, -13, v6
	v_lshl_add_u64 v[38:39], v[8:9], 2, s[8:9]
	v_add_u32_e32 v8, 6, v18
	global_load_dwordx2 v[28:29], v[28:29], off
	s_nop 0
	global_load_dword v37, v[30:31], off
	global_load_dword v40, v[38:39], off
	v_lshl_add_u64 v[30:31], v[8:9], 2, s[10:11]
	v_add_u32_e32 v8, -3, v6
	v_lshl_add_u64 v[38:39], v[8:9], 2, s[8:9]
	v_add_u32_e32 v8, -12, v6
	;; [unrolled: 2-line block ×3, first 2 shown]
	global_load_dword v41, v[38:39], off
	v_mov_b32_e32 v32, v17
	global_load_dword v42, v[42:43], off
	v_lshl_add_u64 v[38:39], v[8:9], 2, s[8:9]
	v_add_u32_e32 v8, -11, v6
	global_load_dwordx2 v[30:31], v[30:31], off
	v_lshl_add_u64 v[44:45], v[8:9], 2, s[8:9]
	v_add_u32_e32 v8, 8, v18
	global_load_dword v43, v[38:39], off
	global_load_dword v46, v[44:45], off
	v_lshl_add_u64 v[38:39], v[8:9], 2, s[10:11]
	v_add_u32_e32 v8, -1, v6
	global_load_dwordx2 v[38:39], v[38:39], off
	v_lshl_add_u64 v[44:45], v[8:9], 2, s[8:9]
	v_add_u32_e32 v8, -10, v6
	v_lshl_add_u64 v[48:49], v[8:9], 2, s[8:9]
	global_load_dword v47, v[44:45], off
	global_load_dword v50, v[48:49], off
	;; [unrolled: 1-line block ×3, first 2 shown]
	v_mov_b32_e32 v18, v16
	v_add_u32_e32 v6, 0x50, v6
	s_waitcnt vmcnt(17)
	v_pk_fma_f32 v[4:5], v[24:25], v[10:11], v[4:5] op_sel_hi:[1,0,1]
	s_nop 0
	v_pk_fma_f32 v[4:5], v[26:27], v[10:11], v[4:5] op_sel:[0,1,0]
	s_waitcnt vmcnt(16)
	v_pk_fma_f32 v[4:5], v[18:19], v[22:23], v[4:5] op_sel_hi:[1,0,1]
	s_waitcnt vmcnt(15)
	v_pk_fma_f32 v[4:5], v[32:33], v[22:23], v[4:5] op_sel:[0,1,0]
	s_waitcnt vmcnt(11)
	v_pk_fma_f32 v[4:5], v[34:35], v[28:29], v[4:5] op_sel_hi:[1,0,1]
	s_waitcnt vmcnt(10)
	;; [unrolled: 4-line block ×4, first 2 shown]
	v_pk_fma_f32 v[4:5], v[50:51], v[38:39], v[4:5] op_sel:[0,1,0]
	s_andn2_b64 exec, exec, s[2:3]
	s_cbranch_execnz .LBB40_15
; %bb.16:
	s_or_b64 exec, exec, s[2:3]
.LBB40_17:
	s_or_b64 exec, exec, s[4:5]
.LBB40_18:
	v_mov_b32_dpp v0, v4 row_shr:1 row_mask:0xf bank_mask:0xf
	v_mov_b32_dpp v1, v5 row_shr:1 row_mask:0xf bank_mask:0xf
	v_pk_add_f32 v[0:1], v[4:5], v[0:1]
	v_cmp_eq_u32_e32 vcc, 3, v3
	s_nop 0
	v_mov_b32_dpp v4, v0 row_shr:2 row_mask:0xf bank_mask:0xf
	v_mov_b32_dpp v5, v1 row_shr:2 row_mask:0xf bank_mask:0xf
	s_and_b64 exec, exec, vcc
	s_cbranch_execz .LBB40_22
; %bb.19:
	s_load_dwordx2 s[0:1], s[0:1], 0x38
	v_cmp_eq_f32_e64 s[2:3], s12, 0
	v_pk_add_f32 v[0:1], v[0:1], v[4:5]
	s_and_b64 vcc, exec, s[2:3]
	v_lshlrev_b32_e32 v2, 1, v2
	s_cbranch_vccz .LBB40_23
; %bb.20:
	v_ashrrev_i32_e32 v3, 31, v2
	s_waitcnt lgkmcnt(0)
	v_lshl_add_u64 v[4:5], v[2:3], 2, s[0:1]
	v_pk_mul_f32 v[6:7], s[14:15], v[0:1] op_sel_hi:[0,1]
	global_store_dwordx2 v[4:5], v[6:7], off
	s_cbranch_execnz .LBB40_22
.LBB40_21:
	v_ashrrev_i32_e32 v3, 31, v2
	s_waitcnt lgkmcnt(0)
	v_lshl_add_u64 v[2:3], v[2:3], 2, s[0:1]
	global_load_dwordx2 v[4:5], v[2:3], off
	v_pk_mul_f32 v[0:1], s[14:15], v[0:1] op_sel_hi:[0,1]
	s_waitcnt vmcnt(0)
	v_pk_fma_f32 v[0:1], s[12:13], v[4:5], v[0:1] op_sel_hi:[0,1,1]
	global_store_dwordx2 v[2:3], v[0:1], off
.LBB40_22:
	s_endpgm
.LBB40_23:
	s_branch .LBB40_21
	.section	.rodata,"a",@progbits
	.p2align	6, 0x0
	.amdhsa_kernel _ZN9rocsparseL19gebsrmvn_2xn_kernelILj128ELj10ELj4EfEEvi20rocsparse_direction_NS_24const_host_device_scalarIT2_EEPKiS6_PKS3_S8_S4_PS3_21rocsparse_index_base_b
		.amdhsa_group_segment_fixed_size 0
		.amdhsa_private_segment_fixed_size 0
		.amdhsa_kernarg_size 72
		.amdhsa_user_sgpr_count 2
		.amdhsa_user_sgpr_dispatch_ptr 0
		.amdhsa_user_sgpr_queue_ptr 0
		.amdhsa_user_sgpr_kernarg_segment_ptr 1
		.amdhsa_user_sgpr_dispatch_id 0
		.amdhsa_user_sgpr_kernarg_preload_length 0
		.amdhsa_user_sgpr_kernarg_preload_offset 0
		.amdhsa_user_sgpr_private_segment_size 0
		.amdhsa_uses_dynamic_stack 0
		.amdhsa_enable_private_segment 0
		.amdhsa_system_sgpr_workgroup_id_x 1
		.amdhsa_system_sgpr_workgroup_id_y 0
		.amdhsa_system_sgpr_workgroup_id_z 0
		.amdhsa_system_sgpr_workgroup_info 0
		.amdhsa_system_vgpr_workitem_id 0
		.amdhsa_next_free_vgpr 52
		.amdhsa_next_free_sgpr 20
		.amdhsa_accum_offset 52
		.amdhsa_reserve_vcc 1
		.amdhsa_float_round_mode_32 0
		.amdhsa_float_round_mode_16_64 0
		.amdhsa_float_denorm_mode_32 3
		.amdhsa_float_denorm_mode_16_64 3
		.amdhsa_dx10_clamp 1
		.amdhsa_ieee_mode 1
		.amdhsa_fp16_overflow 0
		.amdhsa_tg_split 0
		.amdhsa_exception_fp_ieee_invalid_op 0
		.amdhsa_exception_fp_denorm_src 0
		.amdhsa_exception_fp_ieee_div_zero 0
		.amdhsa_exception_fp_ieee_overflow 0
		.amdhsa_exception_fp_ieee_underflow 0
		.amdhsa_exception_fp_ieee_inexact 0
		.amdhsa_exception_int_div_zero 0
	.end_amdhsa_kernel
	.section	.text._ZN9rocsparseL19gebsrmvn_2xn_kernelILj128ELj10ELj4EfEEvi20rocsparse_direction_NS_24const_host_device_scalarIT2_EEPKiS6_PKS3_S8_S4_PS3_21rocsparse_index_base_b,"axG",@progbits,_ZN9rocsparseL19gebsrmvn_2xn_kernelILj128ELj10ELj4EfEEvi20rocsparse_direction_NS_24const_host_device_scalarIT2_EEPKiS6_PKS3_S8_S4_PS3_21rocsparse_index_base_b,comdat
.Lfunc_end40:
	.size	_ZN9rocsparseL19gebsrmvn_2xn_kernelILj128ELj10ELj4EfEEvi20rocsparse_direction_NS_24const_host_device_scalarIT2_EEPKiS6_PKS3_S8_S4_PS3_21rocsparse_index_base_b, .Lfunc_end40-_ZN9rocsparseL19gebsrmvn_2xn_kernelILj128ELj10ELj4EfEEvi20rocsparse_direction_NS_24const_host_device_scalarIT2_EEPKiS6_PKS3_S8_S4_PS3_21rocsparse_index_base_b
                                        ; -- End function
	.section	.AMDGPU.csdata,"",@progbits
; Kernel info:
; codeLenInByte = 1628
; NumSgprs: 26
; NumVgprs: 52
; NumAgprs: 0
; TotalNumVgprs: 52
; ScratchSize: 0
; MemoryBound: 0
; FloatMode: 240
; IeeeMode: 1
; LDSByteSize: 0 bytes/workgroup (compile time only)
; SGPRBlocks: 3
; VGPRBlocks: 6
; NumSGPRsForWavesPerEU: 26
; NumVGPRsForWavesPerEU: 52
; AccumOffset: 52
; Occupancy: 8
; WaveLimiterHint : 1
; COMPUTE_PGM_RSRC2:SCRATCH_EN: 0
; COMPUTE_PGM_RSRC2:USER_SGPR: 2
; COMPUTE_PGM_RSRC2:TRAP_HANDLER: 0
; COMPUTE_PGM_RSRC2:TGID_X_EN: 1
; COMPUTE_PGM_RSRC2:TGID_Y_EN: 0
; COMPUTE_PGM_RSRC2:TGID_Z_EN: 0
; COMPUTE_PGM_RSRC2:TIDIG_COMP_CNT: 0
; COMPUTE_PGM_RSRC3_GFX90A:ACCUM_OFFSET: 12
; COMPUTE_PGM_RSRC3_GFX90A:TG_SPLIT: 0
	.section	.text._ZN9rocsparseL19gebsrmvn_2xn_kernelILj128ELj10ELj8EfEEvi20rocsparse_direction_NS_24const_host_device_scalarIT2_EEPKiS6_PKS3_S8_S4_PS3_21rocsparse_index_base_b,"axG",@progbits,_ZN9rocsparseL19gebsrmvn_2xn_kernelILj128ELj10ELj8EfEEvi20rocsparse_direction_NS_24const_host_device_scalarIT2_EEPKiS6_PKS3_S8_S4_PS3_21rocsparse_index_base_b,comdat
	.globl	_ZN9rocsparseL19gebsrmvn_2xn_kernelILj128ELj10ELj8EfEEvi20rocsparse_direction_NS_24const_host_device_scalarIT2_EEPKiS6_PKS3_S8_S4_PS3_21rocsparse_index_base_b ; -- Begin function _ZN9rocsparseL19gebsrmvn_2xn_kernelILj128ELj10ELj8EfEEvi20rocsparse_direction_NS_24const_host_device_scalarIT2_EEPKiS6_PKS3_S8_S4_PS3_21rocsparse_index_base_b
	.p2align	8
	.type	_ZN9rocsparseL19gebsrmvn_2xn_kernelILj128ELj10ELj8EfEEvi20rocsparse_direction_NS_24const_host_device_scalarIT2_EEPKiS6_PKS3_S8_S4_PS3_21rocsparse_index_base_b,@function
_ZN9rocsparseL19gebsrmvn_2xn_kernelILj128ELj10ELj8EfEEvi20rocsparse_direction_NS_24const_host_device_scalarIT2_EEPKiS6_PKS3_S8_S4_PS3_21rocsparse_index_base_b: ; @_ZN9rocsparseL19gebsrmvn_2xn_kernelILj128ELj10ELj8EfEEvi20rocsparse_direction_NS_24const_host_device_scalarIT2_EEPKiS6_PKS3_S8_S4_PS3_21rocsparse_index_base_b
; %bb.0:
	s_load_dwordx2 s[16:17], s[0:1], 0x40
	s_load_dwordx2 s[14:15], s[0:1], 0x8
	;; [unrolled: 1-line block ×3, first 2 shown]
	s_waitcnt lgkmcnt(0)
	s_bitcmp1_b32 s17, 0
	s_cselect_b64 s[6:7], -1, 0
	s_xor_b64 s[4:5], s[6:7], -1
	s_and_b64 vcc, exec, s[6:7]
	s_cbranch_vccnz .LBB41_2
; %bb.1:
	s_load_dword s14, s[14:15], 0x0
.LBB41_2:
	s_andn2_b64 vcc, exec, s[4:5]
	s_cbranch_vccnz .LBB41_4
; %bb.3:
	s_load_dword s12, s[12:13], 0x0
.LBB41_4:
	s_waitcnt lgkmcnt(0)
	v_cmp_eq_f32_e64 s[4:5], s14, 0
	v_cmp_eq_f32_e64 s[6:7], s12, 1.0
	s_and_b64 s[4:5], s[4:5], s[6:7]
	s_and_b64 vcc, exec, s[4:5]
	s_cbranch_vccnz .LBB41_22
; %bb.5:
	s_load_dwordx2 s[18:19], s[0:1], 0x0
	v_lshrrev_b32_e32 v1, 3, v0
	v_lshl_or_b32 v2, s2, 4, v1
	s_waitcnt lgkmcnt(0)
	v_cmp_gt_i32_e32 vcc, s18, v2
	s_and_saveexec_b64 s[2:3], vcc
	s_cbranch_execz .LBB41_22
; %bb.6:
	s_load_dwordx8 s[4:11], s[0:1], 0x10
	v_ashrrev_i32_e32 v3, 31, v2
	s_cmp_lg_u32 s19, 0
	s_waitcnt lgkmcnt(0)
	v_lshl_add_u64 v[4:5], v[2:3], 2, s[4:5]
	global_load_dwordx2 v[4:5], v[4:5], off
	v_and_b32_e32 v3, 7, v0
	s_waitcnt vmcnt(0)
	v_subrev_u32_e32 v0, s16, v4
	v_subrev_u32_e32 v12, s16, v5
	v_add_u32_e32 v0, v0, v3
	v_cmp_lt_i32_e64 s[2:3], v0, v12
	s_cbranch_scc0 .LBB41_12
; %bb.7:
	v_mov_b32_e32 v5, 0
	v_mov_b32_e32 v4, v5
	s_and_saveexec_b64 s[4:5], s[2:3]
	s_cbranch_execz .LBB41_11
; %bb.8:
	v_mad_u64_u32 v[6:7], s[18:19], v0, 20, 18
	v_mov_b32_e32 v9, 0
	s_mov_b64 s[18:19], 0
	v_mov_b32_e32 v10, v0
	v_mov_b32_e32 v4, v9
	v_mov_b32_e32 v5, v9
.LBB41_9:                               ; =>This Inner Loop Header: Depth=1
	v_ashrrev_i32_e32 v11, 31, v10
	v_lshl_add_u64 v[14:15], v[10:11], 2, s[6:7]
	global_load_dword v1, v[14:15], off
	v_subrev_u32_e32 v8, 18, v6
	v_lshl_add_u64 v[14:15], v[8:9], 2, s[8:9]
	v_add_u32_e32 v8, -14, v6
	v_mov_b32_e32 v19, v9
	v_lshl_add_u64 v[22:23], v[8:9], 2, s[8:9]
	global_load_dwordx4 v[14:17], v[14:15], off
	v_mov_b32_e32 v7, v9
	global_load_dwordx2 v[22:23], v[22:23], off
	v_lshl_add_u64 v[20:21], v[6:7], 2, s[8:9]
	v_add_u32_e32 v10, 8, v10
	v_cmp_ge_i32_e32 vcc, v10, v12
	s_or_b64 s[18:19], vcc, s[18:19]
	s_waitcnt vmcnt(2)
	v_subrev_u32_e32 v1, s16, v1
	v_mul_lo_u32 v18, v1, 10
	v_add_u32_e32 v8, 2, v18
	v_lshl_add_u64 v[24:25], v[18:19], 2, s[10:11]
	v_lshl_add_u64 v[26:27], v[8:9], 2, s[10:11]
	v_add_u32_e32 v8, -12, v6
	global_load_dwordx2 v[24:25], v[24:25], off
	v_lshl_add_u64 v[28:29], v[8:9], 2, s[8:9]
	global_load_dwordx2 v[26:27], v[26:27], off
	v_add_u32_e32 v8, -10, v6
	v_lshl_add_u64 v[30:31], v[8:9], 2, s[8:9]
	v_add_u32_e32 v8, 4, v18
	global_load_dwordx2 v[32:33], v[28:29], off
	global_load_dwordx2 v[34:35], v[30:31], off
	v_lshl_add_u64 v[28:29], v[8:9], 2, s[10:11]
	v_add_u32_e32 v8, -8, v6
	v_lshl_add_u64 v[30:31], v[8:9], 2, s[8:9]
	v_add_u32_e32 v8, -6, v6
	global_load_dwordx2 v[28:29], v[28:29], off
	v_lshl_add_u64 v[36:37], v[8:9], 2, s[8:9]
	v_add_u32_e32 v8, 6, v18
	global_load_dwordx2 v[38:39], v[30:31], off
	global_load_dwordx2 v[40:41], v[36:37], off
	v_lshl_add_u64 v[30:31], v[8:9], 2, s[10:11]
	v_add_u32_e32 v8, -4, v6
	global_load_dwordx2 v[30:31], v[30:31], off
	v_lshl_add_u64 v[36:37], v[8:9], 2, s[8:9]
	v_add_u32_e32 v8, -2, v6
	v_lshl_add_u64 v[42:43], v[8:9], 2, s[8:9]
	v_add_u32_e32 v8, 8, v18
	global_load_dwordx2 v[18:19], v[36:37], off
	global_load_dwordx2 v[44:45], v[42:43], off
	v_lshl_add_u64 v[36:37], v[8:9], 2, s[10:11]
	global_load_dwordx2 v[42:43], v[36:37], off
	global_load_dwordx2 v[46:47], v[20:21], off
	v_add_u32_e32 v6, 0xa0, v6
	s_waitcnt vmcnt(11)
	v_pk_fma_f32 v[4:5], v[14:15], v[24:25], v[4:5] op_sel_hi:[1,0,1]
	s_nop 0
	v_pk_fma_f32 v[4:5], v[16:17], v[24:25], v[4:5] op_sel:[0,1,0]
	s_waitcnt vmcnt(10)
	v_pk_fma_f32 v[4:5], v[22:23], v[26:27], v[4:5] op_sel_hi:[1,0,1]
	s_waitcnt vmcnt(9)
	v_pk_fma_f32 v[4:5], v[32:33], v[26:27], v[4:5] op_sel:[0,1,0]
	s_waitcnt vmcnt(7)
	v_pk_fma_f32 v[4:5], v[34:35], v[28:29], v[4:5] op_sel_hi:[1,0,1]
	s_waitcnt vmcnt(6)
	;; [unrolled: 4-line block ×4, first 2 shown]
	v_pk_fma_f32 v[4:5], v[46:47], v[42:43], v[4:5] op_sel:[0,1,0]
	s_andn2_b64 exec, exec, s[18:19]
	s_cbranch_execnz .LBB41_9
; %bb.10:
	s_or_b64 exec, exec, s[18:19]
.LBB41_11:
	s_or_b64 exec, exec, s[4:5]
	s_cbranch_execz .LBB41_13
	s_branch .LBB41_18
.LBB41_12:
                                        ; implicit-def: $vgpr5
.LBB41_13:
	v_mov_b32_e32 v5, 0
	v_mov_b32_e32 v4, v5
	s_and_saveexec_b64 s[4:5], s[2:3]
	s_cbranch_execz .LBB41_17
; %bb.14:
	v_mad_u64_u32 v[6:7], s[2:3], v0, 20, 19
	v_mov_b32_e32 v9, 0
	s_mov_b64 s[2:3], 0
	v_mov_b32_e32 v4, v9
	v_mov_b32_e32 v5, v9
.LBB41_15:                              ; =>This Inner Loop Header: Depth=1
	v_ashrrev_i32_e32 v1, 31, v0
	v_lshl_add_u64 v[10:11], v[0:1], 2, s[6:7]
	global_load_dword v1, v[10:11], off
	v_subrev_u32_e32 v8, 19, v6
	v_add_u32_e32 v10, -9, v6
	v_mov_b32_e32 v11, v9
	v_lshl_add_u64 v[14:15], v[8:9], 2, s[8:9]
	v_add_u32_e32 v8, -8, v6
	v_lshl_add_u64 v[10:11], v[10:11], 2, s[8:9]
	v_lshl_add_u64 v[22:23], v[8:9], 2, s[8:9]
	global_load_dwordx4 v[14:17], v[14:15], off
	s_nop 0
	global_load_dword v25, v[10:11], off
	global_load_dword v27, v[22:23], off
	v_mov_b32_e32 v19, v9
	v_mov_b32_e32 v7, v9
	v_lshl_add_u64 v[20:21], v[6:7], 2, s[8:9]
	v_add_u32_e32 v0, 8, v0
	v_cmp_ge_i32_e32 vcc, v0, v12
	s_or_b64 s[2:3], vcc, s[2:3]
	s_waitcnt vmcnt(3)
	v_subrev_u32_e32 v1, s16, v1
	v_mul_lo_u32 v18, v1, 10
	v_add_u32_e32 v8, 2, v18
	v_lshl_add_u64 v[22:23], v[8:9], 2, s[10:11]
	v_add_u32_e32 v8, -7, v6
	v_lshl_add_u64 v[28:29], v[8:9], 2, s[8:9]
	v_add_u32_e32 v8, -6, v6
	;; [unrolled: 2-line block ×3, first 2 shown]
	v_lshl_add_u64 v[10:11], v[18:19], 2, s[10:11]
	global_load_dword v19, v[28:29], off
	v_lshl_add_u64 v[28:29], v[8:9], 2, s[8:9]
	v_add_u32_e32 v8, 4, v18
	global_load_dwordx2 v[10:11], v[10:11], off
	s_waitcnt vmcnt(4)
	v_mov_b32_e32 v24, v14
	global_load_dwordx2 v[22:23], v[22:23], off
	s_nop 0
	global_load_dword v33, v[30:31], off
	global_load_dword v34, v[28:29], off
	v_lshl_add_u64 v[28:29], v[8:9], 2, s[10:11]
	v_add_u32_e32 v8, -5, v6
	v_lshl_add_u64 v[30:31], v[8:9], 2, s[8:9]
	v_add_u32_e32 v8, -14, v6
	;; [unrolled: 2-line block ×3, first 2 shown]
	global_load_dword v35, v[30:31], off
	v_mov_b32_e32 v26, v15
	global_load_dword v36, v[36:37], off
	v_lshl_add_u64 v[30:31], v[8:9], 2, s[8:9]
	v_add_u32_e32 v8, -13, v6
	v_lshl_add_u64 v[38:39], v[8:9], 2, s[8:9]
	v_add_u32_e32 v8, 6, v18
	global_load_dwordx2 v[28:29], v[28:29], off
	s_nop 0
	global_load_dword v37, v[30:31], off
	global_load_dword v40, v[38:39], off
	v_lshl_add_u64 v[30:31], v[8:9], 2, s[10:11]
	v_add_u32_e32 v8, -3, v6
	v_lshl_add_u64 v[38:39], v[8:9], 2, s[8:9]
	v_add_u32_e32 v8, -12, v6
	;; [unrolled: 2-line block ×3, first 2 shown]
	global_load_dword v41, v[38:39], off
	v_mov_b32_e32 v32, v17
	global_load_dword v42, v[42:43], off
	v_lshl_add_u64 v[38:39], v[8:9], 2, s[8:9]
	v_add_u32_e32 v8, -11, v6
	global_load_dwordx2 v[30:31], v[30:31], off
	v_lshl_add_u64 v[44:45], v[8:9], 2, s[8:9]
	v_add_u32_e32 v8, 8, v18
	global_load_dword v43, v[38:39], off
	global_load_dword v46, v[44:45], off
	v_lshl_add_u64 v[38:39], v[8:9], 2, s[10:11]
	v_add_u32_e32 v8, -1, v6
	global_load_dwordx2 v[38:39], v[38:39], off
	v_lshl_add_u64 v[44:45], v[8:9], 2, s[8:9]
	v_add_u32_e32 v8, -10, v6
	v_lshl_add_u64 v[48:49], v[8:9], 2, s[8:9]
	global_load_dword v47, v[44:45], off
	global_load_dword v50, v[48:49], off
	;; [unrolled: 1-line block ×3, first 2 shown]
	v_mov_b32_e32 v18, v16
	v_add_u32_e32 v6, 0xa0, v6
	s_waitcnt vmcnt(17)
	v_pk_fma_f32 v[4:5], v[24:25], v[10:11], v[4:5] op_sel_hi:[1,0,1]
	s_nop 0
	v_pk_fma_f32 v[4:5], v[26:27], v[10:11], v[4:5] op_sel:[0,1,0]
	s_waitcnt vmcnt(16)
	v_pk_fma_f32 v[4:5], v[18:19], v[22:23], v[4:5] op_sel_hi:[1,0,1]
	s_waitcnt vmcnt(15)
	v_pk_fma_f32 v[4:5], v[32:33], v[22:23], v[4:5] op_sel:[0,1,0]
	s_waitcnt vmcnt(11)
	v_pk_fma_f32 v[4:5], v[34:35], v[28:29], v[4:5] op_sel_hi:[1,0,1]
	s_waitcnt vmcnt(10)
	;; [unrolled: 4-line block ×4, first 2 shown]
	v_pk_fma_f32 v[4:5], v[50:51], v[38:39], v[4:5] op_sel:[0,1,0]
	s_andn2_b64 exec, exec, s[2:3]
	s_cbranch_execnz .LBB41_15
; %bb.16:
	s_or_b64 exec, exec, s[2:3]
.LBB41_17:
	s_or_b64 exec, exec, s[4:5]
.LBB41_18:
	v_mov_b32_dpp v0, v4 row_shr:1 row_mask:0xf bank_mask:0xf
	v_mov_b32_dpp v1, v5 row_shr:1 row_mask:0xf bank_mask:0xf
	v_pk_add_f32 v[0:1], v[4:5], v[0:1]
	v_cmp_eq_u32_e32 vcc, 7, v3
	s_nop 0
	v_mov_b32_dpp v4, v0 row_shr:2 row_mask:0xf bank_mask:0xf
	v_mov_b32_dpp v5, v1 row_shr:2 row_mask:0xf bank_mask:0xf
	v_pk_add_f32 v[0:1], v[0:1], v[4:5]
	s_nop 1
	v_mov_b32_dpp v4, v0 row_shr:4 row_mask:0xf bank_mask:0xe
	v_mov_b32_dpp v5, v1 row_shr:4 row_mask:0xf bank_mask:0xe
	s_and_b64 exec, exec, vcc
	s_cbranch_execz .LBB41_22
; %bb.19:
	s_load_dwordx2 s[0:1], s[0:1], 0x38
	v_cmp_eq_f32_e64 s[2:3], s12, 0
	v_pk_add_f32 v[0:1], v[0:1], v[4:5]
	s_and_b64 vcc, exec, s[2:3]
	v_lshlrev_b32_e32 v2, 1, v2
	s_cbranch_vccz .LBB41_23
; %bb.20:
	v_ashrrev_i32_e32 v3, 31, v2
	s_waitcnt lgkmcnt(0)
	v_lshl_add_u64 v[4:5], v[2:3], 2, s[0:1]
	v_pk_mul_f32 v[6:7], s[14:15], v[0:1] op_sel_hi:[0,1]
	global_store_dwordx2 v[4:5], v[6:7], off
	s_cbranch_execnz .LBB41_22
.LBB41_21:
	v_ashrrev_i32_e32 v3, 31, v2
	s_waitcnt lgkmcnt(0)
	v_lshl_add_u64 v[2:3], v[2:3], 2, s[0:1]
	global_load_dwordx2 v[4:5], v[2:3], off
	v_pk_mul_f32 v[0:1], s[14:15], v[0:1] op_sel_hi:[0,1]
	s_waitcnt vmcnt(0)
	v_pk_fma_f32 v[0:1], s[12:13], v[4:5], v[0:1] op_sel_hi:[0,1,1]
	global_store_dwordx2 v[2:3], v[0:1], off
.LBB41_22:
	s_endpgm
.LBB41_23:
	s_branch .LBB41_21
	.section	.rodata,"a",@progbits
	.p2align	6, 0x0
	.amdhsa_kernel _ZN9rocsparseL19gebsrmvn_2xn_kernelILj128ELj10ELj8EfEEvi20rocsparse_direction_NS_24const_host_device_scalarIT2_EEPKiS6_PKS3_S8_S4_PS3_21rocsparse_index_base_b
		.amdhsa_group_segment_fixed_size 0
		.amdhsa_private_segment_fixed_size 0
		.amdhsa_kernarg_size 72
		.amdhsa_user_sgpr_count 2
		.amdhsa_user_sgpr_dispatch_ptr 0
		.amdhsa_user_sgpr_queue_ptr 0
		.amdhsa_user_sgpr_kernarg_segment_ptr 1
		.amdhsa_user_sgpr_dispatch_id 0
		.amdhsa_user_sgpr_kernarg_preload_length 0
		.amdhsa_user_sgpr_kernarg_preload_offset 0
		.amdhsa_user_sgpr_private_segment_size 0
		.amdhsa_uses_dynamic_stack 0
		.amdhsa_enable_private_segment 0
		.amdhsa_system_sgpr_workgroup_id_x 1
		.amdhsa_system_sgpr_workgroup_id_y 0
		.amdhsa_system_sgpr_workgroup_id_z 0
		.amdhsa_system_sgpr_workgroup_info 0
		.amdhsa_system_vgpr_workitem_id 0
		.amdhsa_next_free_vgpr 52
		.amdhsa_next_free_sgpr 20
		.amdhsa_accum_offset 52
		.amdhsa_reserve_vcc 1
		.amdhsa_float_round_mode_32 0
		.amdhsa_float_round_mode_16_64 0
		.amdhsa_float_denorm_mode_32 3
		.amdhsa_float_denorm_mode_16_64 3
		.amdhsa_dx10_clamp 1
		.amdhsa_ieee_mode 1
		.amdhsa_fp16_overflow 0
		.amdhsa_tg_split 0
		.amdhsa_exception_fp_ieee_invalid_op 0
		.amdhsa_exception_fp_denorm_src 0
		.amdhsa_exception_fp_ieee_div_zero 0
		.amdhsa_exception_fp_ieee_overflow 0
		.amdhsa_exception_fp_ieee_underflow 0
		.amdhsa_exception_fp_ieee_inexact 0
		.amdhsa_exception_int_div_zero 0
	.end_amdhsa_kernel
	.section	.text._ZN9rocsparseL19gebsrmvn_2xn_kernelILj128ELj10ELj8EfEEvi20rocsparse_direction_NS_24const_host_device_scalarIT2_EEPKiS6_PKS3_S8_S4_PS3_21rocsparse_index_base_b,"axG",@progbits,_ZN9rocsparseL19gebsrmvn_2xn_kernelILj128ELj10ELj8EfEEvi20rocsparse_direction_NS_24const_host_device_scalarIT2_EEPKiS6_PKS3_S8_S4_PS3_21rocsparse_index_base_b,comdat
.Lfunc_end41:
	.size	_ZN9rocsparseL19gebsrmvn_2xn_kernelILj128ELj10ELj8EfEEvi20rocsparse_direction_NS_24const_host_device_scalarIT2_EEPKiS6_PKS3_S8_S4_PS3_21rocsparse_index_base_b, .Lfunc_end41-_ZN9rocsparseL19gebsrmvn_2xn_kernelILj128ELj10ELj8EfEEvi20rocsparse_direction_NS_24const_host_device_scalarIT2_EEPKiS6_PKS3_S8_S4_PS3_21rocsparse_index_base_b
                                        ; -- End function
	.section	.AMDGPU.csdata,"",@progbits
; Kernel info:
; codeLenInByte = 1656
; NumSgprs: 26
; NumVgprs: 52
; NumAgprs: 0
; TotalNumVgprs: 52
; ScratchSize: 0
; MemoryBound: 0
; FloatMode: 240
; IeeeMode: 1
; LDSByteSize: 0 bytes/workgroup (compile time only)
; SGPRBlocks: 3
; VGPRBlocks: 6
; NumSGPRsForWavesPerEU: 26
; NumVGPRsForWavesPerEU: 52
; AccumOffset: 52
; Occupancy: 8
; WaveLimiterHint : 1
; COMPUTE_PGM_RSRC2:SCRATCH_EN: 0
; COMPUTE_PGM_RSRC2:USER_SGPR: 2
; COMPUTE_PGM_RSRC2:TRAP_HANDLER: 0
; COMPUTE_PGM_RSRC2:TGID_X_EN: 1
; COMPUTE_PGM_RSRC2:TGID_Y_EN: 0
; COMPUTE_PGM_RSRC2:TGID_Z_EN: 0
; COMPUTE_PGM_RSRC2:TIDIG_COMP_CNT: 0
; COMPUTE_PGM_RSRC3_GFX90A:ACCUM_OFFSET: 12
; COMPUTE_PGM_RSRC3_GFX90A:TG_SPLIT: 0
	.section	.text._ZN9rocsparseL19gebsrmvn_2xn_kernelILj128ELj10ELj16EfEEvi20rocsparse_direction_NS_24const_host_device_scalarIT2_EEPKiS6_PKS3_S8_S4_PS3_21rocsparse_index_base_b,"axG",@progbits,_ZN9rocsparseL19gebsrmvn_2xn_kernelILj128ELj10ELj16EfEEvi20rocsparse_direction_NS_24const_host_device_scalarIT2_EEPKiS6_PKS3_S8_S4_PS3_21rocsparse_index_base_b,comdat
	.globl	_ZN9rocsparseL19gebsrmvn_2xn_kernelILj128ELj10ELj16EfEEvi20rocsparse_direction_NS_24const_host_device_scalarIT2_EEPKiS6_PKS3_S8_S4_PS3_21rocsparse_index_base_b ; -- Begin function _ZN9rocsparseL19gebsrmvn_2xn_kernelILj128ELj10ELj16EfEEvi20rocsparse_direction_NS_24const_host_device_scalarIT2_EEPKiS6_PKS3_S8_S4_PS3_21rocsparse_index_base_b
	.p2align	8
	.type	_ZN9rocsparseL19gebsrmvn_2xn_kernelILj128ELj10ELj16EfEEvi20rocsparse_direction_NS_24const_host_device_scalarIT2_EEPKiS6_PKS3_S8_S4_PS3_21rocsparse_index_base_b,@function
_ZN9rocsparseL19gebsrmvn_2xn_kernelILj128ELj10ELj16EfEEvi20rocsparse_direction_NS_24const_host_device_scalarIT2_EEPKiS6_PKS3_S8_S4_PS3_21rocsparse_index_base_b: ; @_ZN9rocsparseL19gebsrmvn_2xn_kernelILj128ELj10ELj16EfEEvi20rocsparse_direction_NS_24const_host_device_scalarIT2_EEPKiS6_PKS3_S8_S4_PS3_21rocsparse_index_base_b
; %bb.0:
	s_load_dwordx2 s[16:17], s[0:1], 0x40
	s_load_dwordx2 s[14:15], s[0:1], 0x8
	;; [unrolled: 1-line block ×3, first 2 shown]
	s_waitcnt lgkmcnt(0)
	s_bitcmp1_b32 s17, 0
	s_cselect_b64 s[6:7], -1, 0
	s_xor_b64 s[4:5], s[6:7], -1
	s_and_b64 vcc, exec, s[6:7]
	s_cbranch_vccnz .LBB42_2
; %bb.1:
	s_load_dword s14, s[14:15], 0x0
.LBB42_2:
	s_andn2_b64 vcc, exec, s[4:5]
	s_cbranch_vccnz .LBB42_4
; %bb.3:
	s_load_dword s12, s[12:13], 0x0
.LBB42_4:
	s_waitcnt lgkmcnt(0)
	v_cmp_eq_f32_e64 s[4:5], s14, 0
	v_cmp_eq_f32_e64 s[6:7], s12, 1.0
	s_and_b64 s[4:5], s[4:5], s[6:7]
	s_and_b64 vcc, exec, s[4:5]
	s_cbranch_vccnz .LBB42_22
; %bb.5:
	s_load_dwordx2 s[18:19], s[0:1], 0x0
	v_lshrrev_b32_e32 v1, 4, v0
	v_lshl_or_b32 v2, s2, 3, v1
	s_waitcnt lgkmcnt(0)
	v_cmp_gt_i32_e32 vcc, s18, v2
	s_and_saveexec_b64 s[2:3], vcc
	s_cbranch_execz .LBB42_22
; %bb.6:
	s_load_dwordx8 s[4:11], s[0:1], 0x10
	v_ashrrev_i32_e32 v3, 31, v2
	s_cmp_lg_u32 s19, 0
	s_waitcnt lgkmcnt(0)
	v_lshl_add_u64 v[4:5], v[2:3], 2, s[4:5]
	global_load_dwordx2 v[4:5], v[4:5], off
	v_and_b32_e32 v3, 15, v0
	s_waitcnt vmcnt(0)
	v_subrev_u32_e32 v0, s16, v4
	v_subrev_u32_e32 v12, s16, v5
	v_add_u32_e32 v0, v0, v3
	v_cmp_lt_i32_e64 s[2:3], v0, v12
	s_cbranch_scc0 .LBB42_12
; %bb.7:
	v_mov_b32_e32 v5, 0
	v_mov_b32_e32 v4, v5
	s_and_saveexec_b64 s[4:5], s[2:3]
	s_cbranch_execz .LBB42_11
; %bb.8:
	v_mad_u64_u32 v[6:7], s[18:19], v0, 20, 18
	v_mov_b32_e32 v9, 0
	s_mov_b64 s[18:19], 0
	v_mov_b32_e32 v10, v0
	v_mov_b32_e32 v4, v9
	;; [unrolled: 1-line block ×3, first 2 shown]
.LBB42_9:                               ; =>This Inner Loop Header: Depth=1
	v_ashrrev_i32_e32 v11, 31, v10
	v_lshl_add_u64 v[14:15], v[10:11], 2, s[6:7]
	global_load_dword v1, v[14:15], off
	v_subrev_u32_e32 v8, 18, v6
	v_lshl_add_u64 v[14:15], v[8:9], 2, s[8:9]
	v_add_u32_e32 v8, -14, v6
	v_mov_b32_e32 v19, v9
	v_lshl_add_u64 v[22:23], v[8:9], 2, s[8:9]
	global_load_dwordx4 v[14:17], v[14:15], off
	v_mov_b32_e32 v7, v9
	global_load_dwordx2 v[22:23], v[22:23], off
	v_lshl_add_u64 v[20:21], v[6:7], 2, s[8:9]
	v_add_u32_e32 v10, 16, v10
	v_cmp_ge_i32_e32 vcc, v10, v12
	s_or_b64 s[18:19], vcc, s[18:19]
	s_waitcnt vmcnt(2)
	v_subrev_u32_e32 v1, s16, v1
	v_mul_lo_u32 v18, v1, 10
	v_add_u32_e32 v8, 2, v18
	v_lshl_add_u64 v[24:25], v[18:19], 2, s[10:11]
	v_lshl_add_u64 v[26:27], v[8:9], 2, s[10:11]
	v_add_u32_e32 v8, -12, v6
	global_load_dwordx2 v[24:25], v[24:25], off
	v_lshl_add_u64 v[28:29], v[8:9], 2, s[8:9]
	global_load_dwordx2 v[26:27], v[26:27], off
	v_add_u32_e32 v8, -10, v6
	v_lshl_add_u64 v[30:31], v[8:9], 2, s[8:9]
	v_add_u32_e32 v8, 4, v18
	global_load_dwordx2 v[32:33], v[28:29], off
	global_load_dwordx2 v[34:35], v[30:31], off
	v_lshl_add_u64 v[28:29], v[8:9], 2, s[10:11]
	v_add_u32_e32 v8, -8, v6
	v_lshl_add_u64 v[30:31], v[8:9], 2, s[8:9]
	v_add_u32_e32 v8, -6, v6
	global_load_dwordx2 v[28:29], v[28:29], off
	v_lshl_add_u64 v[36:37], v[8:9], 2, s[8:9]
	v_add_u32_e32 v8, 6, v18
	global_load_dwordx2 v[38:39], v[30:31], off
	global_load_dwordx2 v[40:41], v[36:37], off
	v_lshl_add_u64 v[30:31], v[8:9], 2, s[10:11]
	v_add_u32_e32 v8, -4, v6
	global_load_dwordx2 v[30:31], v[30:31], off
	v_lshl_add_u64 v[36:37], v[8:9], 2, s[8:9]
	v_add_u32_e32 v8, -2, v6
	v_lshl_add_u64 v[42:43], v[8:9], 2, s[8:9]
	v_add_u32_e32 v8, 8, v18
	global_load_dwordx2 v[18:19], v[36:37], off
	global_load_dwordx2 v[44:45], v[42:43], off
	v_lshl_add_u64 v[36:37], v[8:9], 2, s[10:11]
	global_load_dwordx2 v[42:43], v[36:37], off
	global_load_dwordx2 v[46:47], v[20:21], off
	v_add_u32_e32 v6, 0x140, v6
	s_waitcnt vmcnt(11)
	v_pk_fma_f32 v[4:5], v[14:15], v[24:25], v[4:5] op_sel_hi:[1,0,1]
	s_nop 0
	v_pk_fma_f32 v[4:5], v[16:17], v[24:25], v[4:5] op_sel:[0,1,0]
	s_waitcnt vmcnt(10)
	v_pk_fma_f32 v[4:5], v[22:23], v[26:27], v[4:5] op_sel_hi:[1,0,1]
	s_waitcnt vmcnt(9)
	v_pk_fma_f32 v[4:5], v[32:33], v[26:27], v[4:5] op_sel:[0,1,0]
	s_waitcnt vmcnt(7)
	v_pk_fma_f32 v[4:5], v[34:35], v[28:29], v[4:5] op_sel_hi:[1,0,1]
	s_waitcnt vmcnt(6)
	;; [unrolled: 4-line block ×4, first 2 shown]
	v_pk_fma_f32 v[4:5], v[46:47], v[42:43], v[4:5] op_sel:[0,1,0]
	s_andn2_b64 exec, exec, s[18:19]
	s_cbranch_execnz .LBB42_9
; %bb.10:
	s_or_b64 exec, exec, s[18:19]
.LBB42_11:
	s_or_b64 exec, exec, s[4:5]
	s_cbranch_execz .LBB42_13
	s_branch .LBB42_18
.LBB42_12:
                                        ; implicit-def: $vgpr5
.LBB42_13:
	v_mov_b32_e32 v5, 0
	v_mov_b32_e32 v4, v5
	s_and_saveexec_b64 s[4:5], s[2:3]
	s_cbranch_execz .LBB42_17
; %bb.14:
	v_mad_u64_u32 v[6:7], s[2:3], v0, 20, 19
	v_mov_b32_e32 v9, 0
	s_mov_b64 s[2:3], 0
	v_mov_b32_e32 v4, v9
	v_mov_b32_e32 v5, v9
.LBB42_15:                              ; =>This Inner Loop Header: Depth=1
	v_ashrrev_i32_e32 v1, 31, v0
	v_lshl_add_u64 v[10:11], v[0:1], 2, s[6:7]
	global_load_dword v1, v[10:11], off
	v_subrev_u32_e32 v8, 19, v6
	v_add_u32_e32 v10, -9, v6
	v_mov_b32_e32 v11, v9
	v_lshl_add_u64 v[14:15], v[8:9], 2, s[8:9]
	v_add_u32_e32 v8, -8, v6
	v_lshl_add_u64 v[10:11], v[10:11], 2, s[8:9]
	v_lshl_add_u64 v[22:23], v[8:9], 2, s[8:9]
	global_load_dwordx4 v[14:17], v[14:15], off
	s_nop 0
	global_load_dword v25, v[10:11], off
	global_load_dword v27, v[22:23], off
	v_mov_b32_e32 v19, v9
	v_mov_b32_e32 v7, v9
	v_lshl_add_u64 v[20:21], v[6:7], 2, s[8:9]
	v_add_u32_e32 v0, 16, v0
	v_cmp_ge_i32_e32 vcc, v0, v12
	s_or_b64 s[2:3], vcc, s[2:3]
	s_waitcnt vmcnt(3)
	v_subrev_u32_e32 v1, s16, v1
	v_mul_lo_u32 v18, v1, 10
	v_add_u32_e32 v8, 2, v18
	v_lshl_add_u64 v[22:23], v[8:9], 2, s[10:11]
	v_add_u32_e32 v8, -7, v6
	v_lshl_add_u64 v[28:29], v[8:9], 2, s[8:9]
	v_add_u32_e32 v8, -6, v6
	;; [unrolled: 2-line block ×3, first 2 shown]
	v_lshl_add_u64 v[10:11], v[18:19], 2, s[10:11]
	global_load_dword v19, v[28:29], off
	v_lshl_add_u64 v[28:29], v[8:9], 2, s[8:9]
	v_add_u32_e32 v8, 4, v18
	global_load_dwordx2 v[10:11], v[10:11], off
	s_waitcnt vmcnt(4)
	v_mov_b32_e32 v24, v14
	global_load_dwordx2 v[22:23], v[22:23], off
	s_nop 0
	global_load_dword v33, v[30:31], off
	global_load_dword v34, v[28:29], off
	v_lshl_add_u64 v[28:29], v[8:9], 2, s[10:11]
	v_add_u32_e32 v8, -5, v6
	v_lshl_add_u64 v[30:31], v[8:9], 2, s[8:9]
	v_add_u32_e32 v8, -14, v6
	;; [unrolled: 2-line block ×3, first 2 shown]
	global_load_dword v35, v[30:31], off
	v_mov_b32_e32 v26, v15
	global_load_dword v36, v[36:37], off
	v_lshl_add_u64 v[30:31], v[8:9], 2, s[8:9]
	v_add_u32_e32 v8, -13, v6
	v_lshl_add_u64 v[38:39], v[8:9], 2, s[8:9]
	v_add_u32_e32 v8, 6, v18
	global_load_dwordx2 v[28:29], v[28:29], off
	s_nop 0
	global_load_dword v37, v[30:31], off
	global_load_dword v40, v[38:39], off
	v_lshl_add_u64 v[30:31], v[8:9], 2, s[10:11]
	v_add_u32_e32 v8, -3, v6
	v_lshl_add_u64 v[38:39], v[8:9], 2, s[8:9]
	v_add_u32_e32 v8, -12, v6
	;; [unrolled: 2-line block ×3, first 2 shown]
	global_load_dword v41, v[38:39], off
	v_mov_b32_e32 v32, v17
	global_load_dword v42, v[42:43], off
	v_lshl_add_u64 v[38:39], v[8:9], 2, s[8:9]
	v_add_u32_e32 v8, -11, v6
	global_load_dwordx2 v[30:31], v[30:31], off
	v_lshl_add_u64 v[44:45], v[8:9], 2, s[8:9]
	v_add_u32_e32 v8, 8, v18
	global_load_dword v43, v[38:39], off
	global_load_dword v46, v[44:45], off
	v_lshl_add_u64 v[38:39], v[8:9], 2, s[10:11]
	v_add_u32_e32 v8, -1, v6
	global_load_dwordx2 v[38:39], v[38:39], off
	v_lshl_add_u64 v[44:45], v[8:9], 2, s[8:9]
	v_add_u32_e32 v8, -10, v6
	v_lshl_add_u64 v[48:49], v[8:9], 2, s[8:9]
	global_load_dword v47, v[44:45], off
	global_load_dword v50, v[48:49], off
	;; [unrolled: 1-line block ×3, first 2 shown]
	v_mov_b32_e32 v18, v16
	v_add_u32_e32 v6, 0x140, v6
	s_waitcnt vmcnt(17)
	v_pk_fma_f32 v[4:5], v[24:25], v[10:11], v[4:5] op_sel_hi:[1,0,1]
	s_nop 0
	v_pk_fma_f32 v[4:5], v[26:27], v[10:11], v[4:5] op_sel:[0,1,0]
	s_waitcnt vmcnt(16)
	v_pk_fma_f32 v[4:5], v[18:19], v[22:23], v[4:5] op_sel_hi:[1,0,1]
	s_waitcnt vmcnt(15)
	v_pk_fma_f32 v[4:5], v[32:33], v[22:23], v[4:5] op_sel:[0,1,0]
	s_waitcnt vmcnt(11)
	v_pk_fma_f32 v[4:5], v[34:35], v[28:29], v[4:5] op_sel_hi:[1,0,1]
	s_waitcnt vmcnt(10)
	;; [unrolled: 4-line block ×4, first 2 shown]
	v_pk_fma_f32 v[4:5], v[50:51], v[38:39], v[4:5] op_sel:[0,1,0]
	s_andn2_b64 exec, exec, s[2:3]
	s_cbranch_execnz .LBB42_15
; %bb.16:
	s_or_b64 exec, exec, s[2:3]
.LBB42_17:
	s_or_b64 exec, exec, s[4:5]
.LBB42_18:
	v_mov_b32_dpp v0, v4 row_shr:1 row_mask:0xf bank_mask:0xf
	v_mov_b32_dpp v1, v5 row_shr:1 row_mask:0xf bank_mask:0xf
	v_pk_add_f32 v[0:1], v[4:5], v[0:1]
	v_cmp_eq_u32_e32 vcc, 15, v3
	s_nop 0
	v_mov_b32_dpp v4, v0 row_shr:2 row_mask:0xf bank_mask:0xf
	v_mov_b32_dpp v5, v1 row_shr:2 row_mask:0xf bank_mask:0xf
	v_pk_add_f32 v[0:1], v[0:1], v[4:5]
	s_nop 1
	v_mov_b32_dpp v4, v0 row_shr:4 row_mask:0xf bank_mask:0xe
	v_mov_b32_dpp v5, v1 row_shr:4 row_mask:0xf bank_mask:0xe
	v_pk_add_f32 v[0:1], v[0:1], v[4:5]
	s_nop 1
	v_mov_b32_dpp v4, v0 row_shr:8 row_mask:0xf bank_mask:0xc
	v_mov_b32_dpp v5, v1 row_shr:8 row_mask:0xf bank_mask:0xc
	s_and_b64 exec, exec, vcc
	s_cbranch_execz .LBB42_22
; %bb.19:
	s_load_dwordx2 s[0:1], s[0:1], 0x38
	v_cmp_eq_f32_e64 s[2:3], s12, 0
	v_pk_add_f32 v[0:1], v[0:1], v[4:5]
	s_and_b64 vcc, exec, s[2:3]
	v_lshlrev_b32_e32 v2, 1, v2
	s_cbranch_vccz .LBB42_23
; %bb.20:
	v_ashrrev_i32_e32 v3, 31, v2
	s_waitcnt lgkmcnt(0)
	v_lshl_add_u64 v[4:5], v[2:3], 2, s[0:1]
	v_pk_mul_f32 v[6:7], s[14:15], v[0:1] op_sel_hi:[0,1]
	global_store_dwordx2 v[4:5], v[6:7], off
	s_cbranch_execnz .LBB42_22
.LBB42_21:
	v_ashrrev_i32_e32 v3, 31, v2
	s_waitcnt lgkmcnt(0)
	v_lshl_add_u64 v[2:3], v[2:3], 2, s[0:1]
	global_load_dwordx2 v[4:5], v[2:3], off
	v_pk_mul_f32 v[0:1], s[14:15], v[0:1] op_sel_hi:[0,1]
	s_waitcnt vmcnt(0)
	v_pk_fma_f32 v[0:1], s[12:13], v[4:5], v[0:1] op_sel_hi:[0,1,1]
	global_store_dwordx2 v[2:3], v[0:1], off
.LBB42_22:
	s_endpgm
.LBB42_23:
	s_branch .LBB42_21
	.section	.rodata,"a",@progbits
	.p2align	6, 0x0
	.amdhsa_kernel _ZN9rocsparseL19gebsrmvn_2xn_kernelILj128ELj10ELj16EfEEvi20rocsparse_direction_NS_24const_host_device_scalarIT2_EEPKiS6_PKS3_S8_S4_PS3_21rocsparse_index_base_b
		.amdhsa_group_segment_fixed_size 0
		.amdhsa_private_segment_fixed_size 0
		.amdhsa_kernarg_size 72
		.amdhsa_user_sgpr_count 2
		.amdhsa_user_sgpr_dispatch_ptr 0
		.amdhsa_user_sgpr_queue_ptr 0
		.amdhsa_user_sgpr_kernarg_segment_ptr 1
		.amdhsa_user_sgpr_dispatch_id 0
		.amdhsa_user_sgpr_kernarg_preload_length 0
		.amdhsa_user_sgpr_kernarg_preload_offset 0
		.amdhsa_user_sgpr_private_segment_size 0
		.amdhsa_uses_dynamic_stack 0
		.amdhsa_enable_private_segment 0
		.amdhsa_system_sgpr_workgroup_id_x 1
		.amdhsa_system_sgpr_workgroup_id_y 0
		.amdhsa_system_sgpr_workgroup_id_z 0
		.amdhsa_system_sgpr_workgroup_info 0
		.amdhsa_system_vgpr_workitem_id 0
		.amdhsa_next_free_vgpr 52
		.amdhsa_next_free_sgpr 20
		.amdhsa_accum_offset 52
		.amdhsa_reserve_vcc 1
		.amdhsa_float_round_mode_32 0
		.amdhsa_float_round_mode_16_64 0
		.amdhsa_float_denorm_mode_32 3
		.amdhsa_float_denorm_mode_16_64 3
		.amdhsa_dx10_clamp 1
		.amdhsa_ieee_mode 1
		.amdhsa_fp16_overflow 0
		.amdhsa_tg_split 0
		.amdhsa_exception_fp_ieee_invalid_op 0
		.amdhsa_exception_fp_denorm_src 0
		.amdhsa_exception_fp_ieee_div_zero 0
		.amdhsa_exception_fp_ieee_overflow 0
		.amdhsa_exception_fp_ieee_underflow 0
		.amdhsa_exception_fp_ieee_inexact 0
		.amdhsa_exception_int_div_zero 0
	.end_amdhsa_kernel
	.section	.text._ZN9rocsparseL19gebsrmvn_2xn_kernelILj128ELj10ELj16EfEEvi20rocsparse_direction_NS_24const_host_device_scalarIT2_EEPKiS6_PKS3_S8_S4_PS3_21rocsparse_index_base_b,"axG",@progbits,_ZN9rocsparseL19gebsrmvn_2xn_kernelILj128ELj10ELj16EfEEvi20rocsparse_direction_NS_24const_host_device_scalarIT2_EEPKiS6_PKS3_S8_S4_PS3_21rocsparse_index_base_b,comdat
.Lfunc_end42:
	.size	_ZN9rocsparseL19gebsrmvn_2xn_kernelILj128ELj10ELj16EfEEvi20rocsparse_direction_NS_24const_host_device_scalarIT2_EEPKiS6_PKS3_S8_S4_PS3_21rocsparse_index_base_b, .Lfunc_end42-_ZN9rocsparseL19gebsrmvn_2xn_kernelILj128ELj10ELj16EfEEvi20rocsparse_direction_NS_24const_host_device_scalarIT2_EEPKiS6_PKS3_S8_S4_PS3_21rocsparse_index_base_b
                                        ; -- End function
	.section	.AMDGPU.csdata,"",@progbits
; Kernel info:
; codeLenInByte = 1684
; NumSgprs: 26
; NumVgprs: 52
; NumAgprs: 0
; TotalNumVgprs: 52
; ScratchSize: 0
; MemoryBound: 0
; FloatMode: 240
; IeeeMode: 1
; LDSByteSize: 0 bytes/workgroup (compile time only)
; SGPRBlocks: 3
; VGPRBlocks: 6
; NumSGPRsForWavesPerEU: 26
; NumVGPRsForWavesPerEU: 52
; AccumOffset: 52
; Occupancy: 8
; WaveLimiterHint : 1
; COMPUTE_PGM_RSRC2:SCRATCH_EN: 0
; COMPUTE_PGM_RSRC2:USER_SGPR: 2
; COMPUTE_PGM_RSRC2:TRAP_HANDLER: 0
; COMPUTE_PGM_RSRC2:TGID_X_EN: 1
; COMPUTE_PGM_RSRC2:TGID_Y_EN: 0
; COMPUTE_PGM_RSRC2:TGID_Z_EN: 0
; COMPUTE_PGM_RSRC2:TIDIG_COMP_CNT: 0
; COMPUTE_PGM_RSRC3_GFX90A:ACCUM_OFFSET: 12
; COMPUTE_PGM_RSRC3_GFX90A:TG_SPLIT: 0
	.section	.text._ZN9rocsparseL19gebsrmvn_2xn_kernelILj128ELj10ELj32EfEEvi20rocsparse_direction_NS_24const_host_device_scalarIT2_EEPKiS6_PKS3_S8_S4_PS3_21rocsparse_index_base_b,"axG",@progbits,_ZN9rocsparseL19gebsrmvn_2xn_kernelILj128ELj10ELj32EfEEvi20rocsparse_direction_NS_24const_host_device_scalarIT2_EEPKiS6_PKS3_S8_S4_PS3_21rocsparse_index_base_b,comdat
	.globl	_ZN9rocsparseL19gebsrmvn_2xn_kernelILj128ELj10ELj32EfEEvi20rocsparse_direction_NS_24const_host_device_scalarIT2_EEPKiS6_PKS3_S8_S4_PS3_21rocsparse_index_base_b ; -- Begin function _ZN9rocsparseL19gebsrmvn_2xn_kernelILj128ELj10ELj32EfEEvi20rocsparse_direction_NS_24const_host_device_scalarIT2_EEPKiS6_PKS3_S8_S4_PS3_21rocsparse_index_base_b
	.p2align	8
	.type	_ZN9rocsparseL19gebsrmvn_2xn_kernelILj128ELj10ELj32EfEEvi20rocsparse_direction_NS_24const_host_device_scalarIT2_EEPKiS6_PKS3_S8_S4_PS3_21rocsparse_index_base_b,@function
_ZN9rocsparseL19gebsrmvn_2xn_kernelILj128ELj10ELj32EfEEvi20rocsparse_direction_NS_24const_host_device_scalarIT2_EEPKiS6_PKS3_S8_S4_PS3_21rocsparse_index_base_b: ; @_ZN9rocsparseL19gebsrmvn_2xn_kernelILj128ELj10ELj32EfEEvi20rocsparse_direction_NS_24const_host_device_scalarIT2_EEPKiS6_PKS3_S8_S4_PS3_21rocsparse_index_base_b
; %bb.0:
	s_load_dwordx2 s[16:17], s[0:1], 0x40
	s_load_dwordx2 s[14:15], s[0:1], 0x8
	;; [unrolled: 1-line block ×3, first 2 shown]
	s_waitcnt lgkmcnt(0)
	s_bitcmp1_b32 s17, 0
	s_cselect_b64 s[6:7], -1, 0
	s_xor_b64 s[4:5], s[6:7], -1
	s_and_b64 vcc, exec, s[6:7]
	s_cbranch_vccnz .LBB43_2
; %bb.1:
	s_load_dword s14, s[14:15], 0x0
.LBB43_2:
	s_andn2_b64 vcc, exec, s[4:5]
	s_cbranch_vccnz .LBB43_4
; %bb.3:
	s_load_dword s12, s[12:13], 0x0
.LBB43_4:
	s_waitcnt lgkmcnt(0)
	v_cmp_eq_f32_e64 s[4:5], s14, 0
	v_cmp_eq_f32_e64 s[6:7], s12, 1.0
	s_and_b64 s[4:5], s[4:5], s[6:7]
	s_and_b64 vcc, exec, s[4:5]
	s_cbranch_vccnz .LBB43_22
; %bb.5:
	s_load_dwordx2 s[18:19], s[0:1], 0x0
	v_lshrrev_b32_e32 v1, 5, v0
	v_lshl_or_b32 v2, s2, 2, v1
	s_waitcnt lgkmcnt(0)
	v_cmp_gt_i32_e32 vcc, s18, v2
	s_and_saveexec_b64 s[2:3], vcc
	s_cbranch_execz .LBB43_22
; %bb.6:
	s_load_dwordx8 s[4:11], s[0:1], 0x10
	v_ashrrev_i32_e32 v3, 31, v2
	s_cmp_lg_u32 s19, 0
	s_waitcnt lgkmcnt(0)
	v_lshl_add_u64 v[4:5], v[2:3], 2, s[4:5]
	global_load_dwordx2 v[4:5], v[4:5], off
	v_and_b32_e32 v3, 31, v0
	s_waitcnt vmcnt(0)
	v_subrev_u32_e32 v0, s16, v4
	v_subrev_u32_e32 v12, s16, v5
	v_add_u32_e32 v0, v0, v3
	v_cmp_lt_i32_e64 s[2:3], v0, v12
	s_cbranch_scc0 .LBB43_12
; %bb.7:
	v_mov_b32_e32 v5, 0
	v_mov_b32_e32 v4, v5
	s_and_saveexec_b64 s[4:5], s[2:3]
	s_cbranch_execz .LBB43_11
; %bb.8:
	v_mad_u64_u32 v[6:7], s[18:19], v0, 20, 18
	v_mov_b32_e32 v9, 0
	s_mov_b64 s[18:19], 0
	v_mov_b32_e32 v10, v0
	v_mov_b32_e32 v4, v9
	;; [unrolled: 1-line block ×3, first 2 shown]
.LBB43_9:                               ; =>This Inner Loop Header: Depth=1
	v_ashrrev_i32_e32 v11, 31, v10
	v_lshl_add_u64 v[14:15], v[10:11], 2, s[6:7]
	global_load_dword v1, v[14:15], off
	v_subrev_u32_e32 v8, 18, v6
	v_lshl_add_u64 v[14:15], v[8:9], 2, s[8:9]
	v_add_u32_e32 v8, -14, v6
	v_mov_b32_e32 v19, v9
	v_lshl_add_u64 v[22:23], v[8:9], 2, s[8:9]
	global_load_dwordx4 v[14:17], v[14:15], off
	v_mov_b32_e32 v7, v9
	global_load_dwordx2 v[22:23], v[22:23], off
	v_lshl_add_u64 v[20:21], v[6:7], 2, s[8:9]
	v_add_u32_e32 v10, 32, v10
	v_cmp_ge_i32_e32 vcc, v10, v12
	s_or_b64 s[18:19], vcc, s[18:19]
	s_waitcnt vmcnt(2)
	v_subrev_u32_e32 v1, s16, v1
	v_mul_lo_u32 v18, v1, 10
	v_add_u32_e32 v8, 2, v18
	v_lshl_add_u64 v[24:25], v[18:19], 2, s[10:11]
	v_lshl_add_u64 v[26:27], v[8:9], 2, s[10:11]
	v_add_u32_e32 v8, -12, v6
	global_load_dwordx2 v[24:25], v[24:25], off
	v_lshl_add_u64 v[28:29], v[8:9], 2, s[8:9]
	global_load_dwordx2 v[26:27], v[26:27], off
	v_add_u32_e32 v8, -10, v6
	v_lshl_add_u64 v[30:31], v[8:9], 2, s[8:9]
	v_add_u32_e32 v8, 4, v18
	global_load_dwordx2 v[32:33], v[28:29], off
	global_load_dwordx2 v[34:35], v[30:31], off
	v_lshl_add_u64 v[28:29], v[8:9], 2, s[10:11]
	v_add_u32_e32 v8, -8, v6
	v_lshl_add_u64 v[30:31], v[8:9], 2, s[8:9]
	v_add_u32_e32 v8, -6, v6
	global_load_dwordx2 v[28:29], v[28:29], off
	v_lshl_add_u64 v[36:37], v[8:9], 2, s[8:9]
	v_add_u32_e32 v8, 6, v18
	global_load_dwordx2 v[38:39], v[30:31], off
	global_load_dwordx2 v[40:41], v[36:37], off
	v_lshl_add_u64 v[30:31], v[8:9], 2, s[10:11]
	v_add_u32_e32 v8, -4, v6
	global_load_dwordx2 v[30:31], v[30:31], off
	v_lshl_add_u64 v[36:37], v[8:9], 2, s[8:9]
	v_add_u32_e32 v8, -2, v6
	v_lshl_add_u64 v[42:43], v[8:9], 2, s[8:9]
	v_add_u32_e32 v8, 8, v18
	global_load_dwordx2 v[18:19], v[36:37], off
	global_load_dwordx2 v[44:45], v[42:43], off
	v_lshl_add_u64 v[36:37], v[8:9], 2, s[10:11]
	global_load_dwordx2 v[42:43], v[36:37], off
	global_load_dwordx2 v[46:47], v[20:21], off
	v_add_u32_e32 v6, 0x280, v6
	s_waitcnt vmcnt(11)
	v_pk_fma_f32 v[4:5], v[14:15], v[24:25], v[4:5] op_sel_hi:[1,0,1]
	s_nop 0
	v_pk_fma_f32 v[4:5], v[16:17], v[24:25], v[4:5] op_sel:[0,1,0]
	s_waitcnt vmcnt(10)
	v_pk_fma_f32 v[4:5], v[22:23], v[26:27], v[4:5] op_sel_hi:[1,0,1]
	s_waitcnt vmcnt(9)
	v_pk_fma_f32 v[4:5], v[32:33], v[26:27], v[4:5] op_sel:[0,1,0]
	s_waitcnt vmcnt(7)
	v_pk_fma_f32 v[4:5], v[34:35], v[28:29], v[4:5] op_sel_hi:[1,0,1]
	s_waitcnt vmcnt(6)
	;; [unrolled: 4-line block ×4, first 2 shown]
	v_pk_fma_f32 v[4:5], v[46:47], v[42:43], v[4:5] op_sel:[0,1,0]
	s_andn2_b64 exec, exec, s[18:19]
	s_cbranch_execnz .LBB43_9
; %bb.10:
	s_or_b64 exec, exec, s[18:19]
.LBB43_11:
	s_or_b64 exec, exec, s[4:5]
	s_cbranch_execz .LBB43_13
	s_branch .LBB43_18
.LBB43_12:
                                        ; implicit-def: $vgpr5
.LBB43_13:
	v_mov_b32_e32 v5, 0
	v_mov_b32_e32 v4, v5
	s_and_saveexec_b64 s[4:5], s[2:3]
	s_cbranch_execz .LBB43_17
; %bb.14:
	v_mad_u64_u32 v[6:7], s[2:3], v0, 20, 19
	v_mov_b32_e32 v9, 0
	s_mov_b64 s[2:3], 0
	v_mov_b32_e32 v4, v9
	v_mov_b32_e32 v5, v9
.LBB43_15:                              ; =>This Inner Loop Header: Depth=1
	v_ashrrev_i32_e32 v1, 31, v0
	v_lshl_add_u64 v[10:11], v[0:1], 2, s[6:7]
	global_load_dword v1, v[10:11], off
	v_subrev_u32_e32 v8, 19, v6
	v_add_u32_e32 v10, -9, v6
	v_mov_b32_e32 v11, v9
	v_lshl_add_u64 v[14:15], v[8:9], 2, s[8:9]
	v_add_u32_e32 v8, -8, v6
	v_lshl_add_u64 v[10:11], v[10:11], 2, s[8:9]
	v_lshl_add_u64 v[22:23], v[8:9], 2, s[8:9]
	global_load_dwordx4 v[14:17], v[14:15], off
	s_nop 0
	global_load_dword v25, v[10:11], off
	global_load_dword v27, v[22:23], off
	v_mov_b32_e32 v19, v9
	v_mov_b32_e32 v7, v9
	v_lshl_add_u64 v[20:21], v[6:7], 2, s[8:9]
	v_add_u32_e32 v0, 32, v0
	v_cmp_ge_i32_e32 vcc, v0, v12
	s_or_b64 s[2:3], vcc, s[2:3]
	s_waitcnt vmcnt(3)
	v_subrev_u32_e32 v1, s16, v1
	v_mul_lo_u32 v18, v1, 10
	v_add_u32_e32 v8, 2, v18
	v_lshl_add_u64 v[22:23], v[8:9], 2, s[10:11]
	v_add_u32_e32 v8, -7, v6
	v_lshl_add_u64 v[28:29], v[8:9], 2, s[8:9]
	v_add_u32_e32 v8, -6, v6
	;; [unrolled: 2-line block ×3, first 2 shown]
	v_lshl_add_u64 v[10:11], v[18:19], 2, s[10:11]
	global_load_dword v19, v[28:29], off
	v_lshl_add_u64 v[28:29], v[8:9], 2, s[8:9]
	v_add_u32_e32 v8, 4, v18
	global_load_dwordx2 v[10:11], v[10:11], off
	s_waitcnt vmcnt(4)
	v_mov_b32_e32 v24, v14
	global_load_dwordx2 v[22:23], v[22:23], off
	s_nop 0
	global_load_dword v33, v[30:31], off
	global_load_dword v34, v[28:29], off
	v_lshl_add_u64 v[28:29], v[8:9], 2, s[10:11]
	v_add_u32_e32 v8, -5, v6
	v_lshl_add_u64 v[30:31], v[8:9], 2, s[8:9]
	v_add_u32_e32 v8, -14, v6
	;; [unrolled: 2-line block ×3, first 2 shown]
	global_load_dword v35, v[30:31], off
	v_mov_b32_e32 v26, v15
	global_load_dword v36, v[36:37], off
	v_lshl_add_u64 v[30:31], v[8:9], 2, s[8:9]
	v_add_u32_e32 v8, -13, v6
	v_lshl_add_u64 v[38:39], v[8:9], 2, s[8:9]
	v_add_u32_e32 v8, 6, v18
	global_load_dwordx2 v[28:29], v[28:29], off
	s_nop 0
	global_load_dword v37, v[30:31], off
	global_load_dword v40, v[38:39], off
	v_lshl_add_u64 v[30:31], v[8:9], 2, s[10:11]
	v_add_u32_e32 v8, -3, v6
	v_lshl_add_u64 v[38:39], v[8:9], 2, s[8:9]
	v_add_u32_e32 v8, -12, v6
	;; [unrolled: 2-line block ×3, first 2 shown]
	global_load_dword v41, v[38:39], off
	v_mov_b32_e32 v32, v17
	global_load_dword v42, v[42:43], off
	v_lshl_add_u64 v[38:39], v[8:9], 2, s[8:9]
	v_add_u32_e32 v8, -11, v6
	global_load_dwordx2 v[30:31], v[30:31], off
	v_lshl_add_u64 v[44:45], v[8:9], 2, s[8:9]
	v_add_u32_e32 v8, 8, v18
	global_load_dword v43, v[38:39], off
	global_load_dword v46, v[44:45], off
	v_lshl_add_u64 v[38:39], v[8:9], 2, s[10:11]
	v_add_u32_e32 v8, -1, v6
	global_load_dwordx2 v[38:39], v[38:39], off
	v_lshl_add_u64 v[44:45], v[8:9], 2, s[8:9]
	v_add_u32_e32 v8, -10, v6
	v_lshl_add_u64 v[48:49], v[8:9], 2, s[8:9]
	global_load_dword v47, v[44:45], off
	global_load_dword v50, v[48:49], off
	;; [unrolled: 1-line block ×3, first 2 shown]
	v_mov_b32_e32 v18, v16
	v_add_u32_e32 v6, 0x280, v6
	s_waitcnt vmcnt(17)
	v_pk_fma_f32 v[4:5], v[24:25], v[10:11], v[4:5] op_sel_hi:[1,0,1]
	s_nop 0
	v_pk_fma_f32 v[4:5], v[26:27], v[10:11], v[4:5] op_sel:[0,1,0]
	s_waitcnt vmcnt(16)
	v_pk_fma_f32 v[4:5], v[18:19], v[22:23], v[4:5] op_sel_hi:[1,0,1]
	s_waitcnt vmcnt(15)
	v_pk_fma_f32 v[4:5], v[32:33], v[22:23], v[4:5] op_sel:[0,1,0]
	s_waitcnt vmcnt(11)
	v_pk_fma_f32 v[4:5], v[34:35], v[28:29], v[4:5] op_sel_hi:[1,0,1]
	s_waitcnt vmcnt(10)
	;; [unrolled: 4-line block ×4, first 2 shown]
	v_pk_fma_f32 v[4:5], v[50:51], v[38:39], v[4:5] op_sel:[0,1,0]
	s_andn2_b64 exec, exec, s[2:3]
	s_cbranch_execnz .LBB43_15
; %bb.16:
	s_or_b64 exec, exec, s[2:3]
.LBB43_17:
	s_or_b64 exec, exec, s[4:5]
.LBB43_18:
	v_mov_b32_dpp v0, v4 row_shr:1 row_mask:0xf bank_mask:0xf
	v_mov_b32_dpp v1, v5 row_shr:1 row_mask:0xf bank_mask:0xf
	v_pk_add_f32 v[0:1], v[4:5], v[0:1]
	v_cmp_eq_u32_e32 vcc, 31, v3
	s_nop 0
	v_mov_b32_dpp v4, v0 row_shr:2 row_mask:0xf bank_mask:0xf
	v_mov_b32_dpp v5, v1 row_shr:2 row_mask:0xf bank_mask:0xf
	v_pk_add_f32 v[0:1], v[0:1], v[4:5]
	s_nop 1
	v_mov_b32_dpp v4, v0 row_shr:4 row_mask:0xf bank_mask:0xe
	v_mov_b32_dpp v5, v1 row_shr:4 row_mask:0xf bank_mask:0xe
	v_pk_add_f32 v[0:1], v[0:1], v[4:5]
	;; [unrolled: 4-line block ×3, first 2 shown]
	s_nop 1
	v_mov_b32_dpp v4, v0 row_bcast:15 row_mask:0xa bank_mask:0xf
	v_mov_b32_dpp v5, v1 row_bcast:15 row_mask:0xa bank_mask:0xf
	s_and_b64 exec, exec, vcc
	s_cbranch_execz .LBB43_22
; %bb.19:
	s_load_dwordx2 s[0:1], s[0:1], 0x38
	v_cmp_eq_f32_e64 s[2:3], s12, 0
	v_pk_add_f32 v[0:1], v[0:1], v[4:5]
	s_and_b64 vcc, exec, s[2:3]
	v_lshlrev_b32_e32 v2, 1, v2
	s_cbranch_vccz .LBB43_23
; %bb.20:
	v_ashrrev_i32_e32 v3, 31, v2
	s_waitcnt lgkmcnt(0)
	v_lshl_add_u64 v[4:5], v[2:3], 2, s[0:1]
	v_pk_mul_f32 v[6:7], s[14:15], v[0:1] op_sel_hi:[0,1]
	global_store_dwordx2 v[4:5], v[6:7], off
	s_cbranch_execnz .LBB43_22
.LBB43_21:
	v_ashrrev_i32_e32 v3, 31, v2
	s_waitcnt lgkmcnt(0)
	v_lshl_add_u64 v[2:3], v[2:3], 2, s[0:1]
	global_load_dwordx2 v[4:5], v[2:3], off
	v_pk_mul_f32 v[0:1], s[14:15], v[0:1] op_sel_hi:[0,1]
	s_waitcnt vmcnt(0)
	v_pk_fma_f32 v[0:1], s[12:13], v[4:5], v[0:1] op_sel_hi:[0,1,1]
	global_store_dwordx2 v[2:3], v[0:1], off
.LBB43_22:
	s_endpgm
.LBB43_23:
	s_branch .LBB43_21
	.section	.rodata,"a",@progbits
	.p2align	6, 0x0
	.amdhsa_kernel _ZN9rocsparseL19gebsrmvn_2xn_kernelILj128ELj10ELj32EfEEvi20rocsparse_direction_NS_24const_host_device_scalarIT2_EEPKiS6_PKS3_S8_S4_PS3_21rocsparse_index_base_b
		.amdhsa_group_segment_fixed_size 0
		.amdhsa_private_segment_fixed_size 0
		.amdhsa_kernarg_size 72
		.amdhsa_user_sgpr_count 2
		.amdhsa_user_sgpr_dispatch_ptr 0
		.amdhsa_user_sgpr_queue_ptr 0
		.amdhsa_user_sgpr_kernarg_segment_ptr 1
		.amdhsa_user_sgpr_dispatch_id 0
		.amdhsa_user_sgpr_kernarg_preload_length 0
		.amdhsa_user_sgpr_kernarg_preload_offset 0
		.amdhsa_user_sgpr_private_segment_size 0
		.amdhsa_uses_dynamic_stack 0
		.amdhsa_enable_private_segment 0
		.amdhsa_system_sgpr_workgroup_id_x 1
		.amdhsa_system_sgpr_workgroup_id_y 0
		.amdhsa_system_sgpr_workgroup_id_z 0
		.amdhsa_system_sgpr_workgroup_info 0
		.amdhsa_system_vgpr_workitem_id 0
		.amdhsa_next_free_vgpr 52
		.amdhsa_next_free_sgpr 20
		.amdhsa_accum_offset 52
		.amdhsa_reserve_vcc 1
		.amdhsa_float_round_mode_32 0
		.amdhsa_float_round_mode_16_64 0
		.amdhsa_float_denorm_mode_32 3
		.amdhsa_float_denorm_mode_16_64 3
		.amdhsa_dx10_clamp 1
		.amdhsa_ieee_mode 1
		.amdhsa_fp16_overflow 0
		.amdhsa_tg_split 0
		.amdhsa_exception_fp_ieee_invalid_op 0
		.amdhsa_exception_fp_denorm_src 0
		.amdhsa_exception_fp_ieee_div_zero 0
		.amdhsa_exception_fp_ieee_overflow 0
		.amdhsa_exception_fp_ieee_underflow 0
		.amdhsa_exception_fp_ieee_inexact 0
		.amdhsa_exception_int_div_zero 0
	.end_amdhsa_kernel
	.section	.text._ZN9rocsparseL19gebsrmvn_2xn_kernelILj128ELj10ELj32EfEEvi20rocsparse_direction_NS_24const_host_device_scalarIT2_EEPKiS6_PKS3_S8_S4_PS3_21rocsparse_index_base_b,"axG",@progbits,_ZN9rocsparseL19gebsrmvn_2xn_kernelILj128ELj10ELj32EfEEvi20rocsparse_direction_NS_24const_host_device_scalarIT2_EEPKiS6_PKS3_S8_S4_PS3_21rocsparse_index_base_b,comdat
.Lfunc_end43:
	.size	_ZN9rocsparseL19gebsrmvn_2xn_kernelILj128ELj10ELj32EfEEvi20rocsparse_direction_NS_24const_host_device_scalarIT2_EEPKiS6_PKS3_S8_S4_PS3_21rocsparse_index_base_b, .Lfunc_end43-_ZN9rocsparseL19gebsrmvn_2xn_kernelILj128ELj10ELj32EfEEvi20rocsparse_direction_NS_24const_host_device_scalarIT2_EEPKiS6_PKS3_S8_S4_PS3_21rocsparse_index_base_b
                                        ; -- End function
	.section	.AMDGPU.csdata,"",@progbits
; Kernel info:
; codeLenInByte = 1712
; NumSgprs: 26
; NumVgprs: 52
; NumAgprs: 0
; TotalNumVgprs: 52
; ScratchSize: 0
; MemoryBound: 0
; FloatMode: 240
; IeeeMode: 1
; LDSByteSize: 0 bytes/workgroup (compile time only)
; SGPRBlocks: 3
; VGPRBlocks: 6
; NumSGPRsForWavesPerEU: 26
; NumVGPRsForWavesPerEU: 52
; AccumOffset: 52
; Occupancy: 8
; WaveLimiterHint : 1
; COMPUTE_PGM_RSRC2:SCRATCH_EN: 0
; COMPUTE_PGM_RSRC2:USER_SGPR: 2
; COMPUTE_PGM_RSRC2:TRAP_HANDLER: 0
; COMPUTE_PGM_RSRC2:TGID_X_EN: 1
; COMPUTE_PGM_RSRC2:TGID_Y_EN: 0
; COMPUTE_PGM_RSRC2:TGID_Z_EN: 0
; COMPUTE_PGM_RSRC2:TIDIG_COMP_CNT: 0
; COMPUTE_PGM_RSRC3_GFX90A:ACCUM_OFFSET: 12
; COMPUTE_PGM_RSRC3_GFX90A:TG_SPLIT: 0
	.section	.text._ZN9rocsparseL19gebsrmvn_2xn_kernelILj128ELj10ELj64EfEEvi20rocsparse_direction_NS_24const_host_device_scalarIT2_EEPKiS6_PKS3_S8_S4_PS3_21rocsparse_index_base_b,"axG",@progbits,_ZN9rocsparseL19gebsrmvn_2xn_kernelILj128ELj10ELj64EfEEvi20rocsparse_direction_NS_24const_host_device_scalarIT2_EEPKiS6_PKS3_S8_S4_PS3_21rocsparse_index_base_b,comdat
	.globl	_ZN9rocsparseL19gebsrmvn_2xn_kernelILj128ELj10ELj64EfEEvi20rocsparse_direction_NS_24const_host_device_scalarIT2_EEPKiS6_PKS3_S8_S4_PS3_21rocsparse_index_base_b ; -- Begin function _ZN9rocsparseL19gebsrmvn_2xn_kernelILj128ELj10ELj64EfEEvi20rocsparse_direction_NS_24const_host_device_scalarIT2_EEPKiS6_PKS3_S8_S4_PS3_21rocsparse_index_base_b
	.p2align	8
	.type	_ZN9rocsparseL19gebsrmvn_2xn_kernelILj128ELj10ELj64EfEEvi20rocsparse_direction_NS_24const_host_device_scalarIT2_EEPKiS6_PKS3_S8_S4_PS3_21rocsparse_index_base_b,@function
_ZN9rocsparseL19gebsrmvn_2xn_kernelILj128ELj10ELj64EfEEvi20rocsparse_direction_NS_24const_host_device_scalarIT2_EEPKiS6_PKS3_S8_S4_PS3_21rocsparse_index_base_b: ; @_ZN9rocsparseL19gebsrmvn_2xn_kernelILj128ELj10ELj64EfEEvi20rocsparse_direction_NS_24const_host_device_scalarIT2_EEPKiS6_PKS3_S8_S4_PS3_21rocsparse_index_base_b
; %bb.0:
	s_load_dwordx2 s[16:17], s[0:1], 0x40
	s_load_dwordx2 s[14:15], s[0:1], 0x8
	;; [unrolled: 1-line block ×3, first 2 shown]
	s_waitcnt lgkmcnt(0)
	s_bitcmp1_b32 s17, 0
	s_cselect_b64 s[6:7], -1, 0
	s_xor_b64 s[4:5], s[6:7], -1
	s_and_b64 vcc, exec, s[6:7]
	s_cbranch_vccnz .LBB44_2
; %bb.1:
	s_load_dword s14, s[14:15], 0x0
.LBB44_2:
	s_andn2_b64 vcc, exec, s[4:5]
	s_cbranch_vccnz .LBB44_4
; %bb.3:
	s_load_dword s12, s[12:13], 0x0
.LBB44_4:
	s_waitcnt lgkmcnt(0)
	v_cmp_eq_f32_e64 s[4:5], s14, 0
	v_cmp_eq_f32_e64 s[6:7], s12, 1.0
	s_and_b64 s[4:5], s[4:5], s[6:7]
	s_and_b64 vcc, exec, s[4:5]
	s_cbranch_vccnz .LBB44_22
; %bb.5:
	s_load_dwordx2 s[18:19], s[0:1], 0x0
	v_lshrrev_b32_e32 v1, 6, v0
	v_lshl_or_b32 v2, s2, 1, v1
	s_waitcnt lgkmcnt(0)
	v_cmp_gt_i32_e32 vcc, s18, v2
	s_and_saveexec_b64 s[2:3], vcc
	s_cbranch_execz .LBB44_22
; %bb.6:
	s_load_dwordx8 s[4:11], s[0:1], 0x10
	v_ashrrev_i32_e32 v3, 31, v2
	s_cmp_lg_u32 s19, 0
	s_waitcnt lgkmcnt(0)
	v_lshl_add_u64 v[4:5], v[2:3], 2, s[4:5]
	global_load_dwordx2 v[4:5], v[4:5], off
	v_and_b32_e32 v3, 63, v0
	s_waitcnt vmcnt(0)
	v_subrev_u32_e32 v0, s16, v4
	v_subrev_u32_e32 v12, s16, v5
	v_add_u32_e32 v0, v0, v3
	v_cmp_lt_i32_e64 s[2:3], v0, v12
	s_cbranch_scc0 .LBB44_12
; %bb.7:
	v_mov_b32_e32 v5, 0
	v_mov_b32_e32 v4, v5
	s_and_saveexec_b64 s[4:5], s[2:3]
	s_cbranch_execz .LBB44_11
; %bb.8:
	v_mad_u64_u32 v[6:7], s[18:19], v0, 20, 18
	v_mov_b32_e32 v9, 0
	s_mov_b64 s[18:19], 0
	v_mov_b32_e32 v10, v0
	v_mov_b32_e32 v4, v9
	;; [unrolled: 1-line block ×3, first 2 shown]
.LBB44_9:                               ; =>This Inner Loop Header: Depth=1
	v_ashrrev_i32_e32 v11, 31, v10
	v_lshl_add_u64 v[14:15], v[10:11], 2, s[6:7]
	global_load_dword v1, v[14:15], off
	v_subrev_u32_e32 v8, 18, v6
	v_lshl_add_u64 v[14:15], v[8:9], 2, s[8:9]
	v_add_u32_e32 v8, -14, v6
	v_mov_b32_e32 v19, v9
	v_lshl_add_u64 v[22:23], v[8:9], 2, s[8:9]
	global_load_dwordx4 v[14:17], v[14:15], off
	v_mov_b32_e32 v7, v9
	global_load_dwordx2 v[22:23], v[22:23], off
	v_lshl_add_u64 v[20:21], v[6:7], 2, s[8:9]
	v_add_u32_e32 v10, 64, v10
	v_cmp_ge_i32_e32 vcc, v10, v12
	s_or_b64 s[18:19], vcc, s[18:19]
	s_waitcnt vmcnt(2)
	v_subrev_u32_e32 v1, s16, v1
	v_mul_lo_u32 v18, v1, 10
	v_add_u32_e32 v8, 2, v18
	v_lshl_add_u64 v[24:25], v[18:19], 2, s[10:11]
	v_lshl_add_u64 v[26:27], v[8:9], 2, s[10:11]
	v_add_u32_e32 v8, -12, v6
	global_load_dwordx2 v[24:25], v[24:25], off
	v_lshl_add_u64 v[28:29], v[8:9], 2, s[8:9]
	global_load_dwordx2 v[26:27], v[26:27], off
	v_add_u32_e32 v8, -10, v6
	v_lshl_add_u64 v[30:31], v[8:9], 2, s[8:9]
	v_add_u32_e32 v8, 4, v18
	global_load_dwordx2 v[32:33], v[28:29], off
	global_load_dwordx2 v[34:35], v[30:31], off
	v_lshl_add_u64 v[28:29], v[8:9], 2, s[10:11]
	v_add_u32_e32 v8, -8, v6
	v_lshl_add_u64 v[30:31], v[8:9], 2, s[8:9]
	v_add_u32_e32 v8, -6, v6
	global_load_dwordx2 v[28:29], v[28:29], off
	v_lshl_add_u64 v[36:37], v[8:9], 2, s[8:9]
	v_add_u32_e32 v8, 6, v18
	global_load_dwordx2 v[38:39], v[30:31], off
	global_load_dwordx2 v[40:41], v[36:37], off
	v_lshl_add_u64 v[30:31], v[8:9], 2, s[10:11]
	v_add_u32_e32 v8, -4, v6
	global_load_dwordx2 v[30:31], v[30:31], off
	v_lshl_add_u64 v[36:37], v[8:9], 2, s[8:9]
	v_add_u32_e32 v8, -2, v6
	v_lshl_add_u64 v[42:43], v[8:9], 2, s[8:9]
	v_add_u32_e32 v8, 8, v18
	global_load_dwordx2 v[18:19], v[36:37], off
	global_load_dwordx2 v[44:45], v[42:43], off
	v_lshl_add_u64 v[36:37], v[8:9], 2, s[10:11]
	global_load_dwordx2 v[42:43], v[36:37], off
	global_load_dwordx2 v[46:47], v[20:21], off
	v_add_u32_e32 v6, 0x500, v6
	s_waitcnt vmcnt(11)
	v_pk_fma_f32 v[4:5], v[14:15], v[24:25], v[4:5] op_sel_hi:[1,0,1]
	s_nop 0
	v_pk_fma_f32 v[4:5], v[16:17], v[24:25], v[4:5] op_sel:[0,1,0]
	s_waitcnt vmcnt(10)
	v_pk_fma_f32 v[4:5], v[22:23], v[26:27], v[4:5] op_sel_hi:[1,0,1]
	s_waitcnt vmcnt(9)
	v_pk_fma_f32 v[4:5], v[32:33], v[26:27], v[4:5] op_sel:[0,1,0]
	s_waitcnt vmcnt(7)
	v_pk_fma_f32 v[4:5], v[34:35], v[28:29], v[4:5] op_sel_hi:[1,0,1]
	s_waitcnt vmcnt(6)
	;; [unrolled: 4-line block ×4, first 2 shown]
	v_pk_fma_f32 v[4:5], v[46:47], v[42:43], v[4:5] op_sel:[0,1,0]
	s_andn2_b64 exec, exec, s[18:19]
	s_cbranch_execnz .LBB44_9
; %bb.10:
	s_or_b64 exec, exec, s[18:19]
.LBB44_11:
	s_or_b64 exec, exec, s[4:5]
	s_cbranch_execz .LBB44_13
	s_branch .LBB44_18
.LBB44_12:
                                        ; implicit-def: $vgpr5
.LBB44_13:
	v_mov_b32_e32 v5, 0
	v_mov_b32_e32 v4, v5
	s_and_saveexec_b64 s[4:5], s[2:3]
	s_cbranch_execz .LBB44_17
; %bb.14:
	v_mad_u64_u32 v[6:7], s[2:3], v0, 20, 19
	v_mov_b32_e32 v9, 0
	s_mov_b64 s[2:3], 0
	v_mov_b32_e32 v4, v9
	v_mov_b32_e32 v5, v9
.LBB44_15:                              ; =>This Inner Loop Header: Depth=1
	v_ashrrev_i32_e32 v1, 31, v0
	v_lshl_add_u64 v[10:11], v[0:1], 2, s[6:7]
	global_load_dword v1, v[10:11], off
	v_subrev_u32_e32 v8, 19, v6
	v_add_u32_e32 v10, -9, v6
	v_mov_b32_e32 v11, v9
	v_lshl_add_u64 v[14:15], v[8:9], 2, s[8:9]
	v_add_u32_e32 v8, -8, v6
	v_lshl_add_u64 v[10:11], v[10:11], 2, s[8:9]
	v_lshl_add_u64 v[22:23], v[8:9], 2, s[8:9]
	global_load_dwordx4 v[14:17], v[14:15], off
	s_nop 0
	global_load_dword v25, v[10:11], off
	global_load_dword v27, v[22:23], off
	v_mov_b32_e32 v19, v9
	v_mov_b32_e32 v7, v9
	v_lshl_add_u64 v[20:21], v[6:7], 2, s[8:9]
	v_add_u32_e32 v0, 64, v0
	v_cmp_ge_i32_e32 vcc, v0, v12
	s_or_b64 s[2:3], vcc, s[2:3]
	s_waitcnt vmcnt(3)
	v_subrev_u32_e32 v1, s16, v1
	v_mul_lo_u32 v18, v1, 10
	v_add_u32_e32 v8, 2, v18
	v_lshl_add_u64 v[22:23], v[8:9], 2, s[10:11]
	v_add_u32_e32 v8, -7, v6
	v_lshl_add_u64 v[28:29], v[8:9], 2, s[8:9]
	v_add_u32_e32 v8, -6, v6
	;; [unrolled: 2-line block ×3, first 2 shown]
	v_lshl_add_u64 v[10:11], v[18:19], 2, s[10:11]
	global_load_dword v19, v[28:29], off
	v_lshl_add_u64 v[28:29], v[8:9], 2, s[8:9]
	v_add_u32_e32 v8, 4, v18
	global_load_dwordx2 v[10:11], v[10:11], off
	s_waitcnt vmcnt(4)
	v_mov_b32_e32 v24, v14
	global_load_dwordx2 v[22:23], v[22:23], off
	s_nop 0
	global_load_dword v33, v[30:31], off
	global_load_dword v34, v[28:29], off
	v_lshl_add_u64 v[28:29], v[8:9], 2, s[10:11]
	v_add_u32_e32 v8, -5, v6
	v_lshl_add_u64 v[30:31], v[8:9], 2, s[8:9]
	v_add_u32_e32 v8, -14, v6
	;; [unrolled: 2-line block ×3, first 2 shown]
	global_load_dword v35, v[30:31], off
	v_mov_b32_e32 v26, v15
	global_load_dword v36, v[36:37], off
	v_lshl_add_u64 v[30:31], v[8:9], 2, s[8:9]
	v_add_u32_e32 v8, -13, v6
	v_lshl_add_u64 v[38:39], v[8:9], 2, s[8:9]
	v_add_u32_e32 v8, 6, v18
	global_load_dwordx2 v[28:29], v[28:29], off
	s_nop 0
	global_load_dword v37, v[30:31], off
	global_load_dword v40, v[38:39], off
	v_lshl_add_u64 v[30:31], v[8:9], 2, s[10:11]
	v_add_u32_e32 v8, -3, v6
	v_lshl_add_u64 v[38:39], v[8:9], 2, s[8:9]
	v_add_u32_e32 v8, -12, v6
	;; [unrolled: 2-line block ×3, first 2 shown]
	global_load_dword v41, v[38:39], off
	v_mov_b32_e32 v32, v17
	global_load_dword v42, v[42:43], off
	v_lshl_add_u64 v[38:39], v[8:9], 2, s[8:9]
	v_add_u32_e32 v8, -11, v6
	global_load_dwordx2 v[30:31], v[30:31], off
	v_lshl_add_u64 v[44:45], v[8:9], 2, s[8:9]
	v_add_u32_e32 v8, 8, v18
	global_load_dword v43, v[38:39], off
	global_load_dword v46, v[44:45], off
	v_lshl_add_u64 v[38:39], v[8:9], 2, s[10:11]
	v_add_u32_e32 v8, -1, v6
	global_load_dwordx2 v[38:39], v[38:39], off
	v_lshl_add_u64 v[44:45], v[8:9], 2, s[8:9]
	v_add_u32_e32 v8, -10, v6
	v_lshl_add_u64 v[48:49], v[8:9], 2, s[8:9]
	global_load_dword v47, v[44:45], off
	global_load_dword v50, v[48:49], off
	;; [unrolled: 1-line block ×3, first 2 shown]
	v_mov_b32_e32 v18, v16
	v_add_u32_e32 v6, 0x500, v6
	s_waitcnt vmcnt(17)
	v_pk_fma_f32 v[4:5], v[24:25], v[10:11], v[4:5] op_sel_hi:[1,0,1]
	s_nop 0
	v_pk_fma_f32 v[4:5], v[26:27], v[10:11], v[4:5] op_sel:[0,1,0]
	s_waitcnt vmcnt(16)
	v_pk_fma_f32 v[4:5], v[18:19], v[22:23], v[4:5] op_sel_hi:[1,0,1]
	s_waitcnt vmcnt(15)
	v_pk_fma_f32 v[4:5], v[32:33], v[22:23], v[4:5] op_sel:[0,1,0]
	s_waitcnt vmcnt(11)
	v_pk_fma_f32 v[4:5], v[34:35], v[28:29], v[4:5] op_sel_hi:[1,0,1]
	s_waitcnt vmcnt(10)
	;; [unrolled: 4-line block ×4, first 2 shown]
	v_pk_fma_f32 v[4:5], v[50:51], v[38:39], v[4:5] op_sel:[0,1,0]
	s_andn2_b64 exec, exec, s[2:3]
	s_cbranch_execnz .LBB44_15
; %bb.16:
	s_or_b64 exec, exec, s[2:3]
.LBB44_17:
	s_or_b64 exec, exec, s[4:5]
.LBB44_18:
	v_mov_b32_dpp v0, v4 row_shr:1 row_mask:0xf bank_mask:0xf
	v_mov_b32_dpp v1, v5 row_shr:1 row_mask:0xf bank_mask:0xf
	v_pk_add_f32 v[0:1], v[4:5], v[0:1]
	v_cmp_eq_u32_e32 vcc, 63, v3
	s_nop 0
	v_mov_b32_dpp v4, v0 row_shr:2 row_mask:0xf bank_mask:0xf
	v_mov_b32_dpp v5, v1 row_shr:2 row_mask:0xf bank_mask:0xf
	v_pk_add_f32 v[0:1], v[0:1], v[4:5]
	s_nop 1
	v_mov_b32_dpp v4, v0 row_shr:4 row_mask:0xf bank_mask:0xe
	v_mov_b32_dpp v5, v1 row_shr:4 row_mask:0xf bank_mask:0xe
	v_pk_add_f32 v[0:1], v[0:1], v[4:5]
	;; [unrolled: 4-line block ×3, first 2 shown]
	s_nop 1
	v_mov_b32_dpp v4, v0 row_bcast:15 row_mask:0xa bank_mask:0xf
	v_mov_b32_dpp v5, v1 row_bcast:15 row_mask:0xa bank_mask:0xf
	v_pk_add_f32 v[0:1], v[0:1], v[4:5]
	s_nop 1
	v_mov_b32_dpp v4, v0 row_bcast:31 row_mask:0xc bank_mask:0xf
	v_mov_b32_dpp v5, v1 row_bcast:31 row_mask:0xc bank_mask:0xf
	s_and_b64 exec, exec, vcc
	s_cbranch_execz .LBB44_22
; %bb.19:
	s_load_dwordx2 s[0:1], s[0:1], 0x38
	v_cmp_eq_f32_e64 s[2:3], s12, 0
	v_pk_add_f32 v[0:1], v[0:1], v[4:5]
	s_and_b64 vcc, exec, s[2:3]
	v_lshlrev_b32_e32 v2, 1, v2
	s_cbranch_vccz .LBB44_23
; %bb.20:
	v_ashrrev_i32_e32 v3, 31, v2
	s_waitcnt lgkmcnt(0)
	v_lshl_add_u64 v[4:5], v[2:3], 2, s[0:1]
	v_pk_mul_f32 v[6:7], s[14:15], v[0:1] op_sel_hi:[0,1]
	global_store_dwordx2 v[4:5], v[6:7], off
	s_cbranch_execnz .LBB44_22
.LBB44_21:
	v_ashrrev_i32_e32 v3, 31, v2
	s_waitcnt lgkmcnt(0)
	v_lshl_add_u64 v[2:3], v[2:3], 2, s[0:1]
	global_load_dwordx2 v[4:5], v[2:3], off
	v_pk_mul_f32 v[0:1], s[14:15], v[0:1] op_sel_hi:[0,1]
	s_waitcnt vmcnt(0)
	v_pk_fma_f32 v[0:1], s[12:13], v[4:5], v[0:1] op_sel_hi:[0,1,1]
	global_store_dwordx2 v[2:3], v[0:1], off
.LBB44_22:
	s_endpgm
.LBB44_23:
	s_branch .LBB44_21
	.section	.rodata,"a",@progbits
	.p2align	6, 0x0
	.amdhsa_kernel _ZN9rocsparseL19gebsrmvn_2xn_kernelILj128ELj10ELj64EfEEvi20rocsparse_direction_NS_24const_host_device_scalarIT2_EEPKiS6_PKS3_S8_S4_PS3_21rocsparse_index_base_b
		.amdhsa_group_segment_fixed_size 0
		.amdhsa_private_segment_fixed_size 0
		.amdhsa_kernarg_size 72
		.amdhsa_user_sgpr_count 2
		.amdhsa_user_sgpr_dispatch_ptr 0
		.amdhsa_user_sgpr_queue_ptr 0
		.amdhsa_user_sgpr_kernarg_segment_ptr 1
		.amdhsa_user_sgpr_dispatch_id 0
		.amdhsa_user_sgpr_kernarg_preload_length 0
		.amdhsa_user_sgpr_kernarg_preload_offset 0
		.amdhsa_user_sgpr_private_segment_size 0
		.amdhsa_uses_dynamic_stack 0
		.amdhsa_enable_private_segment 0
		.amdhsa_system_sgpr_workgroup_id_x 1
		.amdhsa_system_sgpr_workgroup_id_y 0
		.amdhsa_system_sgpr_workgroup_id_z 0
		.amdhsa_system_sgpr_workgroup_info 0
		.amdhsa_system_vgpr_workitem_id 0
		.amdhsa_next_free_vgpr 52
		.amdhsa_next_free_sgpr 20
		.amdhsa_accum_offset 52
		.amdhsa_reserve_vcc 1
		.amdhsa_float_round_mode_32 0
		.amdhsa_float_round_mode_16_64 0
		.amdhsa_float_denorm_mode_32 3
		.amdhsa_float_denorm_mode_16_64 3
		.amdhsa_dx10_clamp 1
		.amdhsa_ieee_mode 1
		.amdhsa_fp16_overflow 0
		.amdhsa_tg_split 0
		.amdhsa_exception_fp_ieee_invalid_op 0
		.amdhsa_exception_fp_denorm_src 0
		.amdhsa_exception_fp_ieee_div_zero 0
		.amdhsa_exception_fp_ieee_overflow 0
		.amdhsa_exception_fp_ieee_underflow 0
		.amdhsa_exception_fp_ieee_inexact 0
		.amdhsa_exception_int_div_zero 0
	.end_amdhsa_kernel
	.section	.text._ZN9rocsparseL19gebsrmvn_2xn_kernelILj128ELj10ELj64EfEEvi20rocsparse_direction_NS_24const_host_device_scalarIT2_EEPKiS6_PKS3_S8_S4_PS3_21rocsparse_index_base_b,"axG",@progbits,_ZN9rocsparseL19gebsrmvn_2xn_kernelILj128ELj10ELj64EfEEvi20rocsparse_direction_NS_24const_host_device_scalarIT2_EEPKiS6_PKS3_S8_S4_PS3_21rocsparse_index_base_b,comdat
.Lfunc_end44:
	.size	_ZN9rocsparseL19gebsrmvn_2xn_kernelILj128ELj10ELj64EfEEvi20rocsparse_direction_NS_24const_host_device_scalarIT2_EEPKiS6_PKS3_S8_S4_PS3_21rocsparse_index_base_b, .Lfunc_end44-_ZN9rocsparseL19gebsrmvn_2xn_kernelILj128ELj10ELj64EfEEvi20rocsparse_direction_NS_24const_host_device_scalarIT2_EEPKiS6_PKS3_S8_S4_PS3_21rocsparse_index_base_b
                                        ; -- End function
	.section	.AMDGPU.csdata,"",@progbits
; Kernel info:
; codeLenInByte = 1740
; NumSgprs: 26
; NumVgprs: 52
; NumAgprs: 0
; TotalNumVgprs: 52
; ScratchSize: 0
; MemoryBound: 0
; FloatMode: 240
; IeeeMode: 1
; LDSByteSize: 0 bytes/workgroup (compile time only)
; SGPRBlocks: 3
; VGPRBlocks: 6
; NumSGPRsForWavesPerEU: 26
; NumVGPRsForWavesPerEU: 52
; AccumOffset: 52
; Occupancy: 8
; WaveLimiterHint : 1
; COMPUTE_PGM_RSRC2:SCRATCH_EN: 0
; COMPUTE_PGM_RSRC2:USER_SGPR: 2
; COMPUTE_PGM_RSRC2:TRAP_HANDLER: 0
; COMPUTE_PGM_RSRC2:TGID_X_EN: 1
; COMPUTE_PGM_RSRC2:TGID_Y_EN: 0
; COMPUTE_PGM_RSRC2:TGID_Z_EN: 0
; COMPUTE_PGM_RSRC2:TIDIG_COMP_CNT: 0
; COMPUTE_PGM_RSRC3_GFX90A:ACCUM_OFFSET: 12
; COMPUTE_PGM_RSRC3_GFX90A:TG_SPLIT: 0
	.section	.text._ZN9rocsparseL19gebsrmvn_2xn_kernelILj128ELj11ELj4EfEEvi20rocsparse_direction_NS_24const_host_device_scalarIT2_EEPKiS6_PKS3_S8_S4_PS3_21rocsparse_index_base_b,"axG",@progbits,_ZN9rocsparseL19gebsrmvn_2xn_kernelILj128ELj11ELj4EfEEvi20rocsparse_direction_NS_24const_host_device_scalarIT2_EEPKiS6_PKS3_S8_S4_PS3_21rocsparse_index_base_b,comdat
	.globl	_ZN9rocsparseL19gebsrmvn_2xn_kernelILj128ELj11ELj4EfEEvi20rocsparse_direction_NS_24const_host_device_scalarIT2_EEPKiS6_PKS3_S8_S4_PS3_21rocsparse_index_base_b ; -- Begin function _ZN9rocsparseL19gebsrmvn_2xn_kernelILj128ELj11ELj4EfEEvi20rocsparse_direction_NS_24const_host_device_scalarIT2_EEPKiS6_PKS3_S8_S4_PS3_21rocsparse_index_base_b
	.p2align	8
	.type	_ZN9rocsparseL19gebsrmvn_2xn_kernelILj128ELj11ELj4EfEEvi20rocsparse_direction_NS_24const_host_device_scalarIT2_EEPKiS6_PKS3_S8_S4_PS3_21rocsparse_index_base_b,@function
_ZN9rocsparseL19gebsrmvn_2xn_kernelILj128ELj11ELj4EfEEvi20rocsparse_direction_NS_24const_host_device_scalarIT2_EEPKiS6_PKS3_S8_S4_PS3_21rocsparse_index_base_b: ; @_ZN9rocsparseL19gebsrmvn_2xn_kernelILj128ELj11ELj4EfEEvi20rocsparse_direction_NS_24const_host_device_scalarIT2_EEPKiS6_PKS3_S8_S4_PS3_21rocsparse_index_base_b
; %bb.0:
	s_load_dwordx2 s[16:17], s[0:1], 0x40
	s_load_dwordx2 s[14:15], s[0:1], 0x8
	;; [unrolled: 1-line block ×3, first 2 shown]
	s_waitcnt lgkmcnt(0)
	s_bitcmp1_b32 s17, 0
	s_cselect_b64 s[6:7], -1, 0
	s_xor_b64 s[4:5], s[6:7], -1
	s_and_b64 vcc, exec, s[6:7]
	s_cbranch_vccnz .LBB45_2
; %bb.1:
	s_load_dword s14, s[14:15], 0x0
.LBB45_2:
	s_andn2_b64 vcc, exec, s[4:5]
	s_cbranch_vccnz .LBB45_4
; %bb.3:
	s_load_dword s12, s[12:13], 0x0
.LBB45_4:
	s_waitcnt lgkmcnt(0)
	v_cmp_eq_f32_e64 s[4:5], s14, 0
	v_cmp_eq_f32_e64 s[6:7], s12, 1.0
	s_and_b64 s[4:5], s[4:5], s[6:7]
	s_and_b64 vcc, exec, s[4:5]
	s_cbranch_vccnz .LBB45_22
; %bb.5:
	s_load_dwordx2 s[18:19], s[0:1], 0x0
	v_lshrrev_b32_e32 v1, 2, v0
	v_lshl_or_b32 v2, s2, 5, v1
	s_waitcnt lgkmcnt(0)
	v_cmp_gt_i32_e32 vcc, s18, v2
	s_and_saveexec_b64 s[2:3], vcc
	s_cbranch_execz .LBB45_22
; %bb.6:
	s_load_dwordx8 s[4:11], s[0:1], 0x10
	v_ashrrev_i32_e32 v3, 31, v2
	s_cmp_lg_u32 s19, 0
	s_waitcnt lgkmcnt(0)
	v_lshl_add_u64 v[4:5], v[2:3], 2, s[4:5]
	global_load_dwordx2 v[4:5], v[4:5], off
	v_and_b32_e32 v3, 3, v0
	s_waitcnt vmcnt(0)
	v_subrev_u32_e32 v0, s16, v4
	v_subrev_u32_e32 v12, s16, v5
	v_add_u32_e32 v0, v0, v3
	v_cmp_lt_i32_e64 s[2:3], v0, v12
	s_cbranch_scc0 .LBB45_12
; %bb.7:
	v_mov_b32_e32 v5, 0
	v_mov_b32_e32 v4, v5
	s_and_saveexec_b64 s[4:5], s[2:3]
	s_cbranch_execz .LBB45_11
; %bb.8:
	v_mad_u64_u32 v[6:7], s[18:19], v0, 22, 20
	v_mov_b32_e32 v9, 0
	s_mov_b64 s[18:19], 0
	v_mov_b32_e32 v10, v0
	v_mov_b32_e32 v4, v9
	;; [unrolled: 1-line block ×3, first 2 shown]
.LBB45_9:                               ; =>This Inner Loop Header: Depth=1
	v_ashrrev_i32_e32 v11, 31, v10
	v_lshl_add_u64 v[14:15], v[10:11], 2, s[6:7]
	global_load_dword v1, v[14:15], off
	v_subrev_u32_e32 v8, 20, v6
	v_mov_b32_e32 v7, v9
	v_lshl_add_u64 v[16:17], v[8:9], 2, s[8:9]
	v_subrev_u32_e32 v8, 18, v6
	v_lshl_add_u64 v[18:19], v[6:7], 2, s[8:9]
	v_lshl_add_u64 v[20:21], v[8:9], 2, s[8:9]
	global_load_dwordx2 v[16:17], v[16:17], off
	s_nop 0
	global_load_dwordx2 v[22:23], v[18:19], off
	global_load_dwordx2 v[24:25], v[20:21], off
	v_mov_b32_e32 v15, v9
	v_add_u32_e32 v10, 4, v10
	v_cmp_ge_i32_e32 vcc, v10, v12
	s_or_b64 s[18:19], vcc, s[18:19]
	s_waitcnt vmcnt(3)
	v_subrev_u32_e32 v1, s16, v1
	v_mul_lo_u32 v14, v1, 11
	v_add_u32_e32 v8, 1, v14
	v_lshl_add_u64 v[20:21], v[8:9], 2, s[10:11]
	v_add_u32_e32 v8, -16, v6
	v_lshl_add_u64 v[26:27], v[8:9], 2, s[8:9]
	v_add_u32_e32 v8, 2, v14
	v_lshl_add_u64 v[28:29], v[8:9], 2, s[10:11]
	v_add_u32_e32 v8, -14, v6
	v_lshl_add_u64 v[30:31], v[8:9], 2, s[8:9]
	;; [unrolled: 4-line block ×4, first 2 shown]
	v_lshl_add_u64 v[38:39], v[8:9], 2, s[8:9]
	v_add_u32_e32 v8, 5, v14
	global_load_dword v18, v[18:19], off
	v_lshl_add_u64 v[40:41], v[8:9], 2, s[10:11]
	global_load_dword v20, v[20:21], off
	v_add_u32_e32 v8, -8, v6
	v_lshl_add_u64 v[42:43], v[8:9], 2, s[8:9]
	v_add_u32_e32 v8, 6, v14
	global_load_dwordx2 v[26:27], v[26:27], off
	v_lshl_add_u64 v[44:45], v[8:9], 2, s[10:11]
	global_load_dword v28, v[28:29], off
	v_add_u32_e32 v8, -6, v6
	global_load_dwordx2 v[30:31], v[30:31], off
	v_lshl_add_u64 v[46:47], v[8:9], 2, s[8:9]
	global_load_dword v32, v[32:33], off
	v_add_u32_e32 v8, 7, v14
	global_load_dwordx2 v[34:35], v[34:35], off
	v_lshl_add_u64 v[48:49], v[8:9], 2, s[10:11]
	global_load_dword v36, v[36:37], off
	v_add_u32_e32 v8, -4, v6
	global_load_dwordx2 v[38:39], v[38:39], off
	v_lshl_add_u64 v[50:51], v[8:9], 2, s[8:9]
	global_load_dword v40, v[40:41], off
	;; [unrolled: 8-line block ×3, first 2 shown]
	v_add_u32_e32 v8, 9, v14
	global_load_dwordx2 v[50:51], v[50:51], off
	v_lshl_add_u64 v[56:57], v[8:9], 2, s[10:11]
	global_load_dword v52, v[52:53], off
	v_add_u32_e32 v8, 10, v14
	global_load_dwordx2 v[54:55], v[54:55], off
	v_add_u32_e32 v6, 0x58, v6
	global_load_dword v14, v[56:57], off
	v_lshl_add_u64 v[56:57], v[8:9], 2, s[10:11]
	global_load_dword v8, v[56:57], off
	s_waitcnt vmcnt(18)
	v_pk_fma_f32 v[4:5], v[16:17], v[18:19], v[4:5] op_sel_hi:[1,0,1]
	s_waitcnt vmcnt(17)
	v_pk_fma_f32 v[4:5], v[24:25], v[20:21], v[4:5] op_sel_hi:[1,0,1]
	;; [unrolled: 2-line block ×11, first 2 shown]
	s_andn2_b64 exec, exec, s[18:19]
	s_cbranch_execnz .LBB45_9
; %bb.10:
	s_or_b64 exec, exec, s[18:19]
.LBB45_11:
	s_or_b64 exec, exec, s[4:5]
	s_cbranch_execz .LBB45_13
	s_branch .LBB45_18
.LBB45_12:
                                        ; implicit-def: $vgpr5
.LBB45_13:
	v_mov_b32_e32 v5, 0
	v_mov_b32_e32 v4, v5
	s_and_saveexec_b64 s[4:5], s[2:3]
	s_cbranch_execz .LBB45_17
; %bb.14:
	v_mad_u64_u32 v[6:7], s[2:3], v0, 22, 21
	v_mov_b32_e32 v9, 0
	s_mov_b64 s[2:3], 0
	v_mov_b32_e32 v4, v9
	v_mov_b32_e32 v5, v9
.LBB45_15:                              ; =>This Inner Loop Header: Depth=1
	v_ashrrev_i32_e32 v1, 31, v0
	v_lshl_add_u64 v[10:11], v[0:1], 2, s[6:7]
	global_load_dword v1, v[10:11], off
	v_subrev_u32_e32 v8, 21, v6
	v_add_u32_e32 v14, -10, v6
	v_mov_b32_e32 v15, v9
	v_mov_b32_e32 v7, v9
	v_lshl_add_u64 v[16:17], v[8:9], 2, s[8:9]
	v_lshl_add_u64 v[14:15], v[14:15], 2, s[8:9]
	;; [unrolled: 1-line block ×3, first 2 shown]
	global_load_dwordx2 v[20:21], v[16:17], off
	global_load_dword v23, v[14:15], off
	global_load_dword v25, v[18:19], off
	v_mov_b32_e32 v11, v9
	v_add_u32_e32 v0, 4, v0
	v_cmp_ge_i32_e32 vcc, v0, v12
	s_or_b64 s[2:3], vcc, s[2:3]
	s_waitcnt vmcnt(3)
	v_subrev_u32_e32 v1, s16, v1
	v_mul_lo_u32 v10, v1, 11
	v_add_u32_e32 v8, 1, v10
	v_lshl_add_u64 v[16:17], v[8:9], 2, s[10:11]
	v_add_u32_e32 v8, -9, v6
	v_lshl_add_u64 v[18:19], v[8:9], 2, s[8:9]
	v_subrev_u32_e32 v8, 19, v6
	v_lshl_add_u64 v[14:15], v[10:11], 2, s[10:11]
	v_lshl_add_u64 v[26:27], v[8:9], 2, s[8:9]
	v_add_u32_e32 v8, 2, v10
	global_load_dword v14, v[14:15], off
	s_waitcnt vmcnt(3)
	v_mov_b32_e32 v22, v20
	global_load_dword v16, v[16:17], off
	s_nop 0
	global_load_dword v11, v[18:19], off
	global_load_dword v28, v[26:27], off
	v_lshl_add_u64 v[18:19], v[8:9], 2, s[10:11]
	v_add_u32_e32 v8, -8, v6
	v_lshl_add_u64 v[26:27], v[8:9], 2, s[8:9]
	v_subrev_u32_e32 v8, 18, v6
	v_lshl_add_u64 v[30:31], v[8:9], 2, s[8:9]
	v_add_u32_e32 v8, 3, v10
	global_load_dword v18, v[18:19], off
	s_nop 0
	global_load_dword v29, v[26:27], off
	global_load_dword v32, v[30:31], off
	v_lshl_add_u64 v[26:27], v[8:9], 2, s[10:11]
	v_add_u32_e32 v8, -7, v6
	v_lshl_add_u64 v[30:31], v[8:9], 2, s[8:9]
	v_subrev_u32_e32 v8, 17, v6
	v_lshl_add_u64 v[34:35], v[8:9], 2, s[8:9]
	v_add_u32_e32 v8, 4, v10
	global_load_dword v26, v[26:27], off
	s_nop 0
	global_load_dword v33, v[30:31], off
	global_load_dword v36, v[34:35], off
	v_lshl_add_u64 v[30:31], v[8:9], 2, s[10:11]
	v_add_u32_e32 v8, -6, v6
	v_lshl_add_u64 v[34:35], v[8:9], 2, s[8:9]
	v_add_u32_e32 v8, -16, v6
	v_lshl_add_u64 v[38:39], v[8:9], 2, s[8:9]
	v_add_u32_e32 v8, 5, v10
	global_load_dword v30, v[30:31], off
	s_nop 0
	global_load_dword v37, v[34:35], off
	global_load_dword v40, v[38:39], off
	v_lshl_add_u64 v[34:35], v[8:9], 2, s[10:11]
	v_add_u32_e32 v8, -5, v6
	v_lshl_add_u64 v[38:39], v[8:9], 2, s[8:9]
	v_add_u32_e32 v8, -15, v6
	;; [unrolled: 10-line block ×6, first 2 shown]
	v_lshl_add_u64 v[58:59], v[8:9], 2, s[8:9]
	v_add_u32_e32 v8, 10, v10
	global_load_dword v50, v[50:51], off
	s_nop 0
	global_load_dword v57, v[54:55], off
	global_load_dword v24, v[58:59], off
	v_lshl_add_u64 v[54:55], v[8:9], 2, s[10:11]
	global_load_dword v8, v[54:55], off
	v_mov_b32_e32 v10, v21
	v_add_u32_e32 v6, 0x58, v6
	s_waitcnt vmcnt(28)
	v_pk_fma_f32 v[4:5], v[22:23], v[14:15], v[4:5] op_sel_hi:[1,0,1]
	s_waitcnt vmcnt(26)
	v_pk_fma_f32 v[4:5], v[10:11], v[16:17], v[4:5] op_sel_hi:[1,0,1]
	;; [unrolled: 2-line block ×11, first 2 shown]
	s_andn2_b64 exec, exec, s[2:3]
	s_cbranch_execnz .LBB45_15
; %bb.16:
	s_or_b64 exec, exec, s[2:3]
.LBB45_17:
	s_or_b64 exec, exec, s[4:5]
.LBB45_18:
	v_mov_b32_dpp v0, v4 row_shr:1 row_mask:0xf bank_mask:0xf
	v_mov_b32_dpp v1, v5 row_shr:1 row_mask:0xf bank_mask:0xf
	v_pk_add_f32 v[0:1], v[4:5], v[0:1]
	v_cmp_eq_u32_e32 vcc, 3, v3
	s_nop 0
	v_mov_b32_dpp v4, v0 row_shr:2 row_mask:0xf bank_mask:0xf
	v_mov_b32_dpp v5, v1 row_shr:2 row_mask:0xf bank_mask:0xf
	s_and_b64 exec, exec, vcc
	s_cbranch_execz .LBB45_22
; %bb.19:
	s_load_dwordx2 s[0:1], s[0:1], 0x38
	v_cmp_eq_f32_e64 s[2:3], s12, 0
	v_pk_add_f32 v[0:1], v[0:1], v[4:5]
	s_and_b64 vcc, exec, s[2:3]
	v_lshlrev_b32_e32 v2, 1, v2
	s_cbranch_vccz .LBB45_23
; %bb.20:
	v_ashrrev_i32_e32 v3, 31, v2
	s_waitcnt lgkmcnt(0)
	v_lshl_add_u64 v[4:5], v[2:3], 2, s[0:1]
	v_pk_mul_f32 v[6:7], s[14:15], v[0:1] op_sel_hi:[0,1]
	global_store_dwordx2 v[4:5], v[6:7], off
	s_cbranch_execnz .LBB45_22
.LBB45_21:
	v_ashrrev_i32_e32 v3, 31, v2
	s_waitcnt lgkmcnt(0)
	v_lshl_add_u64 v[2:3], v[2:3], 2, s[0:1]
	global_load_dwordx2 v[4:5], v[2:3], off
	v_pk_mul_f32 v[0:1], s[14:15], v[0:1] op_sel_hi:[0,1]
	s_waitcnt vmcnt(0)
	v_pk_fma_f32 v[0:1], s[12:13], v[4:5], v[0:1] op_sel_hi:[0,1,1]
	global_store_dwordx2 v[2:3], v[0:1], off
.LBB45_22:
	s_endpgm
.LBB45_23:
	s_branch .LBB45_21
	.section	.rodata,"a",@progbits
	.p2align	6, 0x0
	.amdhsa_kernel _ZN9rocsparseL19gebsrmvn_2xn_kernelILj128ELj11ELj4EfEEvi20rocsparse_direction_NS_24const_host_device_scalarIT2_EEPKiS6_PKS3_S8_S4_PS3_21rocsparse_index_base_b
		.amdhsa_group_segment_fixed_size 0
		.amdhsa_private_segment_fixed_size 0
		.amdhsa_kernarg_size 72
		.amdhsa_user_sgpr_count 2
		.amdhsa_user_sgpr_dispatch_ptr 0
		.amdhsa_user_sgpr_queue_ptr 0
		.amdhsa_user_sgpr_kernarg_segment_ptr 1
		.amdhsa_user_sgpr_dispatch_id 0
		.amdhsa_user_sgpr_kernarg_preload_length 0
		.amdhsa_user_sgpr_kernarg_preload_offset 0
		.amdhsa_user_sgpr_private_segment_size 0
		.amdhsa_uses_dynamic_stack 0
		.amdhsa_enable_private_segment 0
		.amdhsa_system_sgpr_workgroup_id_x 1
		.amdhsa_system_sgpr_workgroup_id_y 0
		.amdhsa_system_sgpr_workgroup_id_z 0
		.amdhsa_system_sgpr_workgroup_info 0
		.amdhsa_system_vgpr_workitem_id 0
		.amdhsa_next_free_vgpr 60
		.amdhsa_next_free_sgpr 20
		.amdhsa_accum_offset 60
		.amdhsa_reserve_vcc 1
		.amdhsa_float_round_mode_32 0
		.amdhsa_float_round_mode_16_64 0
		.amdhsa_float_denorm_mode_32 3
		.amdhsa_float_denorm_mode_16_64 3
		.amdhsa_dx10_clamp 1
		.amdhsa_ieee_mode 1
		.amdhsa_fp16_overflow 0
		.amdhsa_tg_split 0
		.amdhsa_exception_fp_ieee_invalid_op 0
		.amdhsa_exception_fp_denorm_src 0
		.amdhsa_exception_fp_ieee_div_zero 0
		.amdhsa_exception_fp_ieee_overflow 0
		.amdhsa_exception_fp_ieee_underflow 0
		.amdhsa_exception_fp_ieee_inexact 0
		.amdhsa_exception_int_div_zero 0
	.end_amdhsa_kernel
	.section	.text._ZN9rocsparseL19gebsrmvn_2xn_kernelILj128ELj11ELj4EfEEvi20rocsparse_direction_NS_24const_host_device_scalarIT2_EEPKiS6_PKS3_S8_S4_PS3_21rocsparse_index_base_b,"axG",@progbits,_ZN9rocsparseL19gebsrmvn_2xn_kernelILj128ELj11ELj4EfEEvi20rocsparse_direction_NS_24const_host_device_scalarIT2_EEPKiS6_PKS3_S8_S4_PS3_21rocsparse_index_base_b,comdat
.Lfunc_end45:
	.size	_ZN9rocsparseL19gebsrmvn_2xn_kernelILj128ELj11ELj4EfEEvi20rocsparse_direction_NS_24const_host_device_scalarIT2_EEPKiS6_PKS3_S8_S4_PS3_21rocsparse_index_base_b, .Lfunc_end45-_ZN9rocsparseL19gebsrmvn_2xn_kernelILj128ELj11ELj4EfEEvi20rocsparse_direction_NS_24const_host_device_scalarIT2_EEPKiS6_PKS3_S8_S4_PS3_21rocsparse_index_base_b
                                        ; -- End function
	.section	.AMDGPU.csdata,"",@progbits
; Kernel info:
; codeLenInByte = 2032
; NumSgprs: 26
; NumVgprs: 60
; NumAgprs: 0
; TotalNumVgprs: 60
; ScratchSize: 0
; MemoryBound: 0
; FloatMode: 240
; IeeeMode: 1
; LDSByteSize: 0 bytes/workgroup (compile time only)
; SGPRBlocks: 3
; VGPRBlocks: 7
; NumSGPRsForWavesPerEU: 26
; NumVGPRsForWavesPerEU: 60
; AccumOffset: 60
; Occupancy: 8
; WaveLimiterHint : 1
; COMPUTE_PGM_RSRC2:SCRATCH_EN: 0
; COMPUTE_PGM_RSRC2:USER_SGPR: 2
; COMPUTE_PGM_RSRC2:TRAP_HANDLER: 0
; COMPUTE_PGM_RSRC2:TGID_X_EN: 1
; COMPUTE_PGM_RSRC2:TGID_Y_EN: 0
; COMPUTE_PGM_RSRC2:TGID_Z_EN: 0
; COMPUTE_PGM_RSRC2:TIDIG_COMP_CNT: 0
; COMPUTE_PGM_RSRC3_GFX90A:ACCUM_OFFSET: 14
; COMPUTE_PGM_RSRC3_GFX90A:TG_SPLIT: 0
	.section	.text._ZN9rocsparseL19gebsrmvn_2xn_kernelILj128ELj11ELj8EfEEvi20rocsparse_direction_NS_24const_host_device_scalarIT2_EEPKiS6_PKS3_S8_S4_PS3_21rocsparse_index_base_b,"axG",@progbits,_ZN9rocsparseL19gebsrmvn_2xn_kernelILj128ELj11ELj8EfEEvi20rocsparse_direction_NS_24const_host_device_scalarIT2_EEPKiS6_PKS3_S8_S4_PS3_21rocsparse_index_base_b,comdat
	.globl	_ZN9rocsparseL19gebsrmvn_2xn_kernelILj128ELj11ELj8EfEEvi20rocsparse_direction_NS_24const_host_device_scalarIT2_EEPKiS6_PKS3_S8_S4_PS3_21rocsparse_index_base_b ; -- Begin function _ZN9rocsparseL19gebsrmvn_2xn_kernelILj128ELj11ELj8EfEEvi20rocsparse_direction_NS_24const_host_device_scalarIT2_EEPKiS6_PKS3_S8_S4_PS3_21rocsparse_index_base_b
	.p2align	8
	.type	_ZN9rocsparseL19gebsrmvn_2xn_kernelILj128ELj11ELj8EfEEvi20rocsparse_direction_NS_24const_host_device_scalarIT2_EEPKiS6_PKS3_S8_S4_PS3_21rocsparse_index_base_b,@function
_ZN9rocsparseL19gebsrmvn_2xn_kernelILj128ELj11ELj8EfEEvi20rocsparse_direction_NS_24const_host_device_scalarIT2_EEPKiS6_PKS3_S8_S4_PS3_21rocsparse_index_base_b: ; @_ZN9rocsparseL19gebsrmvn_2xn_kernelILj128ELj11ELj8EfEEvi20rocsparse_direction_NS_24const_host_device_scalarIT2_EEPKiS6_PKS3_S8_S4_PS3_21rocsparse_index_base_b
; %bb.0:
	s_load_dwordx2 s[16:17], s[0:1], 0x40
	s_load_dwordx2 s[14:15], s[0:1], 0x8
	s_load_dwordx2 s[12:13], s[0:1], 0x30
	s_waitcnt lgkmcnt(0)
	s_bitcmp1_b32 s17, 0
	s_cselect_b64 s[6:7], -1, 0
	s_xor_b64 s[4:5], s[6:7], -1
	s_and_b64 vcc, exec, s[6:7]
	s_cbranch_vccnz .LBB46_2
; %bb.1:
	s_load_dword s14, s[14:15], 0x0
.LBB46_2:
	s_andn2_b64 vcc, exec, s[4:5]
	s_cbranch_vccnz .LBB46_4
; %bb.3:
	s_load_dword s12, s[12:13], 0x0
.LBB46_4:
	s_waitcnt lgkmcnt(0)
	v_cmp_eq_f32_e64 s[4:5], s14, 0
	v_cmp_eq_f32_e64 s[6:7], s12, 1.0
	s_and_b64 s[4:5], s[4:5], s[6:7]
	s_and_b64 vcc, exec, s[4:5]
	s_cbranch_vccnz .LBB46_22
; %bb.5:
	s_load_dwordx2 s[18:19], s[0:1], 0x0
	v_lshrrev_b32_e32 v1, 3, v0
	v_lshl_or_b32 v2, s2, 4, v1
	s_waitcnt lgkmcnt(0)
	v_cmp_gt_i32_e32 vcc, s18, v2
	s_and_saveexec_b64 s[2:3], vcc
	s_cbranch_execz .LBB46_22
; %bb.6:
	s_load_dwordx8 s[4:11], s[0:1], 0x10
	v_ashrrev_i32_e32 v3, 31, v2
	s_cmp_lg_u32 s19, 0
	s_waitcnt lgkmcnt(0)
	v_lshl_add_u64 v[4:5], v[2:3], 2, s[4:5]
	global_load_dwordx2 v[4:5], v[4:5], off
	v_and_b32_e32 v3, 7, v0
	s_waitcnt vmcnt(0)
	v_subrev_u32_e32 v0, s16, v4
	v_subrev_u32_e32 v12, s16, v5
	v_add_u32_e32 v0, v0, v3
	v_cmp_lt_i32_e64 s[2:3], v0, v12
	s_cbranch_scc0 .LBB46_12
; %bb.7:
	v_mov_b32_e32 v5, 0
	v_mov_b32_e32 v4, v5
	s_and_saveexec_b64 s[4:5], s[2:3]
	s_cbranch_execz .LBB46_11
; %bb.8:
	v_mad_u64_u32 v[6:7], s[18:19], v0, 22, 20
	v_mov_b32_e32 v9, 0
	s_mov_b64 s[18:19], 0
	v_mov_b32_e32 v10, v0
	v_mov_b32_e32 v4, v9
	;; [unrolled: 1-line block ×3, first 2 shown]
.LBB46_9:                               ; =>This Inner Loop Header: Depth=1
	v_ashrrev_i32_e32 v11, 31, v10
	v_lshl_add_u64 v[14:15], v[10:11], 2, s[6:7]
	global_load_dword v1, v[14:15], off
	v_subrev_u32_e32 v8, 20, v6
	v_mov_b32_e32 v7, v9
	v_lshl_add_u64 v[16:17], v[8:9], 2, s[8:9]
	v_subrev_u32_e32 v8, 18, v6
	v_lshl_add_u64 v[18:19], v[6:7], 2, s[8:9]
	v_lshl_add_u64 v[20:21], v[8:9], 2, s[8:9]
	global_load_dwordx2 v[16:17], v[16:17], off
	s_nop 0
	global_load_dwordx2 v[22:23], v[18:19], off
	global_load_dwordx2 v[24:25], v[20:21], off
	v_mov_b32_e32 v15, v9
	v_add_u32_e32 v10, 8, v10
	v_cmp_ge_i32_e32 vcc, v10, v12
	s_or_b64 s[18:19], vcc, s[18:19]
	s_waitcnt vmcnt(3)
	v_subrev_u32_e32 v1, s16, v1
	v_mul_lo_u32 v14, v1, 11
	v_add_u32_e32 v8, 1, v14
	v_lshl_add_u64 v[20:21], v[8:9], 2, s[10:11]
	v_add_u32_e32 v8, -16, v6
	v_lshl_add_u64 v[26:27], v[8:9], 2, s[8:9]
	v_add_u32_e32 v8, 2, v14
	v_lshl_add_u64 v[28:29], v[8:9], 2, s[10:11]
	v_add_u32_e32 v8, -14, v6
	v_lshl_add_u64 v[30:31], v[8:9], 2, s[8:9]
	;; [unrolled: 4-line block ×4, first 2 shown]
	v_lshl_add_u64 v[38:39], v[8:9], 2, s[8:9]
	v_add_u32_e32 v8, 5, v14
	global_load_dword v18, v[18:19], off
	v_lshl_add_u64 v[40:41], v[8:9], 2, s[10:11]
	global_load_dword v20, v[20:21], off
	v_add_u32_e32 v8, -8, v6
	v_lshl_add_u64 v[42:43], v[8:9], 2, s[8:9]
	v_add_u32_e32 v8, 6, v14
	global_load_dwordx2 v[26:27], v[26:27], off
	v_lshl_add_u64 v[44:45], v[8:9], 2, s[10:11]
	global_load_dword v28, v[28:29], off
	v_add_u32_e32 v8, -6, v6
	global_load_dwordx2 v[30:31], v[30:31], off
	v_lshl_add_u64 v[46:47], v[8:9], 2, s[8:9]
	global_load_dword v32, v[32:33], off
	v_add_u32_e32 v8, 7, v14
	global_load_dwordx2 v[34:35], v[34:35], off
	v_lshl_add_u64 v[48:49], v[8:9], 2, s[10:11]
	global_load_dword v36, v[36:37], off
	v_add_u32_e32 v8, -4, v6
	global_load_dwordx2 v[38:39], v[38:39], off
	v_lshl_add_u64 v[50:51], v[8:9], 2, s[8:9]
	global_load_dword v40, v[40:41], off
	;; [unrolled: 8-line block ×3, first 2 shown]
	v_add_u32_e32 v8, 9, v14
	global_load_dwordx2 v[50:51], v[50:51], off
	v_lshl_add_u64 v[56:57], v[8:9], 2, s[10:11]
	global_load_dword v52, v[52:53], off
	v_add_u32_e32 v8, 10, v14
	global_load_dwordx2 v[54:55], v[54:55], off
	v_add_u32_e32 v6, 0xb0, v6
	global_load_dword v14, v[56:57], off
	v_lshl_add_u64 v[56:57], v[8:9], 2, s[10:11]
	global_load_dword v8, v[56:57], off
	s_waitcnt vmcnt(18)
	v_pk_fma_f32 v[4:5], v[16:17], v[18:19], v[4:5] op_sel_hi:[1,0,1]
	s_waitcnt vmcnt(17)
	v_pk_fma_f32 v[4:5], v[24:25], v[20:21], v[4:5] op_sel_hi:[1,0,1]
	;; [unrolled: 2-line block ×11, first 2 shown]
	s_andn2_b64 exec, exec, s[18:19]
	s_cbranch_execnz .LBB46_9
; %bb.10:
	s_or_b64 exec, exec, s[18:19]
.LBB46_11:
	s_or_b64 exec, exec, s[4:5]
	s_cbranch_execz .LBB46_13
	s_branch .LBB46_18
.LBB46_12:
                                        ; implicit-def: $vgpr5
.LBB46_13:
	v_mov_b32_e32 v5, 0
	v_mov_b32_e32 v4, v5
	s_and_saveexec_b64 s[4:5], s[2:3]
	s_cbranch_execz .LBB46_17
; %bb.14:
	v_mad_u64_u32 v[6:7], s[2:3], v0, 22, 21
	v_mov_b32_e32 v9, 0
	s_mov_b64 s[2:3], 0
	v_mov_b32_e32 v4, v9
	v_mov_b32_e32 v5, v9
.LBB46_15:                              ; =>This Inner Loop Header: Depth=1
	v_ashrrev_i32_e32 v1, 31, v0
	v_lshl_add_u64 v[10:11], v[0:1], 2, s[6:7]
	global_load_dword v1, v[10:11], off
	v_subrev_u32_e32 v8, 21, v6
	v_add_u32_e32 v14, -10, v6
	v_mov_b32_e32 v15, v9
	v_mov_b32_e32 v7, v9
	v_lshl_add_u64 v[16:17], v[8:9], 2, s[8:9]
	v_lshl_add_u64 v[14:15], v[14:15], 2, s[8:9]
	;; [unrolled: 1-line block ×3, first 2 shown]
	global_load_dwordx2 v[20:21], v[16:17], off
	global_load_dword v23, v[14:15], off
	global_load_dword v25, v[18:19], off
	v_mov_b32_e32 v11, v9
	v_add_u32_e32 v0, 8, v0
	v_cmp_ge_i32_e32 vcc, v0, v12
	s_or_b64 s[2:3], vcc, s[2:3]
	s_waitcnt vmcnt(3)
	v_subrev_u32_e32 v1, s16, v1
	v_mul_lo_u32 v10, v1, 11
	v_add_u32_e32 v8, 1, v10
	v_lshl_add_u64 v[16:17], v[8:9], 2, s[10:11]
	v_add_u32_e32 v8, -9, v6
	v_lshl_add_u64 v[18:19], v[8:9], 2, s[8:9]
	v_subrev_u32_e32 v8, 19, v6
	v_lshl_add_u64 v[14:15], v[10:11], 2, s[10:11]
	v_lshl_add_u64 v[26:27], v[8:9], 2, s[8:9]
	v_add_u32_e32 v8, 2, v10
	global_load_dword v14, v[14:15], off
	s_waitcnt vmcnt(3)
	v_mov_b32_e32 v22, v20
	global_load_dword v16, v[16:17], off
	s_nop 0
	global_load_dword v11, v[18:19], off
	global_load_dword v28, v[26:27], off
	v_lshl_add_u64 v[18:19], v[8:9], 2, s[10:11]
	v_add_u32_e32 v8, -8, v6
	v_lshl_add_u64 v[26:27], v[8:9], 2, s[8:9]
	v_subrev_u32_e32 v8, 18, v6
	v_lshl_add_u64 v[30:31], v[8:9], 2, s[8:9]
	v_add_u32_e32 v8, 3, v10
	global_load_dword v18, v[18:19], off
	s_nop 0
	global_load_dword v29, v[26:27], off
	global_load_dword v32, v[30:31], off
	v_lshl_add_u64 v[26:27], v[8:9], 2, s[10:11]
	v_add_u32_e32 v8, -7, v6
	v_lshl_add_u64 v[30:31], v[8:9], 2, s[8:9]
	v_subrev_u32_e32 v8, 17, v6
	v_lshl_add_u64 v[34:35], v[8:9], 2, s[8:9]
	v_add_u32_e32 v8, 4, v10
	global_load_dword v26, v[26:27], off
	s_nop 0
	global_load_dword v33, v[30:31], off
	global_load_dword v36, v[34:35], off
	v_lshl_add_u64 v[30:31], v[8:9], 2, s[10:11]
	v_add_u32_e32 v8, -6, v6
	v_lshl_add_u64 v[34:35], v[8:9], 2, s[8:9]
	v_add_u32_e32 v8, -16, v6
	v_lshl_add_u64 v[38:39], v[8:9], 2, s[8:9]
	v_add_u32_e32 v8, 5, v10
	global_load_dword v30, v[30:31], off
	s_nop 0
	global_load_dword v37, v[34:35], off
	global_load_dword v40, v[38:39], off
	v_lshl_add_u64 v[34:35], v[8:9], 2, s[10:11]
	v_add_u32_e32 v8, -5, v6
	v_lshl_add_u64 v[38:39], v[8:9], 2, s[8:9]
	v_add_u32_e32 v8, -15, v6
	;; [unrolled: 10-line block ×6, first 2 shown]
	v_lshl_add_u64 v[58:59], v[8:9], 2, s[8:9]
	v_add_u32_e32 v8, 10, v10
	global_load_dword v50, v[50:51], off
	s_nop 0
	global_load_dword v57, v[54:55], off
	global_load_dword v24, v[58:59], off
	v_lshl_add_u64 v[54:55], v[8:9], 2, s[10:11]
	global_load_dword v8, v[54:55], off
	v_mov_b32_e32 v10, v21
	v_add_u32_e32 v6, 0xb0, v6
	s_waitcnt vmcnt(28)
	v_pk_fma_f32 v[4:5], v[22:23], v[14:15], v[4:5] op_sel_hi:[1,0,1]
	s_waitcnt vmcnt(26)
	v_pk_fma_f32 v[4:5], v[10:11], v[16:17], v[4:5] op_sel_hi:[1,0,1]
	;; [unrolled: 2-line block ×11, first 2 shown]
	s_andn2_b64 exec, exec, s[2:3]
	s_cbranch_execnz .LBB46_15
; %bb.16:
	s_or_b64 exec, exec, s[2:3]
.LBB46_17:
	s_or_b64 exec, exec, s[4:5]
.LBB46_18:
	v_mov_b32_dpp v0, v4 row_shr:1 row_mask:0xf bank_mask:0xf
	v_mov_b32_dpp v1, v5 row_shr:1 row_mask:0xf bank_mask:0xf
	v_pk_add_f32 v[0:1], v[4:5], v[0:1]
	v_cmp_eq_u32_e32 vcc, 7, v3
	s_nop 0
	v_mov_b32_dpp v4, v0 row_shr:2 row_mask:0xf bank_mask:0xf
	v_mov_b32_dpp v5, v1 row_shr:2 row_mask:0xf bank_mask:0xf
	v_pk_add_f32 v[0:1], v[0:1], v[4:5]
	s_nop 1
	v_mov_b32_dpp v4, v0 row_shr:4 row_mask:0xf bank_mask:0xe
	v_mov_b32_dpp v5, v1 row_shr:4 row_mask:0xf bank_mask:0xe
	s_and_b64 exec, exec, vcc
	s_cbranch_execz .LBB46_22
; %bb.19:
	s_load_dwordx2 s[0:1], s[0:1], 0x38
	v_cmp_eq_f32_e64 s[2:3], s12, 0
	v_pk_add_f32 v[0:1], v[0:1], v[4:5]
	s_and_b64 vcc, exec, s[2:3]
	v_lshlrev_b32_e32 v2, 1, v2
	s_cbranch_vccz .LBB46_23
; %bb.20:
	v_ashrrev_i32_e32 v3, 31, v2
	s_waitcnt lgkmcnt(0)
	v_lshl_add_u64 v[4:5], v[2:3], 2, s[0:1]
	v_pk_mul_f32 v[6:7], s[14:15], v[0:1] op_sel_hi:[0,1]
	global_store_dwordx2 v[4:5], v[6:7], off
	s_cbranch_execnz .LBB46_22
.LBB46_21:
	v_ashrrev_i32_e32 v3, 31, v2
	s_waitcnt lgkmcnt(0)
	v_lshl_add_u64 v[2:3], v[2:3], 2, s[0:1]
	global_load_dwordx2 v[4:5], v[2:3], off
	v_pk_mul_f32 v[0:1], s[14:15], v[0:1] op_sel_hi:[0,1]
	s_waitcnt vmcnt(0)
	v_pk_fma_f32 v[0:1], s[12:13], v[4:5], v[0:1] op_sel_hi:[0,1,1]
	global_store_dwordx2 v[2:3], v[0:1], off
.LBB46_22:
	s_endpgm
.LBB46_23:
	s_branch .LBB46_21
	.section	.rodata,"a",@progbits
	.p2align	6, 0x0
	.amdhsa_kernel _ZN9rocsparseL19gebsrmvn_2xn_kernelILj128ELj11ELj8EfEEvi20rocsparse_direction_NS_24const_host_device_scalarIT2_EEPKiS6_PKS3_S8_S4_PS3_21rocsparse_index_base_b
		.amdhsa_group_segment_fixed_size 0
		.amdhsa_private_segment_fixed_size 0
		.amdhsa_kernarg_size 72
		.amdhsa_user_sgpr_count 2
		.amdhsa_user_sgpr_dispatch_ptr 0
		.amdhsa_user_sgpr_queue_ptr 0
		.amdhsa_user_sgpr_kernarg_segment_ptr 1
		.amdhsa_user_sgpr_dispatch_id 0
		.amdhsa_user_sgpr_kernarg_preload_length 0
		.amdhsa_user_sgpr_kernarg_preload_offset 0
		.amdhsa_user_sgpr_private_segment_size 0
		.amdhsa_uses_dynamic_stack 0
		.amdhsa_enable_private_segment 0
		.amdhsa_system_sgpr_workgroup_id_x 1
		.amdhsa_system_sgpr_workgroup_id_y 0
		.amdhsa_system_sgpr_workgroup_id_z 0
		.amdhsa_system_sgpr_workgroup_info 0
		.amdhsa_system_vgpr_workitem_id 0
		.amdhsa_next_free_vgpr 60
		.amdhsa_next_free_sgpr 20
		.amdhsa_accum_offset 60
		.amdhsa_reserve_vcc 1
		.amdhsa_float_round_mode_32 0
		.amdhsa_float_round_mode_16_64 0
		.amdhsa_float_denorm_mode_32 3
		.amdhsa_float_denorm_mode_16_64 3
		.amdhsa_dx10_clamp 1
		.amdhsa_ieee_mode 1
		.amdhsa_fp16_overflow 0
		.amdhsa_tg_split 0
		.amdhsa_exception_fp_ieee_invalid_op 0
		.amdhsa_exception_fp_denorm_src 0
		.amdhsa_exception_fp_ieee_div_zero 0
		.amdhsa_exception_fp_ieee_overflow 0
		.amdhsa_exception_fp_ieee_underflow 0
		.amdhsa_exception_fp_ieee_inexact 0
		.amdhsa_exception_int_div_zero 0
	.end_amdhsa_kernel
	.section	.text._ZN9rocsparseL19gebsrmvn_2xn_kernelILj128ELj11ELj8EfEEvi20rocsparse_direction_NS_24const_host_device_scalarIT2_EEPKiS6_PKS3_S8_S4_PS3_21rocsparse_index_base_b,"axG",@progbits,_ZN9rocsparseL19gebsrmvn_2xn_kernelILj128ELj11ELj8EfEEvi20rocsparse_direction_NS_24const_host_device_scalarIT2_EEPKiS6_PKS3_S8_S4_PS3_21rocsparse_index_base_b,comdat
.Lfunc_end46:
	.size	_ZN9rocsparseL19gebsrmvn_2xn_kernelILj128ELj11ELj8EfEEvi20rocsparse_direction_NS_24const_host_device_scalarIT2_EEPKiS6_PKS3_S8_S4_PS3_21rocsparse_index_base_b, .Lfunc_end46-_ZN9rocsparseL19gebsrmvn_2xn_kernelILj128ELj11ELj8EfEEvi20rocsparse_direction_NS_24const_host_device_scalarIT2_EEPKiS6_PKS3_S8_S4_PS3_21rocsparse_index_base_b
                                        ; -- End function
	.section	.AMDGPU.csdata,"",@progbits
; Kernel info:
; codeLenInByte = 2060
; NumSgprs: 26
; NumVgprs: 60
; NumAgprs: 0
; TotalNumVgprs: 60
; ScratchSize: 0
; MemoryBound: 0
; FloatMode: 240
; IeeeMode: 1
; LDSByteSize: 0 bytes/workgroup (compile time only)
; SGPRBlocks: 3
; VGPRBlocks: 7
; NumSGPRsForWavesPerEU: 26
; NumVGPRsForWavesPerEU: 60
; AccumOffset: 60
; Occupancy: 8
; WaveLimiterHint : 1
; COMPUTE_PGM_RSRC2:SCRATCH_EN: 0
; COMPUTE_PGM_RSRC2:USER_SGPR: 2
; COMPUTE_PGM_RSRC2:TRAP_HANDLER: 0
; COMPUTE_PGM_RSRC2:TGID_X_EN: 1
; COMPUTE_PGM_RSRC2:TGID_Y_EN: 0
; COMPUTE_PGM_RSRC2:TGID_Z_EN: 0
; COMPUTE_PGM_RSRC2:TIDIG_COMP_CNT: 0
; COMPUTE_PGM_RSRC3_GFX90A:ACCUM_OFFSET: 14
; COMPUTE_PGM_RSRC3_GFX90A:TG_SPLIT: 0
	.section	.text._ZN9rocsparseL19gebsrmvn_2xn_kernelILj128ELj11ELj16EfEEvi20rocsparse_direction_NS_24const_host_device_scalarIT2_EEPKiS6_PKS3_S8_S4_PS3_21rocsparse_index_base_b,"axG",@progbits,_ZN9rocsparseL19gebsrmvn_2xn_kernelILj128ELj11ELj16EfEEvi20rocsparse_direction_NS_24const_host_device_scalarIT2_EEPKiS6_PKS3_S8_S4_PS3_21rocsparse_index_base_b,comdat
	.globl	_ZN9rocsparseL19gebsrmvn_2xn_kernelILj128ELj11ELj16EfEEvi20rocsparse_direction_NS_24const_host_device_scalarIT2_EEPKiS6_PKS3_S8_S4_PS3_21rocsparse_index_base_b ; -- Begin function _ZN9rocsparseL19gebsrmvn_2xn_kernelILj128ELj11ELj16EfEEvi20rocsparse_direction_NS_24const_host_device_scalarIT2_EEPKiS6_PKS3_S8_S4_PS3_21rocsparse_index_base_b
	.p2align	8
	.type	_ZN9rocsparseL19gebsrmvn_2xn_kernelILj128ELj11ELj16EfEEvi20rocsparse_direction_NS_24const_host_device_scalarIT2_EEPKiS6_PKS3_S8_S4_PS3_21rocsparse_index_base_b,@function
_ZN9rocsparseL19gebsrmvn_2xn_kernelILj128ELj11ELj16EfEEvi20rocsparse_direction_NS_24const_host_device_scalarIT2_EEPKiS6_PKS3_S8_S4_PS3_21rocsparse_index_base_b: ; @_ZN9rocsparseL19gebsrmvn_2xn_kernelILj128ELj11ELj16EfEEvi20rocsparse_direction_NS_24const_host_device_scalarIT2_EEPKiS6_PKS3_S8_S4_PS3_21rocsparse_index_base_b
; %bb.0:
	s_load_dwordx2 s[16:17], s[0:1], 0x40
	s_load_dwordx2 s[14:15], s[0:1], 0x8
	;; [unrolled: 1-line block ×3, first 2 shown]
	s_waitcnt lgkmcnt(0)
	s_bitcmp1_b32 s17, 0
	s_cselect_b64 s[6:7], -1, 0
	s_xor_b64 s[4:5], s[6:7], -1
	s_and_b64 vcc, exec, s[6:7]
	s_cbranch_vccnz .LBB47_2
; %bb.1:
	s_load_dword s14, s[14:15], 0x0
.LBB47_2:
	s_andn2_b64 vcc, exec, s[4:5]
	s_cbranch_vccnz .LBB47_4
; %bb.3:
	s_load_dword s12, s[12:13], 0x0
.LBB47_4:
	s_waitcnt lgkmcnt(0)
	v_cmp_eq_f32_e64 s[4:5], s14, 0
	v_cmp_eq_f32_e64 s[6:7], s12, 1.0
	s_and_b64 s[4:5], s[4:5], s[6:7]
	s_and_b64 vcc, exec, s[4:5]
	s_cbranch_vccnz .LBB47_22
; %bb.5:
	s_load_dwordx2 s[18:19], s[0:1], 0x0
	v_lshrrev_b32_e32 v1, 4, v0
	v_lshl_or_b32 v2, s2, 3, v1
	s_waitcnt lgkmcnt(0)
	v_cmp_gt_i32_e32 vcc, s18, v2
	s_and_saveexec_b64 s[2:3], vcc
	s_cbranch_execz .LBB47_22
; %bb.6:
	s_load_dwordx8 s[4:11], s[0:1], 0x10
	v_ashrrev_i32_e32 v3, 31, v2
	s_cmp_lg_u32 s19, 0
	s_waitcnt lgkmcnt(0)
	v_lshl_add_u64 v[4:5], v[2:3], 2, s[4:5]
	global_load_dwordx2 v[4:5], v[4:5], off
	v_and_b32_e32 v3, 15, v0
	s_waitcnt vmcnt(0)
	v_subrev_u32_e32 v0, s16, v4
	v_subrev_u32_e32 v12, s16, v5
	v_add_u32_e32 v0, v0, v3
	v_cmp_lt_i32_e64 s[2:3], v0, v12
	s_cbranch_scc0 .LBB47_12
; %bb.7:
	v_mov_b32_e32 v5, 0
	v_mov_b32_e32 v4, v5
	s_and_saveexec_b64 s[4:5], s[2:3]
	s_cbranch_execz .LBB47_11
; %bb.8:
	v_mad_u64_u32 v[6:7], s[18:19], v0, 22, 20
	v_mov_b32_e32 v9, 0
	s_mov_b64 s[18:19], 0
	v_mov_b32_e32 v10, v0
	v_mov_b32_e32 v4, v9
	;; [unrolled: 1-line block ×3, first 2 shown]
.LBB47_9:                               ; =>This Inner Loop Header: Depth=1
	v_ashrrev_i32_e32 v11, 31, v10
	v_lshl_add_u64 v[14:15], v[10:11], 2, s[6:7]
	global_load_dword v1, v[14:15], off
	v_subrev_u32_e32 v8, 20, v6
	v_mov_b32_e32 v7, v9
	v_lshl_add_u64 v[16:17], v[8:9], 2, s[8:9]
	v_subrev_u32_e32 v8, 18, v6
	v_lshl_add_u64 v[18:19], v[6:7], 2, s[8:9]
	v_lshl_add_u64 v[20:21], v[8:9], 2, s[8:9]
	global_load_dwordx2 v[16:17], v[16:17], off
	s_nop 0
	global_load_dwordx2 v[22:23], v[18:19], off
	global_load_dwordx2 v[24:25], v[20:21], off
	v_mov_b32_e32 v15, v9
	v_add_u32_e32 v10, 16, v10
	v_cmp_ge_i32_e32 vcc, v10, v12
	s_or_b64 s[18:19], vcc, s[18:19]
	s_waitcnt vmcnt(3)
	v_subrev_u32_e32 v1, s16, v1
	v_mul_lo_u32 v14, v1, 11
	v_add_u32_e32 v8, 1, v14
	v_lshl_add_u64 v[20:21], v[8:9], 2, s[10:11]
	v_add_u32_e32 v8, -16, v6
	v_lshl_add_u64 v[26:27], v[8:9], 2, s[8:9]
	v_add_u32_e32 v8, 2, v14
	v_lshl_add_u64 v[28:29], v[8:9], 2, s[10:11]
	v_add_u32_e32 v8, -14, v6
	v_lshl_add_u64 v[30:31], v[8:9], 2, s[8:9]
	;; [unrolled: 4-line block ×4, first 2 shown]
	v_lshl_add_u64 v[38:39], v[8:9], 2, s[8:9]
	v_add_u32_e32 v8, 5, v14
	global_load_dword v18, v[18:19], off
	v_lshl_add_u64 v[40:41], v[8:9], 2, s[10:11]
	global_load_dword v20, v[20:21], off
	v_add_u32_e32 v8, -8, v6
	v_lshl_add_u64 v[42:43], v[8:9], 2, s[8:9]
	v_add_u32_e32 v8, 6, v14
	global_load_dwordx2 v[26:27], v[26:27], off
	v_lshl_add_u64 v[44:45], v[8:9], 2, s[10:11]
	global_load_dword v28, v[28:29], off
	v_add_u32_e32 v8, -6, v6
	global_load_dwordx2 v[30:31], v[30:31], off
	v_lshl_add_u64 v[46:47], v[8:9], 2, s[8:9]
	global_load_dword v32, v[32:33], off
	v_add_u32_e32 v8, 7, v14
	global_load_dwordx2 v[34:35], v[34:35], off
	v_lshl_add_u64 v[48:49], v[8:9], 2, s[10:11]
	global_load_dword v36, v[36:37], off
	v_add_u32_e32 v8, -4, v6
	global_load_dwordx2 v[38:39], v[38:39], off
	v_lshl_add_u64 v[50:51], v[8:9], 2, s[8:9]
	global_load_dword v40, v[40:41], off
	;; [unrolled: 8-line block ×3, first 2 shown]
	v_add_u32_e32 v8, 9, v14
	global_load_dwordx2 v[50:51], v[50:51], off
	v_lshl_add_u64 v[56:57], v[8:9], 2, s[10:11]
	global_load_dword v52, v[52:53], off
	v_add_u32_e32 v8, 10, v14
	global_load_dwordx2 v[54:55], v[54:55], off
	v_add_u32_e32 v6, 0x160, v6
	global_load_dword v14, v[56:57], off
	v_lshl_add_u64 v[56:57], v[8:9], 2, s[10:11]
	global_load_dword v8, v[56:57], off
	s_waitcnt vmcnt(18)
	v_pk_fma_f32 v[4:5], v[16:17], v[18:19], v[4:5] op_sel_hi:[1,0,1]
	s_waitcnt vmcnt(17)
	v_pk_fma_f32 v[4:5], v[24:25], v[20:21], v[4:5] op_sel_hi:[1,0,1]
	;; [unrolled: 2-line block ×11, first 2 shown]
	s_andn2_b64 exec, exec, s[18:19]
	s_cbranch_execnz .LBB47_9
; %bb.10:
	s_or_b64 exec, exec, s[18:19]
.LBB47_11:
	s_or_b64 exec, exec, s[4:5]
	s_cbranch_execz .LBB47_13
	s_branch .LBB47_18
.LBB47_12:
                                        ; implicit-def: $vgpr5
.LBB47_13:
	v_mov_b32_e32 v5, 0
	v_mov_b32_e32 v4, v5
	s_and_saveexec_b64 s[4:5], s[2:3]
	s_cbranch_execz .LBB47_17
; %bb.14:
	v_mad_u64_u32 v[6:7], s[2:3], v0, 22, 21
	v_mov_b32_e32 v9, 0
	s_mov_b64 s[2:3], 0
	v_mov_b32_e32 v4, v9
	v_mov_b32_e32 v5, v9
.LBB47_15:                              ; =>This Inner Loop Header: Depth=1
	v_ashrrev_i32_e32 v1, 31, v0
	v_lshl_add_u64 v[10:11], v[0:1], 2, s[6:7]
	global_load_dword v1, v[10:11], off
	v_subrev_u32_e32 v8, 21, v6
	v_add_u32_e32 v14, -10, v6
	v_mov_b32_e32 v15, v9
	v_mov_b32_e32 v7, v9
	v_lshl_add_u64 v[16:17], v[8:9], 2, s[8:9]
	v_lshl_add_u64 v[14:15], v[14:15], 2, s[8:9]
	;; [unrolled: 1-line block ×3, first 2 shown]
	global_load_dwordx2 v[20:21], v[16:17], off
	global_load_dword v23, v[14:15], off
	global_load_dword v25, v[18:19], off
	v_mov_b32_e32 v11, v9
	v_add_u32_e32 v0, 16, v0
	v_cmp_ge_i32_e32 vcc, v0, v12
	s_or_b64 s[2:3], vcc, s[2:3]
	s_waitcnt vmcnt(3)
	v_subrev_u32_e32 v1, s16, v1
	v_mul_lo_u32 v10, v1, 11
	v_add_u32_e32 v8, 1, v10
	v_lshl_add_u64 v[16:17], v[8:9], 2, s[10:11]
	v_add_u32_e32 v8, -9, v6
	v_lshl_add_u64 v[18:19], v[8:9], 2, s[8:9]
	v_subrev_u32_e32 v8, 19, v6
	v_lshl_add_u64 v[14:15], v[10:11], 2, s[10:11]
	v_lshl_add_u64 v[26:27], v[8:9], 2, s[8:9]
	v_add_u32_e32 v8, 2, v10
	global_load_dword v14, v[14:15], off
	s_waitcnt vmcnt(3)
	v_mov_b32_e32 v22, v20
	global_load_dword v16, v[16:17], off
	s_nop 0
	global_load_dword v11, v[18:19], off
	global_load_dword v28, v[26:27], off
	v_lshl_add_u64 v[18:19], v[8:9], 2, s[10:11]
	v_add_u32_e32 v8, -8, v6
	v_lshl_add_u64 v[26:27], v[8:9], 2, s[8:9]
	v_subrev_u32_e32 v8, 18, v6
	v_lshl_add_u64 v[30:31], v[8:9], 2, s[8:9]
	v_add_u32_e32 v8, 3, v10
	global_load_dword v18, v[18:19], off
	s_nop 0
	global_load_dword v29, v[26:27], off
	global_load_dword v32, v[30:31], off
	v_lshl_add_u64 v[26:27], v[8:9], 2, s[10:11]
	v_add_u32_e32 v8, -7, v6
	v_lshl_add_u64 v[30:31], v[8:9], 2, s[8:9]
	v_subrev_u32_e32 v8, 17, v6
	v_lshl_add_u64 v[34:35], v[8:9], 2, s[8:9]
	v_add_u32_e32 v8, 4, v10
	global_load_dword v26, v[26:27], off
	s_nop 0
	global_load_dword v33, v[30:31], off
	global_load_dword v36, v[34:35], off
	v_lshl_add_u64 v[30:31], v[8:9], 2, s[10:11]
	v_add_u32_e32 v8, -6, v6
	v_lshl_add_u64 v[34:35], v[8:9], 2, s[8:9]
	v_add_u32_e32 v8, -16, v6
	v_lshl_add_u64 v[38:39], v[8:9], 2, s[8:9]
	v_add_u32_e32 v8, 5, v10
	global_load_dword v30, v[30:31], off
	s_nop 0
	global_load_dword v37, v[34:35], off
	global_load_dword v40, v[38:39], off
	v_lshl_add_u64 v[34:35], v[8:9], 2, s[10:11]
	v_add_u32_e32 v8, -5, v6
	v_lshl_add_u64 v[38:39], v[8:9], 2, s[8:9]
	v_add_u32_e32 v8, -15, v6
	;; [unrolled: 10-line block ×6, first 2 shown]
	v_lshl_add_u64 v[58:59], v[8:9], 2, s[8:9]
	v_add_u32_e32 v8, 10, v10
	global_load_dword v50, v[50:51], off
	s_nop 0
	global_load_dword v57, v[54:55], off
	global_load_dword v24, v[58:59], off
	v_lshl_add_u64 v[54:55], v[8:9], 2, s[10:11]
	global_load_dword v8, v[54:55], off
	v_mov_b32_e32 v10, v21
	v_add_u32_e32 v6, 0x160, v6
	s_waitcnt vmcnt(28)
	v_pk_fma_f32 v[4:5], v[22:23], v[14:15], v[4:5] op_sel_hi:[1,0,1]
	s_waitcnt vmcnt(26)
	v_pk_fma_f32 v[4:5], v[10:11], v[16:17], v[4:5] op_sel_hi:[1,0,1]
	s_waitcnt vmcnt(23)
	v_pk_fma_f32 v[4:5], v[28:29], v[18:19], v[4:5] op_sel_hi:[1,0,1]
	s_waitcnt vmcnt(20)
	v_pk_fma_f32 v[4:5], v[32:33], v[26:27], v[4:5] op_sel_hi:[1,0,1]
	s_waitcnt vmcnt(17)
	v_pk_fma_f32 v[4:5], v[36:37], v[30:31], v[4:5] op_sel_hi:[1,0,1]
	s_waitcnt vmcnt(14)
	v_pk_fma_f32 v[4:5], v[40:41], v[34:35], v[4:5] op_sel_hi:[1,0,1]
	s_waitcnt vmcnt(11)
	v_pk_fma_f32 v[4:5], v[44:45], v[38:39], v[4:5] op_sel_hi:[1,0,1]
	s_waitcnt vmcnt(8)
	v_pk_fma_f32 v[4:5], v[48:49], v[42:43], v[4:5] op_sel_hi:[1,0,1]
	s_waitcnt vmcnt(5)
	v_pk_fma_f32 v[4:5], v[52:53], v[46:47], v[4:5] op_sel_hi:[1,0,1]
	s_waitcnt vmcnt(2)
	v_pk_fma_f32 v[4:5], v[56:57], v[50:51], v[4:5] op_sel_hi:[1,0,1]
	s_waitcnt vmcnt(0)
	v_pk_fma_f32 v[4:5], v[24:25], v[8:9], v[4:5] op_sel_hi:[1,0,1]
	s_andn2_b64 exec, exec, s[2:3]
	s_cbranch_execnz .LBB47_15
; %bb.16:
	s_or_b64 exec, exec, s[2:3]
.LBB47_17:
	s_or_b64 exec, exec, s[4:5]
.LBB47_18:
	v_mov_b32_dpp v0, v4 row_shr:1 row_mask:0xf bank_mask:0xf
	v_mov_b32_dpp v1, v5 row_shr:1 row_mask:0xf bank_mask:0xf
	v_pk_add_f32 v[0:1], v[4:5], v[0:1]
	v_cmp_eq_u32_e32 vcc, 15, v3
	s_nop 0
	v_mov_b32_dpp v4, v0 row_shr:2 row_mask:0xf bank_mask:0xf
	v_mov_b32_dpp v5, v1 row_shr:2 row_mask:0xf bank_mask:0xf
	v_pk_add_f32 v[0:1], v[0:1], v[4:5]
	s_nop 1
	v_mov_b32_dpp v4, v0 row_shr:4 row_mask:0xf bank_mask:0xe
	v_mov_b32_dpp v5, v1 row_shr:4 row_mask:0xf bank_mask:0xe
	v_pk_add_f32 v[0:1], v[0:1], v[4:5]
	s_nop 1
	v_mov_b32_dpp v4, v0 row_shr:8 row_mask:0xf bank_mask:0xc
	v_mov_b32_dpp v5, v1 row_shr:8 row_mask:0xf bank_mask:0xc
	s_and_b64 exec, exec, vcc
	s_cbranch_execz .LBB47_22
; %bb.19:
	s_load_dwordx2 s[0:1], s[0:1], 0x38
	v_cmp_eq_f32_e64 s[2:3], s12, 0
	v_pk_add_f32 v[0:1], v[0:1], v[4:5]
	s_and_b64 vcc, exec, s[2:3]
	v_lshlrev_b32_e32 v2, 1, v2
	s_cbranch_vccz .LBB47_23
; %bb.20:
	v_ashrrev_i32_e32 v3, 31, v2
	s_waitcnt lgkmcnt(0)
	v_lshl_add_u64 v[4:5], v[2:3], 2, s[0:1]
	v_pk_mul_f32 v[6:7], s[14:15], v[0:1] op_sel_hi:[0,1]
	global_store_dwordx2 v[4:5], v[6:7], off
	s_cbranch_execnz .LBB47_22
.LBB47_21:
	v_ashrrev_i32_e32 v3, 31, v2
	s_waitcnt lgkmcnt(0)
	v_lshl_add_u64 v[2:3], v[2:3], 2, s[0:1]
	global_load_dwordx2 v[4:5], v[2:3], off
	v_pk_mul_f32 v[0:1], s[14:15], v[0:1] op_sel_hi:[0,1]
	s_waitcnt vmcnt(0)
	v_pk_fma_f32 v[0:1], s[12:13], v[4:5], v[0:1] op_sel_hi:[0,1,1]
	global_store_dwordx2 v[2:3], v[0:1], off
.LBB47_22:
	s_endpgm
.LBB47_23:
	s_branch .LBB47_21
	.section	.rodata,"a",@progbits
	.p2align	6, 0x0
	.amdhsa_kernel _ZN9rocsparseL19gebsrmvn_2xn_kernelILj128ELj11ELj16EfEEvi20rocsparse_direction_NS_24const_host_device_scalarIT2_EEPKiS6_PKS3_S8_S4_PS3_21rocsparse_index_base_b
		.amdhsa_group_segment_fixed_size 0
		.amdhsa_private_segment_fixed_size 0
		.amdhsa_kernarg_size 72
		.amdhsa_user_sgpr_count 2
		.amdhsa_user_sgpr_dispatch_ptr 0
		.amdhsa_user_sgpr_queue_ptr 0
		.amdhsa_user_sgpr_kernarg_segment_ptr 1
		.amdhsa_user_sgpr_dispatch_id 0
		.amdhsa_user_sgpr_kernarg_preload_length 0
		.amdhsa_user_sgpr_kernarg_preload_offset 0
		.amdhsa_user_sgpr_private_segment_size 0
		.amdhsa_uses_dynamic_stack 0
		.amdhsa_enable_private_segment 0
		.amdhsa_system_sgpr_workgroup_id_x 1
		.amdhsa_system_sgpr_workgroup_id_y 0
		.amdhsa_system_sgpr_workgroup_id_z 0
		.amdhsa_system_sgpr_workgroup_info 0
		.amdhsa_system_vgpr_workitem_id 0
		.amdhsa_next_free_vgpr 60
		.amdhsa_next_free_sgpr 20
		.amdhsa_accum_offset 60
		.amdhsa_reserve_vcc 1
		.amdhsa_float_round_mode_32 0
		.amdhsa_float_round_mode_16_64 0
		.amdhsa_float_denorm_mode_32 3
		.amdhsa_float_denorm_mode_16_64 3
		.amdhsa_dx10_clamp 1
		.amdhsa_ieee_mode 1
		.amdhsa_fp16_overflow 0
		.amdhsa_tg_split 0
		.amdhsa_exception_fp_ieee_invalid_op 0
		.amdhsa_exception_fp_denorm_src 0
		.amdhsa_exception_fp_ieee_div_zero 0
		.amdhsa_exception_fp_ieee_overflow 0
		.amdhsa_exception_fp_ieee_underflow 0
		.amdhsa_exception_fp_ieee_inexact 0
		.amdhsa_exception_int_div_zero 0
	.end_amdhsa_kernel
	.section	.text._ZN9rocsparseL19gebsrmvn_2xn_kernelILj128ELj11ELj16EfEEvi20rocsparse_direction_NS_24const_host_device_scalarIT2_EEPKiS6_PKS3_S8_S4_PS3_21rocsparse_index_base_b,"axG",@progbits,_ZN9rocsparseL19gebsrmvn_2xn_kernelILj128ELj11ELj16EfEEvi20rocsparse_direction_NS_24const_host_device_scalarIT2_EEPKiS6_PKS3_S8_S4_PS3_21rocsparse_index_base_b,comdat
.Lfunc_end47:
	.size	_ZN9rocsparseL19gebsrmvn_2xn_kernelILj128ELj11ELj16EfEEvi20rocsparse_direction_NS_24const_host_device_scalarIT2_EEPKiS6_PKS3_S8_S4_PS3_21rocsparse_index_base_b, .Lfunc_end47-_ZN9rocsparseL19gebsrmvn_2xn_kernelILj128ELj11ELj16EfEEvi20rocsparse_direction_NS_24const_host_device_scalarIT2_EEPKiS6_PKS3_S8_S4_PS3_21rocsparse_index_base_b
                                        ; -- End function
	.section	.AMDGPU.csdata,"",@progbits
; Kernel info:
; codeLenInByte = 2088
; NumSgprs: 26
; NumVgprs: 60
; NumAgprs: 0
; TotalNumVgprs: 60
; ScratchSize: 0
; MemoryBound: 0
; FloatMode: 240
; IeeeMode: 1
; LDSByteSize: 0 bytes/workgroup (compile time only)
; SGPRBlocks: 3
; VGPRBlocks: 7
; NumSGPRsForWavesPerEU: 26
; NumVGPRsForWavesPerEU: 60
; AccumOffset: 60
; Occupancy: 8
; WaveLimiterHint : 1
; COMPUTE_PGM_RSRC2:SCRATCH_EN: 0
; COMPUTE_PGM_RSRC2:USER_SGPR: 2
; COMPUTE_PGM_RSRC2:TRAP_HANDLER: 0
; COMPUTE_PGM_RSRC2:TGID_X_EN: 1
; COMPUTE_PGM_RSRC2:TGID_Y_EN: 0
; COMPUTE_PGM_RSRC2:TGID_Z_EN: 0
; COMPUTE_PGM_RSRC2:TIDIG_COMP_CNT: 0
; COMPUTE_PGM_RSRC3_GFX90A:ACCUM_OFFSET: 14
; COMPUTE_PGM_RSRC3_GFX90A:TG_SPLIT: 0
	.section	.text._ZN9rocsparseL19gebsrmvn_2xn_kernelILj128ELj11ELj32EfEEvi20rocsparse_direction_NS_24const_host_device_scalarIT2_EEPKiS6_PKS3_S8_S4_PS3_21rocsparse_index_base_b,"axG",@progbits,_ZN9rocsparseL19gebsrmvn_2xn_kernelILj128ELj11ELj32EfEEvi20rocsparse_direction_NS_24const_host_device_scalarIT2_EEPKiS6_PKS3_S8_S4_PS3_21rocsparse_index_base_b,comdat
	.globl	_ZN9rocsparseL19gebsrmvn_2xn_kernelILj128ELj11ELj32EfEEvi20rocsparse_direction_NS_24const_host_device_scalarIT2_EEPKiS6_PKS3_S8_S4_PS3_21rocsparse_index_base_b ; -- Begin function _ZN9rocsparseL19gebsrmvn_2xn_kernelILj128ELj11ELj32EfEEvi20rocsparse_direction_NS_24const_host_device_scalarIT2_EEPKiS6_PKS3_S8_S4_PS3_21rocsparse_index_base_b
	.p2align	8
	.type	_ZN9rocsparseL19gebsrmvn_2xn_kernelILj128ELj11ELj32EfEEvi20rocsparse_direction_NS_24const_host_device_scalarIT2_EEPKiS6_PKS3_S8_S4_PS3_21rocsparse_index_base_b,@function
_ZN9rocsparseL19gebsrmvn_2xn_kernelILj128ELj11ELj32EfEEvi20rocsparse_direction_NS_24const_host_device_scalarIT2_EEPKiS6_PKS3_S8_S4_PS3_21rocsparse_index_base_b: ; @_ZN9rocsparseL19gebsrmvn_2xn_kernelILj128ELj11ELj32EfEEvi20rocsparse_direction_NS_24const_host_device_scalarIT2_EEPKiS6_PKS3_S8_S4_PS3_21rocsparse_index_base_b
; %bb.0:
	s_load_dwordx2 s[16:17], s[0:1], 0x40
	s_load_dwordx2 s[14:15], s[0:1], 0x8
	;; [unrolled: 1-line block ×3, first 2 shown]
	s_waitcnt lgkmcnt(0)
	s_bitcmp1_b32 s17, 0
	s_cselect_b64 s[6:7], -1, 0
	s_xor_b64 s[4:5], s[6:7], -1
	s_and_b64 vcc, exec, s[6:7]
	s_cbranch_vccnz .LBB48_2
; %bb.1:
	s_load_dword s14, s[14:15], 0x0
.LBB48_2:
	s_andn2_b64 vcc, exec, s[4:5]
	s_cbranch_vccnz .LBB48_4
; %bb.3:
	s_load_dword s12, s[12:13], 0x0
.LBB48_4:
	s_waitcnt lgkmcnt(0)
	v_cmp_eq_f32_e64 s[4:5], s14, 0
	v_cmp_eq_f32_e64 s[6:7], s12, 1.0
	s_and_b64 s[4:5], s[4:5], s[6:7]
	s_and_b64 vcc, exec, s[4:5]
	s_cbranch_vccnz .LBB48_22
; %bb.5:
	s_load_dwordx2 s[18:19], s[0:1], 0x0
	v_lshrrev_b32_e32 v1, 5, v0
	v_lshl_or_b32 v2, s2, 2, v1
	s_waitcnt lgkmcnt(0)
	v_cmp_gt_i32_e32 vcc, s18, v2
	s_and_saveexec_b64 s[2:3], vcc
	s_cbranch_execz .LBB48_22
; %bb.6:
	s_load_dwordx8 s[4:11], s[0:1], 0x10
	v_ashrrev_i32_e32 v3, 31, v2
	s_cmp_lg_u32 s19, 0
	s_waitcnt lgkmcnt(0)
	v_lshl_add_u64 v[4:5], v[2:3], 2, s[4:5]
	global_load_dwordx2 v[4:5], v[4:5], off
	v_and_b32_e32 v3, 31, v0
	s_waitcnt vmcnt(0)
	v_subrev_u32_e32 v0, s16, v4
	v_subrev_u32_e32 v12, s16, v5
	v_add_u32_e32 v0, v0, v3
	v_cmp_lt_i32_e64 s[2:3], v0, v12
	s_cbranch_scc0 .LBB48_12
; %bb.7:
	v_mov_b32_e32 v5, 0
	v_mov_b32_e32 v4, v5
	s_and_saveexec_b64 s[4:5], s[2:3]
	s_cbranch_execz .LBB48_11
; %bb.8:
	v_mad_u64_u32 v[6:7], s[18:19], v0, 22, 20
	v_mov_b32_e32 v9, 0
	s_mov_b64 s[18:19], 0
	v_mov_b32_e32 v10, v0
	v_mov_b32_e32 v4, v9
	;; [unrolled: 1-line block ×3, first 2 shown]
.LBB48_9:                               ; =>This Inner Loop Header: Depth=1
	v_ashrrev_i32_e32 v11, 31, v10
	v_lshl_add_u64 v[14:15], v[10:11], 2, s[6:7]
	global_load_dword v1, v[14:15], off
	v_subrev_u32_e32 v8, 20, v6
	v_mov_b32_e32 v7, v9
	v_lshl_add_u64 v[16:17], v[8:9], 2, s[8:9]
	v_subrev_u32_e32 v8, 18, v6
	v_lshl_add_u64 v[18:19], v[6:7], 2, s[8:9]
	v_lshl_add_u64 v[20:21], v[8:9], 2, s[8:9]
	global_load_dwordx2 v[16:17], v[16:17], off
	s_nop 0
	global_load_dwordx2 v[22:23], v[18:19], off
	global_load_dwordx2 v[24:25], v[20:21], off
	v_mov_b32_e32 v15, v9
	v_add_u32_e32 v10, 32, v10
	v_cmp_ge_i32_e32 vcc, v10, v12
	s_or_b64 s[18:19], vcc, s[18:19]
	s_waitcnt vmcnt(3)
	v_subrev_u32_e32 v1, s16, v1
	v_mul_lo_u32 v14, v1, 11
	v_add_u32_e32 v8, 1, v14
	v_lshl_add_u64 v[20:21], v[8:9], 2, s[10:11]
	v_add_u32_e32 v8, -16, v6
	v_lshl_add_u64 v[26:27], v[8:9], 2, s[8:9]
	v_add_u32_e32 v8, 2, v14
	v_lshl_add_u64 v[28:29], v[8:9], 2, s[10:11]
	v_add_u32_e32 v8, -14, v6
	v_lshl_add_u64 v[30:31], v[8:9], 2, s[8:9]
	;; [unrolled: 4-line block ×4, first 2 shown]
	v_lshl_add_u64 v[38:39], v[8:9], 2, s[8:9]
	v_add_u32_e32 v8, 5, v14
	global_load_dword v18, v[18:19], off
	v_lshl_add_u64 v[40:41], v[8:9], 2, s[10:11]
	global_load_dword v20, v[20:21], off
	v_add_u32_e32 v8, -8, v6
	v_lshl_add_u64 v[42:43], v[8:9], 2, s[8:9]
	v_add_u32_e32 v8, 6, v14
	global_load_dwordx2 v[26:27], v[26:27], off
	v_lshl_add_u64 v[44:45], v[8:9], 2, s[10:11]
	global_load_dword v28, v[28:29], off
	v_add_u32_e32 v8, -6, v6
	global_load_dwordx2 v[30:31], v[30:31], off
	v_lshl_add_u64 v[46:47], v[8:9], 2, s[8:9]
	global_load_dword v32, v[32:33], off
	v_add_u32_e32 v8, 7, v14
	global_load_dwordx2 v[34:35], v[34:35], off
	v_lshl_add_u64 v[48:49], v[8:9], 2, s[10:11]
	global_load_dword v36, v[36:37], off
	v_add_u32_e32 v8, -4, v6
	global_load_dwordx2 v[38:39], v[38:39], off
	v_lshl_add_u64 v[50:51], v[8:9], 2, s[8:9]
	global_load_dword v40, v[40:41], off
	;; [unrolled: 8-line block ×3, first 2 shown]
	v_add_u32_e32 v8, 9, v14
	global_load_dwordx2 v[50:51], v[50:51], off
	v_lshl_add_u64 v[56:57], v[8:9], 2, s[10:11]
	global_load_dword v52, v[52:53], off
	v_add_u32_e32 v8, 10, v14
	global_load_dwordx2 v[54:55], v[54:55], off
	v_add_u32_e32 v6, 0x2c0, v6
	global_load_dword v14, v[56:57], off
	v_lshl_add_u64 v[56:57], v[8:9], 2, s[10:11]
	global_load_dword v8, v[56:57], off
	s_waitcnt vmcnt(18)
	v_pk_fma_f32 v[4:5], v[16:17], v[18:19], v[4:5] op_sel_hi:[1,0,1]
	s_waitcnt vmcnt(17)
	v_pk_fma_f32 v[4:5], v[24:25], v[20:21], v[4:5] op_sel_hi:[1,0,1]
	;; [unrolled: 2-line block ×11, first 2 shown]
	s_andn2_b64 exec, exec, s[18:19]
	s_cbranch_execnz .LBB48_9
; %bb.10:
	s_or_b64 exec, exec, s[18:19]
.LBB48_11:
	s_or_b64 exec, exec, s[4:5]
	s_cbranch_execz .LBB48_13
	s_branch .LBB48_18
.LBB48_12:
                                        ; implicit-def: $vgpr5
.LBB48_13:
	v_mov_b32_e32 v5, 0
	v_mov_b32_e32 v4, v5
	s_and_saveexec_b64 s[4:5], s[2:3]
	s_cbranch_execz .LBB48_17
; %bb.14:
	v_mad_u64_u32 v[6:7], s[2:3], v0, 22, 21
	v_mov_b32_e32 v9, 0
	s_mov_b64 s[2:3], 0
	v_mov_b32_e32 v4, v9
	v_mov_b32_e32 v5, v9
.LBB48_15:                              ; =>This Inner Loop Header: Depth=1
	v_ashrrev_i32_e32 v1, 31, v0
	v_lshl_add_u64 v[10:11], v[0:1], 2, s[6:7]
	global_load_dword v1, v[10:11], off
	v_subrev_u32_e32 v8, 21, v6
	v_add_u32_e32 v14, -10, v6
	v_mov_b32_e32 v15, v9
	v_mov_b32_e32 v7, v9
	v_lshl_add_u64 v[16:17], v[8:9], 2, s[8:9]
	v_lshl_add_u64 v[14:15], v[14:15], 2, s[8:9]
	;; [unrolled: 1-line block ×3, first 2 shown]
	global_load_dwordx2 v[20:21], v[16:17], off
	global_load_dword v23, v[14:15], off
	global_load_dword v25, v[18:19], off
	v_mov_b32_e32 v11, v9
	v_add_u32_e32 v0, 32, v0
	v_cmp_ge_i32_e32 vcc, v0, v12
	s_or_b64 s[2:3], vcc, s[2:3]
	s_waitcnt vmcnt(3)
	v_subrev_u32_e32 v1, s16, v1
	v_mul_lo_u32 v10, v1, 11
	v_add_u32_e32 v8, 1, v10
	v_lshl_add_u64 v[16:17], v[8:9], 2, s[10:11]
	v_add_u32_e32 v8, -9, v6
	v_lshl_add_u64 v[18:19], v[8:9], 2, s[8:9]
	v_subrev_u32_e32 v8, 19, v6
	v_lshl_add_u64 v[14:15], v[10:11], 2, s[10:11]
	v_lshl_add_u64 v[26:27], v[8:9], 2, s[8:9]
	v_add_u32_e32 v8, 2, v10
	global_load_dword v14, v[14:15], off
	s_waitcnt vmcnt(3)
	v_mov_b32_e32 v22, v20
	global_load_dword v16, v[16:17], off
	s_nop 0
	global_load_dword v11, v[18:19], off
	global_load_dword v28, v[26:27], off
	v_lshl_add_u64 v[18:19], v[8:9], 2, s[10:11]
	v_add_u32_e32 v8, -8, v6
	v_lshl_add_u64 v[26:27], v[8:9], 2, s[8:9]
	v_subrev_u32_e32 v8, 18, v6
	v_lshl_add_u64 v[30:31], v[8:9], 2, s[8:9]
	v_add_u32_e32 v8, 3, v10
	global_load_dword v18, v[18:19], off
	s_nop 0
	global_load_dword v29, v[26:27], off
	global_load_dword v32, v[30:31], off
	v_lshl_add_u64 v[26:27], v[8:9], 2, s[10:11]
	v_add_u32_e32 v8, -7, v6
	v_lshl_add_u64 v[30:31], v[8:9], 2, s[8:9]
	v_subrev_u32_e32 v8, 17, v6
	v_lshl_add_u64 v[34:35], v[8:9], 2, s[8:9]
	v_add_u32_e32 v8, 4, v10
	global_load_dword v26, v[26:27], off
	s_nop 0
	global_load_dword v33, v[30:31], off
	global_load_dword v36, v[34:35], off
	v_lshl_add_u64 v[30:31], v[8:9], 2, s[10:11]
	v_add_u32_e32 v8, -6, v6
	v_lshl_add_u64 v[34:35], v[8:9], 2, s[8:9]
	v_add_u32_e32 v8, -16, v6
	v_lshl_add_u64 v[38:39], v[8:9], 2, s[8:9]
	v_add_u32_e32 v8, 5, v10
	global_load_dword v30, v[30:31], off
	s_nop 0
	global_load_dword v37, v[34:35], off
	global_load_dword v40, v[38:39], off
	v_lshl_add_u64 v[34:35], v[8:9], 2, s[10:11]
	v_add_u32_e32 v8, -5, v6
	v_lshl_add_u64 v[38:39], v[8:9], 2, s[8:9]
	v_add_u32_e32 v8, -15, v6
	;; [unrolled: 10-line block ×6, first 2 shown]
	v_lshl_add_u64 v[58:59], v[8:9], 2, s[8:9]
	v_add_u32_e32 v8, 10, v10
	global_load_dword v50, v[50:51], off
	s_nop 0
	global_load_dword v57, v[54:55], off
	global_load_dword v24, v[58:59], off
	v_lshl_add_u64 v[54:55], v[8:9], 2, s[10:11]
	global_load_dword v8, v[54:55], off
	v_mov_b32_e32 v10, v21
	v_add_u32_e32 v6, 0x2c0, v6
	s_waitcnt vmcnt(28)
	v_pk_fma_f32 v[4:5], v[22:23], v[14:15], v[4:5] op_sel_hi:[1,0,1]
	s_waitcnt vmcnt(26)
	v_pk_fma_f32 v[4:5], v[10:11], v[16:17], v[4:5] op_sel_hi:[1,0,1]
	;; [unrolled: 2-line block ×11, first 2 shown]
	s_andn2_b64 exec, exec, s[2:3]
	s_cbranch_execnz .LBB48_15
; %bb.16:
	s_or_b64 exec, exec, s[2:3]
.LBB48_17:
	s_or_b64 exec, exec, s[4:5]
.LBB48_18:
	v_mov_b32_dpp v0, v4 row_shr:1 row_mask:0xf bank_mask:0xf
	v_mov_b32_dpp v1, v5 row_shr:1 row_mask:0xf bank_mask:0xf
	v_pk_add_f32 v[0:1], v[4:5], v[0:1]
	v_cmp_eq_u32_e32 vcc, 31, v3
	s_nop 0
	v_mov_b32_dpp v4, v0 row_shr:2 row_mask:0xf bank_mask:0xf
	v_mov_b32_dpp v5, v1 row_shr:2 row_mask:0xf bank_mask:0xf
	v_pk_add_f32 v[0:1], v[0:1], v[4:5]
	s_nop 1
	v_mov_b32_dpp v4, v0 row_shr:4 row_mask:0xf bank_mask:0xe
	v_mov_b32_dpp v5, v1 row_shr:4 row_mask:0xf bank_mask:0xe
	v_pk_add_f32 v[0:1], v[0:1], v[4:5]
	s_nop 1
	v_mov_b32_dpp v4, v0 row_shr:8 row_mask:0xf bank_mask:0xc
	v_mov_b32_dpp v5, v1 row_shr:8 row_mask:0xf bank_mask:0xc
	v_pk_add_f32 v[0:1], v[0:1], v[4:5]
	s_nop 1
	v_mov_b32_dpp v4, v0 row_bcast:15 row_mask:0xa bank_mask:0xf
	v_mov_b32_dpp v5, v1 row_bcast:15 row_mask:0xa bank_mask:0xf
	s_and_b64 exec, exec, vcc
	s_cbranch_execz .LBB48_22
; %bb.19:
	s_load_dwordx2 s[0:1], s[0:1], 0x38
	v_cmp_eq_f32_e64 s[2:3], s12, 0
	v_pk_add_f32 v[0:1], v[0:1], v[4:5]
	s_and_b64 vcc, exec, s[2:3]
	v_lshlrev_b32_e32 v2, 1, v2
	s_cbranch_vccz .LBB48_23
; %bb.20:
	v_ashrrev_i32_e32 v3, 31, v2
	s_waitcnt lgkmcnt(0)
	v_lshl_add_u64 v[4:5], v[2:3], 2, s[0:1]
	v_pk_mul_f32 v[6:7], s[14:15], v[0:1] op_sel_hi:[0,1]
	global_store_dwordx2 v[4:5], v[6:7], off
	s_cbranch_execnz .LBB48_22
.LBB48_21:
	v_ashrrev_i32_e32 v3, 31, v2
	s_waitcnt lgkmcnt(0)
	v_lshl_add_u64 v[2:3], v[2:3], 2, s[0:1]
	global_load_dwordx2 v[4:5], v[2:3], off
	v_pk_mul_f32 v[0:1], s[14:15], v[0:1] op_sel_hi:[0,1]
	s_waitcnt vmcnt(0)
	v_pk_fma_f32 v[0:1], s[12:13], v[4:5], v[0:1] op_sel_hi:[0,1,1]
	global_store_dwordx2 v[2:3], v[0:1], off
.LBB48_22:
	s_endpgm
.LBB48_23:
	s_branch .LBB48_21
	.section	.rodata,"a",@progbits
	.p2align	6, 0x0
	.amdhsa_kernel _ZN9rocsparseL19gebsrmvn_2xn_kernelILj128ELj11ELj32EfEEvi20rocsparse_direction_NS_24const_host_device_scalarIT2_EEPKiS6_PKS3_S8_S4_PS3_21rocsparse_index_base_b
		.amdhsa_group_segment_fixed_size 0
		.amdhsa_private_segment_fixed_size 0
		.amdhsa_kernarg_size 72
		.amdhsa_user_sgpr_count 2
		.amdhsa_user_sgpr_dispatch_ptr 0
		.amdhsa_user_sgpr_queue_ptr 0
		.amdhsa_user_sgpr_kernarg_segment_ptr 1
		.amdhsa_user_sgpr_dispatch_id 0
		.amdhsa_user_sgpr_kernarg_preload_length 0
		.amdhsa_user_sgpr_kernarg_preload_offset 0
		.amdhsa_user_sgpr_private_segment_size 0
		.amdhsa_uses_dynamic_stack 0
		.amdhsa_enable_private_segment 0
		.amdhsa_system_sgpr_workgroup_id_x 1
		.amdhsa_system_sgpr_workgroup_id_y 0
		.amdhsa_system_sgpr_workgroup_id_z 0
		.amdhsa_system_sgpr_workgroup_info 0
		.amdhsa_system_vgpr_workitem_id 0
		.amdhsa_next_free_vgpr 60
		.amdhsa_next_free_sgpr 20
		.amdhsa_accum_offset 60
		.amdhsa_reserve_vcc 1
		.amdhsa_float_round_mode_32 0
		.amdhsa_float_round_mode_16_64 0
		.amdhsa_float_denorm_mode_32 3
		.amdhsa_float_denorm_mode_16_64 3
		.amdhsa_dx10_clamp 1
		.amdhsa_ieee_mode 1
		.amdhsa_fp16_overflow 0
		.amdhsa_tg_split 0
		.amdhsa_exception_fp_ieee_invalid_op 0
		.amdhsa_exception_fp_denorm_src 0
		.amdhsa_exception_fp_ieee_div_zero 0
		.amdhsa_exception_fp_ieee_overflow 0
		.amdhsa_exception_fp_ieee_underflow 0
		.amdhsa_exception_fp_ieee_inexact 0
		.amdhsa_exception_int_div_zero 0
	.end_amdhsa_kernel
	.section	.text._ZN9rocsparseL19gebsrmvn_2xn_kernelILj128ELj11ELj32EfEEvi20rocsparse_direction_NS_24const_host_device_scalarIT2_EEPKiS6_PKS3_S8_S4_PS3_21rocsparse_index_base_b,"axG",@progbits,_ZN9rocsparseL19gebsrmvn_2xn_kernelILj128ELj11ELj32EfEEvi20rocsparse_direction_NS_24const_host_device_scalarIT2_EEPKiS6_PKS3_S8_S4_PS3_21rocsparse_index_base_b,comdat
.Lfunc_end48:
	.size	_ZN9rocsparseL19gebsrmvn_2xn_kernelILj128ELj11ELj32EfEEvi20rocsparse_direction_NS_24const_host_device_scalarIT2_EEPKiS6_PKS3_S8_S4_PS3_21rocsparse_index_base_b, .Lfunc_end48-_ZN9rocsparseL19gebsrmvn_2xn_kernelILj128ELj11ELj32EfEEvi20rocsparse_direction_NS_24const_host_device_scalarIT2_EEPKiS6_PKS3_S8_S4_PS3_21rocsparse_index_base_b
                                        ; -- End function
	.section	.AMDGPU.csdata,"",@progbits
; Kernel info:
; codeLenInByte = 2116
; NumSgprs: 26
; NumVgprs: 60
; NumAgprs: 0
; TotalNumVgprs: 60
; ScratchSize: 0
; MemoryBound: 0
; FloatMode: 240
; IeeeMode: 1
; LDSByteSize: 0 bytes/workgroup (compile time only)
; SGPRBlocks: 3
; VGPRBlocks: 7
; NumSGPRsForWavesPerEU: 26
; NumVGPRsForWavesPerEU: 60
; AccumOffset: 60
; Occupancy: 8
; WaveLimiterHint : 1
; COMPUTE_PGM_RSRC2:SCRATCH_EN: 0
; COMPUTE_PGM_RSRC2:USER_SGPR: 2
; COMPUTE_PGM_RSRC2:TRAP_HANDLER: 0
; COMPUTE_PGM_RSRC2:TGID_X_EN: 1
; COMPUTE_PGM_RSRC2:TGID_Y_EN: 0
; COMPUTE_PGM_RSRC2:TGID_Z_EN: 0
; COMPUTE_PGM_RSRC2:TIDIG_COMP_CNT: 0
; COMPUTE_PGM_RSRC3_GFX90A:ACCUM_OFFSET: 14
; COMPUTE_PGM_RSRC3_GFX90A:TG_SPLIT: 0
	.section	.text._ZN9rocsparseL19gebsrmvn_2xn_kernelILj128ELj11ELj64EfEEvi20rocsparse_direction_NS_24const_host_device_scalarIT2_EEPKiS6_PKS3_S8_S4_PS3_21rocsparse_index_base_b,"axG",@progbits,_ZN9rocsparseL19gebsrmvn_2xn_kernelILj128ELj11ELj64EfEEvi20rocsparse_direction_NS_24const_host_device_scalarIT2_EEPKiS6_PKS3_S8_S4_PS3_21rocsparse_index_base_b,comdat
	.globl	_ZN9rocsparseL19gebsrmvn_2xn_kernelILj128ELj11ELj64EfEEvi20rocsparse_direction_NS_24const_host_device_scalarIT2_EEPKiS6_PKS3_S8_S4_PS3_21rocsparse_index_base_b ; -- Begin function _ZN9rocsparseL19gebsrmvn_2xn_kernelILj128ELj11ELj64EfEEvi20rocsparse_direction_NS_24const_host_device_scalarIT2_EEPKiS6_PKS3_S8_S4_PS3_21rocsparse_index_base_b
	.p2align	8
	.type	_ZN9rocsparseL19gebsrmvn_2xn_kernelILj128ELj11ELj64EfEEvi20rocsparse_direction_NS_24const_host_device_scalarIT2_EEPKiS6_PKS3_S8_S4_PS3_21rocsparse_index_base_b,@function
_ZN9rocsparseL19gebsrmvn_2xn_kernelILj128ELj11ELj64EfEEvi20rocsparse_direction_NS_24const_host_device_scalarIT2_EEPKiS6_PKS3_S8_S4_PS3_21rocsparse_index_base_b: ; @_ZN9rocsparseL19gebsrmvn_2xn_kernelILj128ELj11ELj64EfEEvi20rocsparse_direction_NS_24const_host_device_scalarIT2_EEPKiS6_PKS3_S8_S4_PS3_21rocsparse_index_base_b
; %bb.0:
	s_load_dwordx2 s[16:17], s[0:1], 0x40
	s_load_dwordx2 s[14:15], s[0:1], 0x8
	;; [unrolled: 1-line block ×3, first 2 shown]
	s_waitcnt lgkmcnt(0)
	s_bitcmp1_b32 s17, 0
	s_cselect_b64 s[6:7], -1, 0
	s_xor_b64 s[4:5], s[6:7], -1
	s_and_b64 vcc, exec, s[6:7]
	s_cbranch_vccnz .LBB49_2
; %bb.1:
	s_load_dword s14, s[14:15], 0x0
.LBB49_2:
	s_andn2_b64 vcc, exec, s[4:5]
	s_cbranch_vccnz .LBB49_4
; %bb.3:
	s_load_dword s12, s[12:13], 0x0
.LBB49_4:
	s_waitcnt lgkmcnt(0)
	v_cmp_eq_f32_e64 s[4:5], s14, 0
	v_cmp_eq_f32_e64 s[6:7], s12, 1.0
	s_and_b64 s[4:5], s[4:5], s[6:7]
	s_and_b64 vcc, exec, s[4:5]
	s_cbranch_vccnz .LBB49_22
; %bb.5:
	s_load_dwordx2 s[18:19], s[0:1], 0x0
	v_lshrrev_b32_e32 v1, 6, v0
	v_lshl_or_b32 v2, s2, 1, v1
	s_waitcnt lgkmcnt(0)
	v_cmp_gt_i32_e32 vcc, s18, v2
	s_and_saveexec_b64 s[2:3], vcc
	s_cbranch_execz .LBB49_22
; %bb.6:
	s_load_dwordx8 s[4:11], s[0:1], 0x10
	v_ashrrev_i32_e32 v3, 31, v2
	s_cmp_lg_u32 s19, 0
	s_waitcnt lgkmcnt(0)
	v_lshl_add_u64 v[4:5], v[2:3], 2, s[4:5]
	global_load_dwordx2 v[4:5], v[4:5], off
	v_and_b32_e32 v3, 63, v0
	s_waitcnt vmcnt(0)
	v_subrev_u32_e32 v0, s16, v4
	v_subrev_u32_e32 v12, s16, v5
	v_add_u32_e32 v0, v0, v3
	v_cmp_lt_i32_e64 s[2:3], v0, v12
	s_cbranch_scc0 .LBB49_12
; %bb.7:
	v_mov_b32_e32 v5, 0
	v_mov_b32_e32 v4, v5
	s_and_saveexec_b64 s[4:5], s[2:3]
	s_cbranch_execz .LBB49_11
; %bb.8:
	v_mad_u64_u32 v[6:7], s[18:19], v0, 22, 20
	v_mov_b32_e32 v9, 0
	s_mov_b64 s[18:19], 0
	v_mov_b32_e32 v10, v0
	v_mov_b32_e32 v4, v9
	;; [unrolled: 1-line block ×3, first 2 shown]
.LBB49_9:                               ; =>This Inner Loop Header: Depth=1
	v_ashrrev_i32_e32 v11, 31, v10
	v_lshl_add_u64 v[14:15], v[10:11], 2, s[6:7]
	global_load_dword v1, v[14:15], off
	v_subrev_u32_e32 v8, 20, v6
	v_mov_b32_e32 v7, v9
	v_lshl_add_u64 v[16:17], v[8:9], 2, s[8:9]
	v_subrev_u32_e32 v8, 18, v6
	v_lshl_add_u64 v[18:19], v[6:7], 2, s[8:9]
	v_lshl_add_u64 v[20:21], v[8:9], 2, s[8:9]
	global_load_dwordx2 v[16:17], v[16:17], off
	s_nop 0
	global_load_dwordx2 v[22:23], v[18:19], off
	global_load_dwordx2 v[24:25], v[20:21], off
	v_mov_b32_e32 v15, v9
	v_add_u32_e32 v10, 64, v10
	v_cmp_ge_i32_e32 vcc, v10, v12
	s_or_b64 s[18:19], vcc, s[18:19]
	s_waitcnt vmcnt(3)
	v_subrev_u32_e32 v1, s16, v1
	v_mul_lo_u32 v14, v1, 11
	v_add_u32_e32 v8, 1, v14
	v_lshl_add_u64 v[20:21], v[8:9], 2, s[10:11]
	v_add_u32_e32 v8, -16, v6
	v_lshl_add_u64 v[26:27], v[8:9], 2, s[8:9]
	v_add_u32_e32 v8, 2, v14
	v_lshl_add_u64 v[28:29], v[8:9], 2, s[10:11]
	v_add_u32_e32 v8, -14, v6
	v_lshl_add_u64 v[30:31], v[8:9], 2, s[8:9]
	;; [unrolled: 4-line block ×4, first 2 shown]
	v_lshl_add_u64 v[38:39], v[8:9], 2, s[8:9]
	v_add_u32_e32 v8, 5, v14
	global_load_dword v18, v[18:19], off
	v_lshl_add_u64 v[40:41], v[8:9], 2, s[10:11]
	global_load_dword v20, v[20:21], off
	v_add_u32_e32 v8, -8, v6
	v_lshl_add_u64 v[42:43], v[8:9], 2, s[8:9]
	v_add_u32_e32 v8, 6, v14
	global_load_dwordx2 v[26:27], v[26:27], off
	v_lshl_add_u64 v[44:45], v[8:9], 2, s[10:11]
	global_load_dword v28, v[28:29], off
	v_add_u32_e32 v8, -6, v6
	global_load_dwordx2 v[30:31], v[30:31], off
	v_lshl_add_u64 v[46:47], v[8:9], 2, s[8:9]
	global_load_dword v32, v[32:33], off
	v_add_u32_e32 v8, 7, v14
	global_load_dwordx2 v[34:35], v[34:35], off
	v_lshl_add_u64 v[48:49], v[8:9], 2, s[10:11]
	global_load_dword v36, v[36:37], off
	v_add_u32_e32 v8, -4, v6
	global_load_dwordx2 v[38:39], v[38:39], off
	v_lshl_add_u64 v[50:51], v[8:9], 2, s[8:9]
	global_load_dword v40, v[40:41], off
	;; [unrolled: 8-line block ×3, first 2 shown]
	v_add_u32_e32 v8, 9, v14
	global_load_dwordx2 v[50:51], v[50:51], off
	v_lshl_add_u64 v[56:57], v[8:9], 2, s[10:11]
	global_load_dword v52, v[52:53], off
	v_add_u32_e32 v8, 10, v14
	global_load_dwordx2 v[54:55], v[54:55], off
	v_add_u32_e32 v6, 0x580, v6
	global_load_dword v14, v[56:57], off
	v_lshl_add_u64 v[56:57], v[8:9], 2, s[10:11]
	global_load_dword v8, v[56:57], off
	s_waitcnt vmcnt(18)
	v_pk_fma_f32 v[4:5], v[16:17], v[18:19], v[4:5] op_sel_hi:[1,0,1]
	s_waitcnt vmcnt(17)
	v_pk_fma_f32 v[4:5], v[24:25], v[20:21], v[4:5] op_sel_hi:[1,0,1]
	;; [unrolled: 2-line block ×11, first 2 shown]
	s_andn2_b64 exec, exec, s[18:19]
	s_cbranch_execnz .LBB49_9
; %bb.10:
	s_or_b64 exec, exec, s[18:19]
.LBB49_11:
	s_or_b64 exec, exec, s[4:5]
	s_cbranch_execz .LBB49_13
	s_branch .LBB49_18
.LBB49_12:
                                        ; implicit-def: $vgpr5
.LBB49_13:
	v_mov_b32_e32 v5, 0
	v_mov_b32_e32 v4, v5
	s_and_saveexec_b64 s[4:5], s[2:3]
	s_cbranch_execz .LBB49_17
; %bb.14:
	v_mad_u64_u32 v[6:7], s[2:3], v0, 22, 21
	v_mov_b32_e32 v9, 0
	s_mov_b64 s[2:3], 0
	v_mov_b32_e32 v4, v9
	v_mov_b32_e32 v5, v9
.LBB49_15:                              ; =>This Inner Loop Header: Depth=1
	v_ashrrev_i32_e32 v1, 31, v0
	v_lshl_add_u64 v[10:11], v[0:1], 2, s[6:7]
	global_load_dword v1, v[10:11], off
	v_subrev_u32_e32 v8, 21, v6
	v_add_u32_e32 v14, -10, v6
	v_mov_b32_e32 v15, v9
	v_mov_b32_e32 v7, v9
	v_lshl_add_u64 v[16:17], v[8:9], 2, s[8:9]
	v_lshl_add_u64 v[14:15], v[14:15], 2, s[8:9]
	;; [unrolled: 1-line block ×3, first 2 shown]
	global_load_dwordx2 v[20:21], v[16:17], off
	global_load_dword v23, v[14:15], off
	global_load_dword v25, v[18:19], off
	v_mov_b32_e32 v11, v9
	v_add_u32_e32 v0, 64, v0
	v_cmp_ge_i32_e32 vcc, v0, v12
	s_or_b64 s[2:3], vcc, s[2:3]
	s_waitcnt vmcnt(3)
	v_subrev_u32_e32 v1, s16, v1
	v_mul_lo_u32 v10, v1, 11
	v_add_u32_e32 v8, 1, v10
	v_lshl_add_u64 v[16:17], v[8:9], 2, s[10:11]
	v_add_u32_e32 v8, -9, v6
	v_lshl_add_u64 v[18:19], v[8:9], 2, s[8:9]
	v_subrev_u32_e32 v8, 19, v6
	v_lshl_add_u64 v[14:15], v[10:11], 2, s[10:11]
	v_lshl_add_u64 v[26:27], v[8:9], 2, s[8:9]
	v_add_u32_e32 v8, 2, v10
	global_load_dword v14, v[14:15], off
	s_waitcnt vmcnt(3)
	v_mov_b32_e32 v22, v20
	global_load_dword v16, v[16:17], off
	s_nop 0
	global_load_dword v11, v[18:19], off
	global_load_dword v28, v[26:27], off
	v_lshl_add_u64 v[18:19], v[8:9], 2, s[10:11]
	v_add_u32_e32 v8, -8, v6
	v_lshl_add_u64 v[26:27], v[8:9], 2, s[8:9]
	v_subrev_u32_e32 v8, 18, v6
	v_lshl_add_u64 v[30:31], v[8:9], 2, s[8:9]
	v_add_u32_e32 v8, 3, v10
	global_load_dword v18, v[18:19], off
	s_nop 0
	global_load_dword v29, v[26:27], off
	global_load_dword v32, v[30:31], off
	v_lshl_add_u64 v[26:27], v[8:9], 2, s[10:11]
	v_add_u32_e32 v8, -7, v6
	v_lshl_add_u64 v[30:31], v[8:9], 2, s[8:9]
	v_subrev_u32_e32 v8, 17, v6
	v_lshl_add_u64 v[34:35], v[8:9], 2, s[8:9]
	v_add_u32_e32 v8, 4, v10
	global_load_dword v26, v[26:27], off
	s_nop 0
	global_load_dword v33, v[30:31], off
	global_load_dword v36, v[34:35], off
	v_lshl_add_u64 v[30:31], v[8:9], 2, s[10:11]
	v_add_u32_e32 v8, -6, v6
	v_lshl_add_u64 v[34:35], v[8:9], 2, s[8:9]
	v_add_u32_e32 v8, -16, v6
	v_lshl_add_u64 v[38:39], v[8:9], 2, s[8:9]
	v_add_u32_e32 v8, 5, v10
	global_load_dword v30, v[30:31], off
	s_nop 0
	global_load_dword v37, v[34:35], off
	global_load_dword v40, v[38:39], off
	v_lshl_add_u64 v[34:35], v[8:9], 2, s[10:11]
	v_add_u32_e32 v8, -5, v6
	v_lshl_add_u64 v[38:39], v[8:9], 2, s[8:9]
	v_add_u32_e32 v8, -15, v6
	;; [unrolled: 10-line block ×6, first 2 shown]
	v_lshl_add_u64 v[58:59], v[8:9], 2, s[8:9]
	v_add_u32_e32 v8, 10, v10
	global_load_dword v50, v[50:51], off
	s_nop 0
	global_load_dword v57, v[54:55], off
	global_load_dword v24, v[58:59], off
	v_lshl_add_u64 v[54:55], v[8:9], 2, s[10:11]
	global_load_dword v8, v[54:55], off
	v_mov_b32_e32 v10, v21
	v_add_u32_e32 v6, 0x580, v6
	s_waitcnt vmcnt(28)
	v_pk_fma_f32 v[4:5], v[22:23], v[14:15], v[4:5] op_sel_hi:[1,0,1]
	s_waitcnt vmcnt(26)
	v_pk_fma_f32 v[4:5], v[10:11], v[16:17], v[4:5] op_sel_hi:[1,0,1]
	;; [unrolled: 2-line block ×11, first 2 shown]
	s_andn2_b64 exec, exec, s[2:3]
	s_cbranch_execnz .LBB49_15
; %bb.16:
	s_or_b64 exec, exec, s[2:3]
.LBB49_17:
	s_or_b64 exec, exec, s[4:5]
.LBB49_18:
	v_mov_b32_dpp v0, v4 row_shr:1 row_mask:0xf bank_mask:0xf
	v_mov_b32_dpp v1, v5 row_shr:1 row_mask:0xf bank_mask:0xf
	v_pk_add_f32 v[0:1], v[4:5], v[0:1]
	v_cmp_eq_u32_e32 vcc, 63, v3
	s_nop 0
	v_mov_b32_dpp v4, v0 row_shr:2 row_mask:0xf bank_mask:0xf
	v_mov_b32_dpp v5, v1 row_shr:2 row_mask:0xf bank_mask:0xf
	v_pk_add_f32 v[0:1], v[0:1], v[4:5]
	s_nop 1
	v_mov_b32_dpp v4, v0 row_shr:4 row_mask:0xf bank_mask:0xe
	v_mov_b32_dpp v5, v1 row_shr:4 row_mask:0xf bank_mask:0xe
	v_pk_add_f32 v[0:1], v[0:1], v[4:5]
	;; [unrolled: 4-line block ×3, first 2 shown]
	s_nop 1
	v_mov_b32_dpp v4, v0 row_bcast:15 row_mask:0xa bank_mask:0xf
	v_mov_b32_dpp v5, v1 row_bcast:15 row_mask:0xa bank_mask:0xf
	v_pk_add_f32 v[0:1], v[0:1], v[4:5]
	s_nop 1
	v_mov_b32_dpp v4, v0 row_bcast:31 row_mask:0xc bank_mask:0xf
	v_mov_b32_dpp v5, v1 row_bcast:31 row_mask:0xc bank_mask:0xf
	s_and_b64 exec, exec, vcc
	s_cbranch_execz .LBB49_22
; %bb.19:
	s_load_dwordx2 s[0:1], s[0:1], 0x38
	v_cmp_eq_f32_e64 s[2:3], s12, 0
	v_pk_add_f32 v[0:1], v[0:1], v[4:5]
	s_and_b64 vcc, exec, s[2:3]
	v_lshlrev_b32_e32 v2, 1, v2
	s_cbranch_vccz .LBB49_23
; %bb.20:
	v_ashrrev_i32_e32 v3, 31, v2
	s_waitcnt lgkmcnt(0)
	v_lshl_add_u64 v[4:5], v[2:3], 2, s[0:1]
	v_pk_mul_f32 v[6:7], s[14:15], v[0:1] op_sel_hi:[0,1]
	global_store_dwordx2 v[4:5], v[6:7], off
	s_cbranch_execnz .LBB49_22
.LBB49_21:
	v_ashrrev_i32_e32 v3, 31, v2
	s_waitcnt lgkmcnt(0)
	v_lshl_add_u64 v[2:3], v[2:3], 2, s[0:1]
	global_load_dwordx2 v[4:5], v[2:3], off
	v_pk_mul_f32 v[0:1], s[14:15], v[0:1] op_sel_hi:[0,1]
	s_waitcnt vmcnt(0)
	v_pk_fma_f32 v[0:1], s[12:13], v[4:5], v[0:1] op_sel_hi:[0,1,1]
	global_store_dwordx2 v[2:3], v[0:1], off
.LBB49_22:
	s_endpgm
.LBB49_23:
	s_branch .LBB49_21
	.section	.rodata,"a",@progbits
	.p2align	6, 0x0
	.amdhsa_kernel _ZN9rocsparseL19gebsrmvn_2xn_kernelILj128ELj11ELj64EfEEvi20rocsparse_direction_NS_24const_host_device_scalarIT2_EEPKiS6_PKS3_S8_S4_PS3_21rocsparse_index_base_b
		.amdhsa_group_segment_fixed_size 0
		.amdhsa_private_segment_fixed_size 0
		.amdhsa_kernarg_size 72
		.amdhsa_user_sgpr_count 2
		.amdhsa_user_sgpr_dispatch_ptr 0
		.amdhsa_user_sgpr_queue_ptr 0
		.amdhsa_user_sgpr_kernarg_segment_ptr 1
		.amdhsa_user_sgpr_dispatch_id 0
		.amdhsa_user_sgpr_kernarg_preload_length 0
		.amdhsa_user_sgpr_kernarg_preload_offset 0
		.amdhsa_user_sgpr_private_segment_size 0
		.amdhsa_uses_dynamic_stack 0
		.amdhsa_enable_private_segment 0
		.amdhsa_system_sgpr_workgroup_id_x 1
		.amdhsa_system_sgpr_workgroup_id_y 0
		.amdhsa_system_sgpr_workgroup_id_z 0
		.amdhsa_system_sgpr_workgroup_info 0
		.amdhsa_system_vgpr_workitem_id 0
		.amdhsa_next_free_vgpr 60
		.amdhsa_next_free_sgpr 20
		.amdhsa_accum_offset 60
		.amdhsa_reserve_vcc 1
		.amdhsa_float_round_mode_32 0
		.amdhsa_float_round_mode_16_64 0
		.amdhsa_float_denorm_mode_32 3
		.amdhsa_float_denorm_mode_16_64 3
		.amdhsa_dx10_clamp 1
		.amdhsa_ieee_mode 1
		.amdhsa_fp16_overflow 0
		.amdhsa_tg_split 0
		.amdhsa_exception_fp_ieee_invalid_op 0
		.amdhsa_exception_fp_denorm_src 0
		.amdhsa_exception_fp_ieee_div_zero 0
		.amdhsa_exception_fp_ieee_overflow 0
		.amdhsa_exception_fp_ieee_underflow 0
		.amdhsa_exception_fp_ieee_inexact 0
		.amdhsa_exception_int_div_zero 0
	.end_amdhsa_kernel
	.section	.text._ZN9rocsparseL19gebsrmvn_2xn_kernelILj128ELj11ELj64EfEEvi20rocsparse_direction_NS_24const_host_device_scalarIT2_EEPKiS6_PKS3_S8_S4_PS3_21rocsparse_index_base_b,"axG",@progbits,_ZN9rocsparseL19gebsrmvn_2xn_kernelILj128ELj11ELj64EfEEvi20rocsparse_direction_NS_24const_host_device_scalarIT2_EEPKiS6_PKS3_S8_S4_PS3_21rocsparse_index_base_b,comdat
.Lfunc_end49:
	.size	_ZN9rocsparseL19gebsrmvn_2xn_kernelILj128ELj11ELj64EfEEvi20rocsparse_direction_NS_24const_host_device_scalarIT2_EEPKiS6_PKS3_S8_S4_PS3_21rocsparse_index_base_b, .Lfunc_end49-_ZN9rocsparseL19gebsrmvn_2xn_kernelILj128ELj11ELj64EfEEvi20rocsparse_direction_NS_24const_host_device_scalarIT2_EEPKiS6_PKS3_S8_S4_PS3_21rocsparse_index_base_b
                                        ; -- End function
	.section	.AMDGPU.csdata,"",@progbits
; Kernel info:
; codeLenInByte = 2144
; NumSgprs: 26
; NumVgprs: 60
; NumAgprs: 0
; TotalNumVgprs: 60
; ScratchSize: 0
; MemoryBound: 0
; FloatMode: 240
; IeeeMode: 1
; LDSByteSize: 0 bytes/workgroup (compile time only)
; SGPRBlocks: 3
; VGPRBlocks: 7
; NumSGPRsForWavesPerEU: 26
; NumVGPRsForWavesPerEU: 60
; AccumOffset: 60
; Occupancy: 8
; WaveLimiterHint : 1
; COMPUTE_PGM_RSRC2:SCRATCH_EN: 0
; COMPUTE_PGM_RSRC2:USER_SGPR: 2
; COMPUTE_PGM_RSRC2:TRAP_HANDLER: 0
; COMPUTE_PGM_RSRC2:TGID_X_EN: 1
; COMPUTE_PGM_RSRC2:TGID_Y_EN: 0
; COMPUTE_PGM_RSRC2:TGID_Z_EN: 0
; COMPUTE_PGM_RSRC2:TIDIG_COMP_CNT: 0
; COMPUTE_PGM_RSRC3_GFX90A:ACCUM_OFFSET: 14
; COMPUTE_PGM_RSRC3_GFX90A:TG_SPLIT: 0
	.section	.text._ZN9rocsparseL19gebsrmvn_2xn_kernelILj128ELj12ELj4EfEEvi20rocsparse_direction_NS_24const_host_device_scalarIT2_EEPKiS6_PKS3_S8_S4_PS3_21rocsparse_index_base_b,"axG",@progbits,_ZN9rocsparseL19gebsrmvn_2xn_kernelILj128ELj12ELj4EfEEvi20rocsparse_direction_NS_24const_host_device_scalarIT2_EEPKiS6_PKS3_S8_S4_PS3_21rocsparse_index_base_b,comdat
	.globl	_ZN9rocsparseL19gebsrmvn_2xn_kernelILj128ELj12ELj4EfEEvi20rocsparse_direction_NS_24const_host_device_scalarIT2_EEPKiS6_PKS3_S8_S4_PS3_21rocsparse_index_base_b ; -- Begin function _ZN9rocsparseL19gebsrmvn_2xn_kernelILj128ELj12ELj4EfEEvi20rocsparse_direction_NS_24const_host_device_scalarIT2_EEPKiS6_PKS3_S8_S4_PS3_21rocsparse_index_base_b
	.p2align	8
	.type	_ZN9rocsparseL19gebsrmvn_2xn_kernelILj128ELj12ELj4EfEEvi20rocsparse_direction_NS_24const_host_device_scalarIT2_EEPKiS6_PKS3_S8_S4_PS3_21rocsparse_index_base_b,@function
_ZN9rocsparseL19gebsrmvn_2xn_kernelILj128ELj12ELj4EfEEvi20rocsparse_direction_NS_24const_host_device_scalarIT2_EEPKiS6_PKS3_S8_S4_PS3_21rocsparse_index_base_b: ; @_ZN9rocsparseL19gebsrmvn_2xn_kernelILj128ELj12ELj4EfEEvi20rocsparse_direction_NS_24const_host_device_scalarIT2_EEPKiS6_PKS3_S8_S4_PS3_21rocsparse_index_base_b
; %bb.0:
	s_load_dwordx2 s[16:17], s[0:1], 0x40
	s_load_dwordx2 s[14:15], s[0:1], 0x8
	;; [unrolled: 1-line block ×3, first 2 shown]
	s_waitcnt lgkmcnt(0)
	s_bitcmp1_b32 s17, 0
	s_cselect_b64 s[6:7], -1, 0
	s_xor_b64 s[4:5], s[6:7], -1
	s_and_b64 vcc, exec, s[6:7]
	s_cbranch_vccnz .LBB50_2
; %bb.1:
	s_load_dword s14, s[14:15], 0x0
.LBB50_2:
	s_andn2_b64 vcc, exec, s[4:5]
	s_cbranch_vccnz .LBB50_4
; %bb.3:
	s_load_dword s12, s[12:13], 0x0
.LBB50_4:
	s_waitcnt lgkmcnt(0)
	v_cmp_eq_f32_e64 s[4:5], s14, 0
	v_cmp_eq_f32_e64 s[6:7], s12, 1.0
	s_and_b64 s[4:5], s[4:5], s[6:7]
	s_and_b64 vcc, exec, s[4:5]
	s_cbranch_vccnz .LBB50_22
; %bb.5:
	s_load_dwordx2 s[18:19], s[0:1], 0x0
	v_lshrrev_b32_e32 v1, 2, v0
	v_lshl_or_b32 v2, s2, 5, v1
	s_waitcnt lgkmcnt(0)
	v_cmp_gt_i32_e32 vcc, s18, v2
	s_and_saveexec_b64 s[2:3], vcc
	s_cbranch_execz .LBB50_22
; %bb.6:
	s_load_dwordx8 s[4:11], s[0:1], 0x10
	v_ashrrev_i32_e32 v3, 31, v2
	s_cmp_lg_u32 s19, 0
	s_waitcnt lgkmcnt(0)
	v_lshl_add_u64 v[4:5], v[2:3], 2, s[4:5]
	global_load_dwordx2 v[4:5], v[4:5], off
	v_and_b32_e32 v3, 3, v0
	s_waitcnt vmcnt(0)
	v_subrev_u32_e32 v0, s16, v4
	v_subrev_u32_e32 v12, s16, v5
	v_add_u32_e32 v0, v0, v3
	v_cmp_lt_i32_e64 s[2:3], v0, v12
	s_cbranch_scc0 .LBB50_12
; %bb.7:
	v_mov_b32_e32 v5, 0
	v_mov_b32_e32 v4, v5
	s_and_saveexec_b64 s[4:5], s[2:3]
	s_cbranch_execz .LBB50_11
; %bb.8:
	v_mad_u64_u32 v[6:7], s[18:19], v0, 24, 22
	v_mov_b32_e32 v9, 0
	s_mov_b64 s[18:19], 0
	v_mov_b32_e32 v10, v0
	v_mov_b32_e32 v4, v9
	;; [unrolled: 1-line block ×3, first 2 shown]
.LBB50_9:                               ; =>This Inner Loop Header: Depth=1
	v_ashrrev_i32_e32 v11, 31, v10
	v_lshl_add_u64 v[14:15], v[10:11], 2, s[6:7]
	global_load_dword v1, v[14:15], off
	v_subrev_u32_e32 v8, 22, v6
	v_lshl_add_u64 v[22:23], v[8:9], 2, s[8:9]
	v_add_u32_e32 v8, -14, v6
	v_mov_b32_e32 v31, v9
	global_load_dwordx4 v[14:17], v[22:23], off offset:16
	global_load_dwordx4 v[18:21], v[22:23], off
	v_lshl_add_u64 v[22:23], v[8:9], 2, s[8:9]
	global_load_dwordx2 v[36:37], v[22:23], off
	v_mov_b32_e32 v7, v9
	v_lshl_add_u64 v[34:35], v[6:7], 2, s[8:9]
	v_add_u32_e32 v10, 4, v10
	v_cmp_ge_i32_e32 vcc, v10, v12
	s_or_b64 s[18:19], vcc, s[18:19]
	s_waitcnt vmcnt(3)
	v_subrev_u32_e32 v1, s16, v1
	v_mul_lo_u32 v30, v1, 12
	v_lshl_add_u64 v[22:23], v[30:31], 2, s[10:11]
	global_load_dwordx4 v[22:25], v[22:23], off
	v_add_u32_e32 v8, 4, v30
	v_lshl_add_u64 v[26:27], v[8:9], 2, s[10:11]
	global_load_dwordx4 v[26:29], v[26:27], off
	v_add_u32_e32 v8, -12, v6
	v_lshl_add_u64 v[32:33], v[8:9], 2, s[8:9]
	v_add_u32_e32 v8, -10, v6
	v_lshl_add_u64 v[38:39], v[8:9], 2, s[8:9]
	v_add_u32_e32 v8, -8, v6
	global_load_dwordx2 v[40:41], v[32:33], off
	s_waitcnt vmcnt(2)
	v_pk_fma_f32 v[4:5], v[18:19], v[22:23], v[4:5] op_sel_hi:[1,0,1]
	global_load_dwordx2 v[38:39], v[38:39], off
	v_lshl_add_u64 v[32:33], v[8:9], 2, s[8:9]
	v_add_u32_e32 v8, -6, v6
	v_lshl_add_u64 v[42:43], v[8:9], 2, s[8:9]
	v_add_u32_e32 v8, 8, v30
	v_lshl_add_u64 v[30:31], v[8:9], 2, s[10:11]
	global_load_dwordx2 v[44:45], v[32:33], off
	global_load_dwordx2 v[46:47], v[42:43], off
	v_add_u32_e32 v8, -4, v6
	global_load_dwordx4 v[30:33], v[30:31], off
	v_lshl_add_u64 v[42:43], v[8:9], 2, s[8:9]
	v_add_u32_e32 v8, -2, v6
	v_lshl_add_u64 v[48:49], v[8:9], 2, s[8:9]
	global_load_dwordx2 v[50:51], v[42:43], off
	global_load_dwordx2 v[52:53], v[48:49], off
	;; [unrolled: 1-line block ×3, first 2 shown]
	v_pk_fma_f32 v[4:5], v[20:21], v[22:23], v[4:5] op_sel:[0,1,0]
	v_mov_b32_e32 v8, v25
	v_pk_fma_f32 v[4:5], v[14:15], v[24:25], v[4:5] op_sel_hi:[1,0,1]
	s_waitcnt vmcnt(8)
	v_mov_b32_e32 v18, v29
	v_pk_fma_f32 v[4:5], v[16:17], v[8:9], v[4:5] op_sel_hi:[1,0,1]
	v_add_u32_e32 v6, 0x60, v6
	v_pk_fma_f32 v[4:5], v[36:37], v[26:27], v[4:5] op_sel_hi:[1,0,1]
	s_waitcnt vmcnt(3)
	v_mov_b32_e32 v8, v33
	v_pk_fma_f32 v[4:5], v[40:41], v[26:27], v[4:5] op_sel:[0,1,0]
	s_nop 0
	v_pk_fma_f32 v[4:5], v[38:39], v[28:29], v[4:5] op_sel_hi:[1,0,1]
	s_nop 0
	v_pk_fma_f32 v[4:5], v[44:45], v[18:19], v[4:5] op_sel_hi:[1,0,1]
	;; [unrolled: 2-line block ×3, first 2 shown]
	s_waitcnt vmcnt(2)
	v_pk_fma_f32 v[4:5], v[50:51], v[30:31], v[4:5] op_sel:[0,1,0]
	s_waitcnt vmcnt(1)
	v_pk_fma_f32 v[4:5], v[52:53], v[32:33], v[4:5] op_sel_hi:[1,0,1]
	s_waitcnt vmcnt(0)
	v_pk_fma_f32 v[4:5], v[54:55], v[8:9], v[4:5] op_sel_hi:[1,0,1]
	s_andn2_b64 exec, exec, s[18:19]
	s_cbranch_execnz .LBB50_9
; %bb.10:
	s_or_b64 exec, exec, s[18:19]
.LBB50_11:
	s_or_b64 exec, exec, s[4:5]
	s_cbranch_execz .LBB50_13
	s_branch .LBB50_18
.LBB50_12:
                                        ; implicit-def: $vgpr5
.LBB50_13:
	v_mov_b32_e32 v5, 0
	v_mov_b32_e32 v4, v5
	s_and_saveexec_b64 s[4:5], s[2:3]
	s_cbranch_execz .LBB50_17
; %bb.14:
	v_mad_u64_u32 v[6:7], s[2:3], v0, 24, 23
	v_mov_b32_e32 v9, 0
	s_mov_b64 s[2:3], 0
	v_mov_b32_e32 v4, v9
	v_mov_b32_e32 v5, v9
.LBB50_15:                              ; =>This Inner Loop Header: Depth=1
	v_ashrrev_i32_e32 v1, 31, v0
	v_lshl_add_u64 v[10:11], v[0:1], 2, s[6:7]
	global_load_dword v1, v[10:11], off
	v_subrev_u32_e32 v8, 23, v6
	v_lshl_add_u64 v[22:23], v[8:9], 2, s[8:9]
	v_add_u32_e32 v8, -10, v6
	v_add_u32_e32 v10, -11, v6
	v_mov_b32_e32 v11, v9
	global_load_dwordx4 v[14:17], v[22:23], off offset:16
	global_load_dwordx4 v[18:21], v[22:23], off
	v_lshl_add_u64 v[22:23], v[8:9], 2, s[8:9]
	v_add_u32_e32 v8, -9, v6
	v_lshl_add_u64 v[10:11], v[10:11], 2, s[8:9]
	v_lshl_add_u64 v[24:25], v[8:9], 2, s[8:9]
	v_add_u32_e32 v8, -8, v6
	v_mov_b32_e32 v31, v9
	global_load_dword v11, v[10:11], off
	v_mov_b32_e32 v7, v9
	global_load_dword v37, v[22:23], off
	v_lshl_add_u64 v[22:23], v[8:9], 2, s[8:9]
	global_load_dword v39, v[24:25], off
	global_load_dword v41, v[22:23], off
	v_lshl_add_u64 v[34:35], v[6:7], 2, s[8:9]
	v_add_u32_e32 v0, 4, v0
	v_cmp_ge_i32_e32 vcc, v0, v12
	s_or_b64 s[2:3], vcc, s[2:3]
	s_waitcnt vmcnt(6)
	v_subrev_u32_e32 v1, s16, v1
	v_mul_lo_u32 v30, v1, 12
	v_add_u32_e32 v8, 4, v30
	v_lshl_add_u64 v[22:23], v[30:31], 2, s[10:11]
	v_lshl_add_u64 v[26:27], v[8:9], 2, s[10:11]
	v_add_u32_e32 v8, -7, v6
	global_load_dwordx4 v[22:25], v[22:23], off
	v_lshl_add_u64 v[32:33], v[8:9], 2, s[8:9]
	global_load_dwordx4 v[26:29], v[26:27], off
	v_add_u32_e32 v8, -6, v6
	v_lshl_add_u64 v[42:43], v[8:9], 2, s[8:9]
	v_add_u32_e32 v8, -5, v6
	global_load_dword v45, v[32:33], off
	s_waitcnt vmcnt(7)
	v_mov_b32_e32 v10, v18
	global_load_dword v43, v[42:43], off
	v_lshl_add_u64 v[32:33], v[8:9], 2, s[8:9]
	v_add_u32_e32 v8, -4, v6
	v_lshl_add_u64 v[46:47], v[8:9], 2, s[8:9]
	v_add_u32_e32 v8, -15, v6
	global_load_dword v49, v[32:33], off
	v_lshl_add_u64 v[32:33], v[8:9], 2, s[8:9]
	v_add_u32_e32 v8, 8, v30
	v_lshl_add_u64 v[30:31], v[8:9], 2, s[10:11]
	v_add_u32_e32 v8, -3, v6
	global_load_dword v51, v[46:47], off
	global_load_dword v52, v[32:33], off
	v_lshl_add_u64 v[46:47], v[8:9], 2, s[8:9]
	v_add_u32_e32 v8, -14, v6
	v_lshl_add_u64 v[54:55], v[8:9], 2, s[8:9]
	v_add_u32_e32 v8, -2, v6
	global_load_dwordx4 v[30:33], v[30:31], off
	v_mov_b32_e32 v36, v19
	global_load_dword v53, v[46:47], off
	v_mov_b32_e32 v38, v20
	global_load_dword v54, v[54:55], off
	v_lshl_add_u64 v[46:47], v[8:9], 2, s[8:9]
	v_add_u32_e32 v8, -13, v6
	v_lshl_add_u64 v[56:57], v[8:9], 2, s[8:9]
	v_add_u32_e32 v8, -1, v6
	global_load_dword v55, v[46:47], off
	v_mov_b32_e32 v40, v21
	global_load_dword v56, v[56:57], off
	v_lshl_add_u64 v[46:47], v[8:9], 2, s[8:9]
	v_add_u32_e32 v8, -12, v6
	v_lshl_add_u64 v[58:59], v[8:9], 2, s[8:9]
	global_load_dword v57, v[46:47], off
	global_load_dword v60, v[58:59], off
	;; [unrolled: 1-line block ×3, first 2 shown]
	v_mov_b32_e32 v44, v14
	v_mov_b32_e32 v42, v15
	;; [unrolled: 1-line block ×4, first 2 shown]
	v_add_u32_e32 v6, 0x60, v6
	s_waitcnt vmcnt(14)
	v_pk_fma_f32 v[4:5], v[10:11], v[22:23], v[4:5] op_sel_hi:[1,0,1]
	s_nop 0
	v_pk_fma_f32 v[4:5], v[36:37], v[22:23], v[4:5] op_sel:[0,1,0]
	v_mov_b32_e32 v8, v25
	v_pk_fma_f32 v[4:5], v[38:39], v[24:25], v[4:5] op_sel_hi:[1,0,1]
	s_waitcnt vmcnt(13)
	v_mov_b32_e32 v10, v29
	v_pk_fma_f32 v[4:5], v[40:41], v[8:9], v[4:5] op_sel_hi:[1,0,1]
	s_waitcnt vmcnt(7)
	v_mov_b32_e32 v8, v33
	v_pk_fma_f32 v[4:5], v[44:45], v[26:27], v[4:5] op_sel_hi:[1,0,1]
	s_nop 0
	v_pk_fma_f32 v[4:5], v[42:43], v[26:27], v[4:5] op_sel:[0,1,0]
	s_nop 0
	v_pk_fma_f32 v[4:5], v[48:49], v[28:29], v[4:5] op_sel_hi:[1,0,1]
	s_nop 0
	v_pk_fma_f32 v[4:5], v[50:51], v[10:11], v[4:5] op_sel_hi:[1,0,1]
	s_waitcnt vmcnt(6)
	v_pk_fma_f32 v[4:5], v[52:53], v[30:31], v[4:5] op_sel_hi:[1,0,1]
	s_waitcnt vmcnt(4)
	v_pk_fma_f32 v[4:5], v[54:55], v[30:31], v[4:5] op_sel:[0,1,0]
	s_waitcnt vmcnt(2)
	v_pk_fma_f32 v[4:5], v[56:57], v[32:33], v[4:5] op_sel_hi:[1,0,1]
	s_waitcnt vmcnt(0)
	v_pk_fma_f32 v[4:5], v[60:61], v[8:9], v[4:5] op_sel_hi:[1,0,1]
	s_andn2_b64 exec, exec, s[2:3]
	s_cbranch_execnz .LBB50_15
; %bb.16:
	s_or_b64 exec, exec, s[2:3]
.LBB50_17:
	s_or_b64 exec, exec, s[4:5]
.LBB50_18:
	v_mov_b32_dpp v0, v4 row_shr:1 row_mask:0xf bank_mask:0xf
	v_mov_b32_dpp v1, v5 row_shr:1 row_mask:0xf bank_mask:0xf
	v_pk_add_f32 v[0:1], v[4:5], v[0:1]
	v_cmp_eq_u32_e32 vcc, 3, v3
	s_nop 0
	v_mov_b32_dpp v4, v0 row_shr:2 row_mask:0xf bank_mask:0xf
	v_mov_b32_dpp v5, v1 row_shr:2 row_mask:0xf bank_mask:0xf
	s_and_b64 exec, exec, vcc
	s_cbranch_execz .LBB50_22
; %bb.19:
	s_load_dwordx2 s[0:1], s[0:1], 0x38
	v_cmp_eq_f32_e64 s[2:3], s12, 0
	v_pk_add_f32 v[0:1], v[0:1], v[4:5]
	s_and_b64 vcc, exec, s[2:3]
	v_lshlrev_b32_e32 v2, 1, v2
	s_cbranch_vccz .LBB50_23
; %bb.20:
	v_ashrrev_i32_e32 v3, 31, v2
	s_waitcnt lgkmcnt(0)
	v_lshl_add_u64 v[4:5], v[2:3], 2, s[0:1]
	v_pk_mul_f32 v[6:7], s[14:15], v[0:1] op_sel_hi:[0,1]
	global_store_dwordx2 v[4:5], v[6:7], off
	s_cbranch_execnz .LBB50_22
.LBB50_21:
	v_ashrrev_i32_e32 v3, 31, v2
	s_waitcnt lgkmcnt(0)
	v_lshl_add_u64 v[2:3], v[2:3], 2, s[0:1]
	global_load_dwordx2 v[4:5], v[2:3], off
	v_pk_mul_f32 v[0:1], s[14:15], v[0:1] op_sel_hi:[0,1]
	s_waitcnt vmcnt(0)
	v_pk_fma_f32 v[0:1], s[12:13], v[4:5], v[0:1] op_sel_hi:[0,1,1]
	global_store_dwordx2 v[2:3], v[0:1], off
.LBB50_22:
	s_endpgm
.LBB50_23:
	s_branch .LBB50_21
	.section	.rodata,"a",@progbits
	.p2align	6, 0x0
	.amdhsa_kernel _ZN9rocsparseL19gebsrmvn_2xn_kernelILj128ELj12ELj4EfEEvi20rocsparse_direction_NS_24const_host_device_scalarIT2_EEPKiS6_PKS3_S8_S4_PS3_21rocsparse_index_base_b
		.amdhsa_group_segment_fixed_size 0
		.amdhsa_private_segment_fixed_size 0
		.amdhsa_kernarg_size 72
		.amdhsa_user_sgpr_count 2
		.amdhsa_user_sgpr_dispatch_ptr 0
		.amdhsa_user_sgpr_queue_ptr 0
		.amdhsa_user_sgpr_kernarg_segment_ptr 1
		.amdhsa_user_sgpr_dispatch_id 0
		.amdhsa_user_sgpr_kernarg_preload_length 0
		.amdhsa_user_sgpr_kernarg_preload_offset 0
		.amdhsa_user_sgpr_private_segment_size 0
		.amdhsa_uses_dynamic_stack 0
		.amdhsa_enable_private_segment 0
		.amdhsa_system_sgpr_workgroup_id_x 1
		.amdhsa_system_sgpr_workgroup_id_y 0
		.amdhsa_system_sgpr_workgroup_id_z 0
		.amdhsa_system_sgpr_workgroup_info 0
		.amdhsa_system_vgpr_workitem_id 0
		.amdhsa_next_free_vgpr 62
		.amdhsa_next_free_sgpr 20
		.amdhsa_accum_offset 64
		.amdhsa_reserve_vcc 1
		.amdhsa_float_round_mode_32 0
		.amdhsa_float_round_mode_16_64 0
		.amdhsa_float_denorm_mode_32 3
		.amdhsa_float_denorm_mode_16_64 3
		.amdhsa_dx10_clamp 1
		.amdhsa_ieee_mode 1
		.amdhsa_fp16_overflow 0
		.amdhsa_tg_split 0
		.amdhsa_exception_fp_ieee_invalid_op 0
		.amdhsa_exception_fp_denorm_src 0
		.amdhsa_exception_fp_ieee_div_zero 0
		.amdhsa_exception_fp_ieee_overflow 0
		.amdhsa_exception_fp_ieee_underflow 0
		.amdhsa_exception_fp_ieee_inexact 0
		.amdhsa_exception_int_div_zero 0
	.end_amdhsa_kernel
	.section	.text._ZN9rocsparseL19gebsrmvn_2xn_kernelILj128ELj12ELj4EfEEvi20rocsparse_direction_NS_24const_host_device_scalarIT2_EEPKiS6_PKS3_S8_S4_PS3_21rocsparse_index_base_b,"axG",@progbits,_ZN9rocsparseL19gebsrmvn_2xn_kernelILj128ELj12ELj4EfEEvi20rocsparse_direction_NS_24const_host_device_scalarIT2_EEPKiS6_PKS3_S8_S4_PS3_21rocsparse_index_base_b,comdat
.Lfunc_end50:
	.size	_ZN9rocsparseL19gebsrmvn_2xn_kernelILj128ELj12ELj4EfEEvi20rocsparse_direction_NS_24const_host_device_scalarIT2_EEPKiS6_PKS3_S8_S4_PS3_21rocsparse_index_base_b, .Lfunc_end50-_ZN9rocsparseL19gebsrmvn_2xn_kernelILj128ELj12ELj4EfEEvi20rocsparse_direction_NS_24const_host_device_scalarIT2_EEPKiS6_PKS3_S8_S4_PS3_21rocsparse_index_base_b
                                        ; -- End function
	.section	.AMDGPU.csdata,"",@progbits
; Kernel info:
; codeLenInByte = 1624
; NumSgprs: 26
; NumVgprs: 62
; NumAgprs: 0
; TotalNumVgprs: 62
; ScratchSize: 0
; MemoryBound: 0
; FloatMode: 240
; IeeeMode: 1
; LDSByteSize: 0 bytes/workgroup (compile time only)
; SGPRBlocks: 3
; VGPRBlocks: 7
; NumSGPRsForWavesPerEU: 26
; NumVGPRsForWavesPerEU: 62
; AccumOffset: 64
; Occupancy: 8
; WaveLimiterHint : 1
; COMPUTE_PGM_RSRC2:SCRATCH_EN: 0
; COMPUTE_PGM_RSRC2:USER_SGPR: 2
; COMPUTE_PGM_RSRC2:TRAP_HANDLER: 0
; COMPUTE_PGM_RSRC2:TGID_X_EN: 1
; COMPUTE_PGM_RSRC2:TGID_Y_EN: 0
; COMPUTE_PGM_RSRC2:TGID_Z_EN: 0
; COMPUTE_PGM_RSRC2:TIDIG_COMP_CNT: 0
; COMPUTE_PGM_RSRC3_GFX90A:ACCUM_OFFSET: 15
; COMPUTE_PGM_RSRC3_GFX90A:TG_SPLIT: 0
	.section	.text._ZN9rocsparseL19gebsrmvn_2xn_kernelILj128ELj12ELj8EfEEvi20rocsparse_direction_NS_24const_host_device_scalarIT2_EEPKiS6_PKS3_S8_S4_PS3_21rocsparse_index_base_b,"axG",@progbits,_ZN9rocsparseL19gebsrmvn_2xn_kernelILj128ELj12ELj8EfEEvi20rocsparse_direction_NS_24const_host_device_scalarIT2_EEPKiS6_PKS3_S8_S4_PS3_21rocsparse_index_base_b,comdat
	.globl	_ZN9rocsparseL19gebsrmvn_2xn_kernelILj128ELj12ELj8EfEEvi20rocsparse_direction_NS_24const_host_device_scalarIT2_EEPKiS6_PKS3_S8_S4_PS3_21rocsparse_index_base_b ; -- Begin function _ZN9rocsparseL19gebsrmvn_2xn_kernelILj128ELj12ELj8EfEEvi20rocsparse_direction_NS_24const_host_device_scalarIT2_EEPKiS6_PKS3_S8_S4_PS3_21rocsparse_index_base_b
	.p2align	8
	.type	_ZN9rocsparseL19gebsrmvn_2xn_kernelILj128ELj12ELj8EfEEvi20rocsparse_direction_NS_24const_host_device_scalarIT2_EEPKiS6_PKS3_S8_S4_PS3_21rocsparse_index_base_b,@function
_ZN9rocsparseL19gebsrmvn_2xn_kernelILj128ELj12ELj8EfEEvi20rocsparse_direction_NS_24const_host_device_scalarIT2_EEPKiS6_PKS3_S8_S4_PS3_21rocsparse_index_base_b: ; @_ZN9rocsparseL19gebsrmvn_2xn_kernelILj128ELj12ELj8EfEEvi20rocsparse_direction_NS_24const_host_device_scalarIT2_EEPKiS6_PKS3_S8_S4_PS3_21rocsparse_index_base_b
; %bb.0:
	s_load_dwordx2 s[16:17], s[0:1], 0x40
	s_load_dwordx2 s[14:15], s[0:1], 0x8
	;; [unrolled: 1-line block ×3, first 2 shown]
	s_waitcnt lgkmcnt(0)
	s_bitcmp1_b32 s17, 0
	s_cselect_b64 s[6:7], -1, 0
	s_xor_b64 s[4:5], s[6:7], -1
	s_and_b64 vcc, exec, s[6:7]
	s_cbranch_vccnz .LBB51_2
; %bb.1:
	s_load_dword s14, s[14:15], 0x0
.LBB51_2:
	s_andn2_b64 vcc, exec, s[4:5]
	s_cbranch_vccnz .LBB51_4
; %bb.3:
	s_load_dword s12, s[12:13], 0x0
.LBB51_4:
	s_waitcnt lgkmcnt(0)
	v_cmp_eq_f32_e64 s[4:5], s14, 0
	v_cmp_eq_f32_e64 s[6:7], s12, 1.0
	s_and_b64 s[4:5], s[4:5], s[6:7]
	s_and_b64 vcc, exec, s[4:5]
	s_cbranch_vccnz .LBB51_22
; %bb.5:
	s_load_dwordx2 s[18:19], s[0:1], 0x0
	v_lshrrev_b32_e32 v1, 3, v0
	v_lshl_or_b32 v2, s2, 4, v1
	s_waitcnt lgkmcnt(0)
	v_cmp_gt_i32_e32 vcc, s18, v2
	s_and_saveexec_b64 s[2:3], vcc
	s_cbranch_execz .LBB51_22
; %bb.6:
	s_load_dwordx8 s[4:11], s[0:1], 0x10
	v_ashrrev_i32_e32 v3, 31, v2
	s_cmp_lg_u32 s19, 0
	s_waitcnt lgkmcnt(0)
	v_lshl_add_u64 v[4:5], v[2:3], 2, s[4:5]
	global_load_dwordx2 v[4:5], v[4:5], off
	v_and_b32_e32 v3, 7, v0
	s_waitcnt vmcnt(0)
	v_subrev_u32_e32 v0, s16, v4
	v_subrev_u32_e32 v12, s16, v5
	v_add_u32_e32 v0, v0, v3
	v_cmp_lt_i32_e64 s[2:3], v0, v12
	s_cbranch_scc0 .LBB51_12
; %bb.7:
	v_mov_b32_e32 v5, 0
	v_mov_b32_e32 v4, v5
	s_and_saveexec_b64 s[4:5], s[2:3]
	s_cbranch_execz .LBB51_11
; %bb.8:
	v_mad_u64_u32 v[6:7], s[18:19], v0, 24, 22
	v_mov_b32_e32 v9, 0
	s_mov_b64 s[18:19], 0
	v_mov_b32_e32 v10, v0
	v_mov_b32_e32 v4, v9
	;; [unrolled: 1-line block ×3, first 2 shown]
.LBB51_9:                               ; =>This Inner Loop Header: Depth=1
	v_ashrrev_i32_e32 v11, 31, v10
	v_lshl_add_u64 v[14:15], v[10:11], 2, s[6:7]
	global_load_dword v1, v[14:15], off
	v_subrev_u32_e32 v8, 22, v6
	v_lshl_add_u64 v[22:23], v[8:9], 2, s[8:9]
	v_add_u32_e32 v8, -14, v6
	v_mov_b32_e32 v31, v9
	global_load_dwordx4 v[14:17], v[22:23], off offset:16
	global_load_dwordx4 v[18:21], v[22:23], off
	v_lshl_add_u64 v[22:23], v[8:9], 2, s[8:9]
	global_load_dwordx2 v[36:37], v[22:23], off
	v_mov_b32_e32 v7, v9
	v_lshl_add_u64 v[34:35], v[6:7], 2, s[8:9]
	v_add_u32_e32 v10, 8, v10
	v_cmp_ge_i32_e32 vcc, v10, v12
	s_or_b64 s[18:19], vcc, s[18:19]
	s_waitcnt vmcnt(3)
	v_subrev_u32_e32 v1, s16, v1
	v_mul_lo_u32 v30, v1, 12
	v_lshl_add_u64 v[22:23], v[30:31], 2, s[10:11]
	global_load_dwordx4 v[22:25], v[22:23], off
	v_add_u32_e32 v8, 4, v30
	v_lshl_add_u64 v[26:27], v[8:9], 2, s[10:11]
	global_load_dwordx4 v[26:29], v[26:27], off
	v_add_u32_e32 v8, -12, v6
	v_lshl_add_u64 v[32:33], v[8:9], 2, s[8:9]
	v_add_u32_e32 v8, -10, v6
	v_lshl_add_u64 v[38:39], v[8:9], 2, s[8:9]
	v_add_u32_e32 v8, -8, v6
	global_load_dwordx2 v[40:41], v[32:33], off
	s_waitcnt vmcnt(2)
	v_pk_fma_f32 v[4:5], v[18:19], v[22:23], v[4:5] op_sel_hi:[1,0,1]
	global_load_dwordx2 v[38:39], v[38:39], off
	v_lshl_add_u64 v[32:33], v[8:9], 2, s[8:9]
	v_add_u32_e32 v8, -6, v6
	v_lshl_add_u64 v[42:43], v[8:9], 2, s[8:9]
	v_add_u32_e32 v8, 8, v30
	v_lshl_add_u64 v[30:31], v[8:9], 2, s[10:11]
	global_load_dwordx2 v[44:45], v[32:33], off
	global_load_dwordx2 v[46:47], v[42:43], off
	v_add_u32_e32 v8, -4, v6
	global_load_dwordx4 v[30:33], v[30:31], off
	v_lshl_add_u64 v[42:43], v[8:9], 2, s[8:9]
	v_add_u32_e32 v8, -2, v6
	v_lshl_add_u64 v[48:49], v[8:9], 2, s[8:9]
	global_load_dwordx2 v[50:51], v[42:43], off
	global_load_dwordx2 v[52:53], v[48:49], off
	;; [unrolled: 1-line block ×3, first 2 shown]
	v_pk_fma_f32 v[4:5], v[20:21], v[22:23], v[4:5] op_sel:[0,1,0]
	v_mov_b32_e32 v8, v25
	v_pk_fma_f32 v[4:5], v[14:15], v[24:25], v[4:5] op_sel_hi:[1,0,1]
	s_waitcnt vmcnt(8)
	v_mov_b32_e32 v18, v29
	v_pk_fma_f32 v[4:5], v[16:17], v[8:9], v[4:5] op_sel_hi:[1,0,1]
	v_add_u32_e32 v6, 0xc0, v6
	v_pk_fma_f32 v[4:5], v[36:37], v[26:27], v[4:5] op_sel_hi:[1,0,1]
	s_waitcnt vmcnt(3)
	v_mov_b32_e32 v8, v33
	v_pk_fma_f32 v[4:5], v[40:41], v[26:27], v[4:5] op_sel:[0,1,0]
	s_nop 0
	v_pk_fma_f32 v[4:5], v[38:39], v[28:29], v[4:5] op_sel_hi:[1,0,1]
	s_nop 0
	v_pk_fma_f32 v[4:5], v[44:45], v[18:19], v[4:5] op_sel_hi:[1,0,1]
	;; [unrolled: 2-line block ×3, first 2 shown]
	s_waitcnt vmcnt(2)
	v_pk_fma_f32 v[4:5], v[50:51], v[30:31], v[4:5] op_sel:[0,1,0]
	s_waitcnt vmcnt(1)
	v_pk_fma_f32 v[4:5], v[52:53], v[32:33], v[4:5] op_sel_hi:[1,0,1]
	s_waitcnt vmcnt(0)
	v_pk_fma_f32 v[4:5], v[54:55], v[8:9], v[4:5] op_sel_hi:[1,0,1]
	s_andn2_b64 exec, exec, s[18:19]
	s_cbranch_execnz .LBB51_9
; %bb.10:
	s_or_b64 exec, exec, s[18:19]
.LBB51_11:
	s_or_b64 exec, exec, s[4:5]
	s_cbranch_execz .LBB51_13
	s_branch .LBB51_18
.LBB51_12:
                                        ; implicit-def: $vgpr5
.LBB51_13:
	v_mov_b32_e32 v5, 0
	v_mov_b32_e32 v4, v5
	s_and_saveexec_b64 s[4:5], s[2:3]
	s_cbranch_execz .LBB51_17
; %bb.14:
	v_mad_u64_u32 v[6:7], s[2:3], v0, 24, 23
	v_mov_b32_e32 v9, 0
	s_mov_b64 s[2:3], 0
	v_mov_b32_e32 v4, v9
	v_mov_b32_e32 v5, v9
.LBB51_15:                              ; =>This Inner Loop Header: Depth=1
	v_ashrrev_i32_e32 v1, 31, v0
	v_lshl_add_u64 v[10:11], v[0:1], 2, s[6:7]
	global_load_dword v1, v[10:11], off
	v_subrev_u32_e32 v8, 23, v6
	v_lshl_add_u64 v[22:23], v[8:9], 2, s[8:9]
	v_add_u32_e32 v8, -10, v6
	v_add_u32_e32 v10, -11, v6
	v_mov_b32_e32 v11, v9
	global_load_dwordx4 v[14:17], v[22:23], off offset:16
	global_load_dwordx4 v[18:21], v[22:23], off
	v_lshl_add_u64 v[22:23], v[8:9], 2, s[8:9]
	v_add_u32_e32 v8, -9, v6
	v_lshl_add_u64 v[10:11], v[10:11], 2, s[8:9]
	v_lshl_add_u64 v[24:25], v[8:9], 2, s[8:9]
	v_add_u32_e32 v8, -8, v6
	v_mov_b32_e32 v31, v9
	global_load_dword v11, v[10:11], off
	v_mov_b32_e32 v7, v9
	global_load_dword v37, v[22:23], off
	v_lshl_add_u64 v[22:23], v[8:9], 2, s[8:9]
	global_load_dword v39, v[24:25], off
	global_load_dword v41, v[22:23], off
	v_lshl_add_u64 v[34:35], v[6:7], 2, s[8:9]
	v_add_u32_e32 v0, 8, v0
	v_cmp_ge_i32_e32 vcc, v0, v12
	s_or_b64 s[2:3], vcc, s[2:3]
	s_waitcnt vmcnt(6)
	v_subrev_u32_e32 v1, s16, v1
	v_mul_lo_u32 v30, v1, 12
	v_add_u32_e32 v8, 4, v30
	v_lshl_add_u64 v[22:23], v[30:31], 2, s[10:11]
	v_lshl_add_u64 v[26:27], v[8:9], 2, s[10:11]
	v_add_u32_e32 v8, -7, v6
	global_load_dwordx4 v[22:25], v[22:23], off
	v_lshl_add_u64 v[32:33], v[8:9], 2, s[8:9]
	global_load_dwordx4 v[26:29], v[26:27], off
	v_add_u32_e32 v8, -6, v6
	v_lshl_add_u64 v[42:43], v[8:9], 2, s[8:9]
	v_add_u32_e32 v8, -5, v6
	global_load_dword v45, v[32:33], off
	s_waitcnt vmcnt(7)
	v_mov_b32_e32 v10, v18
	global_load_dword v43, v[42:43], off
	v_lshl_add_u64 v[32:33], v[8:9], 2, s[8:9]
	v_add_u32_e32 v8, -4, v6
	v_lshl_add_u64 v[46:47], v[8:9], 2, s[8:9]
	v_add_u32_e32 v8, -15, v6
	global_load_dword v49, v[32:33], off
	v_lshl_add_u64 v[32:33], v[8:9], 2, s[8:9]
	v_add_u32_e32 v8, 8, v30
	v_lshl_add_u64 v[30:31], v[8:9], 2, s[10:11]
	v_add_u32_e32 v8, -3, v6
	global_load_dword v51, v[46:47], off
	global_load_dword v52, v[32:33], off
	v_lshl_add_u64 v[46:47], v[8:9], 2, s[8:9]
	v_add_u32_e32 v8, -14, v6
	v_lshl_add_u64 v[54:55], v[8:9], 2, s[8:9]
	v_add_u32_e32 v8, -2, v6
	global_load_dwordx4 v[30:33], v[30:31], off
	v_mov_b32_e32 v36, v19
	global_load_dword v53, v[46:47], off
	v_mov_b32_e32 v38, v20
	global_load_dword v54, v[54:55], off
	v_lshl_add_u64 v[46:47], v[8:9], 2, s[8:9]
	v_add_u32_e32 v8, -13, v6
	v_lshl_add_u64 v[56:57], v[8:9], 2, s[8:9]
	v_add_u32_e32 v8, -1, v6
	global_load_dword v55, v[46:47], off
	v_mov_b32_e32 v40, v21
	global_load_dword v56, v[56:57], off
	v_lshl_add_u64 v[46:47], v[8:9], 2, s[8:9]
	v_add_u32_e32 v8, -12, v6
	v_lshl_add_u64 v[58:59], v[8:9], 2, s[8:9]
	global_load_dword v57, v[46:47], off
	global_load_dword v60, v[58:59], off
	;; [unrolled: 1-line block ×3, first 2 shown]
	v_mov_b32_e32 v44, v14
	v_mov_b32_e32 v42, v15
	;; [unrolled: 1-line block ×4, first 2 shown]
	v_add_u32_e32 v6, 0xc0, v6
	s_waitcnt vmcnt(14)
	v_pk_fma_f32 v[4:5], v[10:11], v[22:23], v[4:5] op_sel_hi:[1,0,1]
	s_nop 0
	v_pk_fma_f32 v[4:5], v[36:37], v[22:23], v[4:5] op_sel:[0,1,0]
	v_mov_b32_e32 v8, v25
	v_pk_fma_f32 v[4:5], v[38:39], v[24:25], v[4:5] op_sel_hi:[1,0,1]
	s_waitcnt vmcnt(13)
	v_mov_b32_e32 v10, v29
	v_pk_fma_f32 v[4:5], v[40:41], v[8:9], v[4:5] op_sel_hi:[1,0,1]
	s_waitcnt vmcnt(7)
	v_mov_b32_e32 v8, v33
	v_pk_fma_f32 v[4:5], v[44:45], v[26:27], v[4:5] op_sel_hi:[1,0,1]
	s_nop 0
	v_pk_fma_f32 v[4:5], v[42:43], v[26:27], v[4:5] op_sel:[0,1,0]
	s_nop 0
	v_pk_fma_f32 v[4:5], v[48:49], v[28:29], v[4:5] op_sel_hi:[1,0,1]
	s_nop 0
	v_pk_fma_f32 v[4:5], v[50:51], v[10:11], v[4:5] op_sel_hi:[1,0,1]
	s_waitcnt vmcnt(6)
	v_pk_fma_f32 v[4:5], v[52:53], v[30:31], v[4:5] op_sel_hi:[1,0,1]
	s_waitcnt vmcnt(4)
	v_pk_fma_f32 v[4:5], v[54:55], v[30:31], v[4:5] op_sel:[0,1,0]
	s_waitcnt vmcnt(2)
	v_pk_fma_f32 v[4:5], v[56:57], v[32:33], v[4:5] op_sel_hi:[1,0,1]
	s_waitcnt vmcnt(0)
	v_pk_fma_f32 v[4:5], v[60:61], v[8:9], v[4:5] op_sel_hi:[1,0,1]
	s_andn2_b64 exec, exec, s[2:3]
	s_cbranch_execnz .LBB51_15
; %bb.16:
	s_or_b64 exec, exec, s[2:3]
.LBB51_17:
	s_or_b64 exec, exec, s[4:5]
.LBB51_18:
	v_mov_b32_dpp v0, v4 row_shr:1 row_mask:0xf bank_mask:0xf
	v_mov_b32_dpp v1, v5 row_shr:1 row_mask:0xf bank_mask:0xf
	v_pk_add_f32 v[0:1], v[4:5], v[0:1]
	v_cmp_eq_u32_e32 vcc, 7, v3
	s_nop 0
	v_mov_b32_dpp v4, v0 row_shr:2 row_mask:0xf bank_mask:0xf
	v_mov_b32_dpp v5, v1 row_shr:2 row_mask:0xf bank_mask:0xf
	v_pk_add_f32 v[0:1], v[0:1], v[4:5]
	s_nop 1
	v_mov_b32_dpp v4, v0 row_shr:4 row_mask:0xf bank_mask:0xe
	v_mov_b32_dpp v5, v1 row_shr:4 row_mask:0xf bank_mask:0xe
	s_and_b64 exec, exec, vcc
	s_cbranch_execz .LBB51_22
; %bb.19:
	s_load_dwordx2 s[0:1], s[0:1], 0x38
	v_cmp_eq_f32_e64 s[2:3], s12, 0
	v_pk_add_f32 v[0:1], v[0:1], v[4:5]
	s_and_b64 vcc, exec, s[2:3]
	v_lshlrev_b32_e32 v2, 1, v2
	s_cbranch_vccz .LBB51_23
; %bb.20:
	v_ashrrev_i32_e32 v3, 31, v2
	s_waitcnt lgkmcnt(0)
	v_lshl_add_u64 v[4:5], v[2:3], 2, s[0:1]
	v_pk_mul_f32 v[6:7], s[14:15], v[0:1] op_sel_hi:[0,1]
	global_store_dwordx2 v[4:5], v[6:7], off
	s_cbranch_execnz .LBB51_22
.LBB51_21:
	v_ashrrev_i32_e32 v3, 31, v2
	s_waitcnt lgkmcnt(0)
	v_lshl_add_u64 v[2:3], v[2:3], 2, s[0:1]
	global_load_dwordx2 v[4:5], v[2:3], off
	v_pk_mul_f32 v[0:1], s[14:15], v[0:1] op_sel_hi:[0,1]
	s_waitcnt vmcnt(0)
	v_pk_fma_f32 v[0:1], s[12:13], v[4:5], v[0:1] op_sel_hi:[0,1,1]
	global_store_dwordx2 v[2:3], v[0:1], off
.LBB51_22:
	s_endpgm
.LBB51_23:
	s_branch .LBB51_21
	.section	.rodata,"a",@progbits
	.p2align	6, 0x0
	.amdhsa_kernel _ZN9rocsparseL19gebsrmvn_2xn_kernelILj128ELj12ELj8EfEEvi20rocsparse_direction_NS_24const_host_device_scalarIT2_EEPKiS6_PKS3_S8_S4_PS3_21rocsparse_index_base_b
		.amdhsa_group_segment_fixed_size 0
		.amdhsa_private_segment_fixed_size 0
		.amdhsa_kernarg_size 72
		.amdhsa_user_sgpr_count 2
		.amdhsa_user_sgpr_dispatch_ptr 0
		.amdhsa_user_sgpr_queue_ptr 0
		.amdhsa_user_sgpr_kernarg_segment_ptr 1
		.amdhsa_user_sgpr_dispatch_id 0
		.amdhsa_user_sgpr_kernarg_preload_length 0
		.amdhsa_user_sgpr_kernarg_preload_offset 0
		.amdhsa_user_sgpr_private_segment_size 0
		.amdhsa_uses_dynamic_stack 0
		.amdhsa_enable_private_segment 0
		.amdhsa_system_sgpr_workgroup_id_x 1
		.amdhsa_system_sgpr_workgroup_id_y 0
		.amdhsa_system_sgpr_workgroup_id_z 0
		.amdhsa_system_sgpr_workgroup_info 0
		.amdhsa_system_vgpr_workitem_id 0
		.amdhsa_next_free_vgpr 62
		.amdhsa_next_free_sgpr 20
		.amdhsa_accum_offset 64
		.amdhsa_reserve_vcc 1
		.amdhsa_float_round_mode_32 0
		.amdhsa_float_round_mode_16_64 0
		.amdhsa_float_denorm_mode_32 3
		.amdhsa_float_denorm_mode_16_64 3
		.amdhsa_dx10_clamp 1
		.amdhsa_ieee_mode 1
		.amdhsa_fp16_overflow 0
		.amdhsa_tg_split 0
		.amdhsa_exception_fp_ieee_invalid_op 0
		.amdhsa_exception_fp_denorm_src 0
		.amdhsa_exception_fp_ieee_div_zero 0
		.amdhsa_exception_fp_ieee_overflow 0
		.amdhsa_exception_fp_ieee_underflow 0
		.amdhsa_exception_fp_ieee_inexact 0
		.amdhsa_exception_int_div_zero 0
	.end_amdhsa_kernel
	.section	.text._ZN9rocsparseL19gebsrmvn_2xn_kernelILj128ELj12ELj8EfEEvi20rocsparse_direction_NS_24const_host_device_scalarIT2_EEPKiS6_PKS3_S8_S4_PS3_21rocsparse_index_base_b,"axG",@progbits,_ZN9rocsparseL19gebsrmvn_2xn_kernelILj128ELj12ELj8EfEEvi20rocsparse_direction_NS_24const_host_device_scalarIT2_EEPKiS6_PKS3_S8_S4_PS3_21rocsparse_index_base_b,comdat
.Lfunc_end51:
	.size	_ZN9rocsparseL19gebsrmvn_2xn_kernelILj128ELj12ELj8EfEEvi20rocsparse_direction_NS_24const_host_device_scalarIT2_EEPKiS6_PKS3_S8_S4_PS3_21rocsparse_index_base_b, .Lfunc_end51-_ZN9rocsparseL19gebsrmvn_2xn_kernelILj128ELj12ELj8EfEEvi20rocsparse_direction_NS_24const_host_device_scalarIT2_EEPKiS6_PKS3_S8_S4_PS3_21rocsparse_index_base_b
                                        ; -- End function
	.section	.AMDGPU.csdata,"",@progbits
; Kernel info:
; codeLenInByte = 1652
; NumSgprs: 26
; NumVgprs: 62
; NumAgprs: 0
; TotalNumVgprs: 62
; ScratchSize: 0
; MemoryBound: 0
; FloatMode: 240
; IeeeMode: 1
; LDSByteSize: 0 bytes/workgroup (compile time only)
; SGPRBlocks: 3
; VGPRBlocks: 7
; NumSGPRsForWavesPerEU: 26
; NumVGPRsForWavesPerEU: 62
; AccumOffset: 64
; Occupancy: 8
; WaveLimiterHint : 1
; COMPUTE_PGM_RSRC2:SCRATCH_EN: 0
; COMPUTE_PGM_RSRC2:USER_SGPR: 2
; COMPUTE_PGM_RSRC2:TRAP_HANDLER: 0
; COMPUTE_PGM_RSRC2:TGID_X_EN: 1
; COMPUTE_PGM_RSRC2:TGID_Y_EN: 0
; COMPUTE_PGM_RSRC2:TGID_Z_EN: 0
; COMPUTE_PGM_RSRC2:TIDIG_COMP_CNT: 0
; COMPUTE_PGM_RSRC3_GFX90A:ACCUM_OFFSET: 15
; COMPUTE_PGM_RSRC3_GFX90A:TG_SPLIT: 0
	.section	.text._ZN9rocsparseL19gebsrmvn_2xn_kernelILj128ELj12ELj16EfEEvi20rocsparse_direction_NS_24const_host_device_scalarIT2_EEPKiS6_PKS3_S8_S4_PS3_21rocsparse_index_base_b,"axG",@progbits,_ZN9rocsparseL19gebsrmvn_2xn_kernelILj128ELj12ELj16EfEEvi20rocsparse_direction_NS_24const_host_device_scalarIT2_EEPKiS6_PKS3_S8_S4_PS3_21rocsparse_index_base_b,comdat
	.globl	_ZN9rocsparseL19gebsrmvn_2xn_kernelILj128ELj12ELj16EfEEvi20rocsparse_direction_NS_24const_host_device_scalarIT2_EEPKiS6_PKS3_S8_S4_PS3_21rocsparse_index_base_b ; -- Begin function _ZN9rocsparseL19gebsrmvn_2xn_kernelILj128ELj12ELj16EfEEvi20rocsparse_direction_NS_24const_host_device_scalarIT2_EEPKiS6_PKS3_S8_S4_PS3_21rocsparse_index_base_b
	.p2align	8
	.type	_ZN9rocsparseL19gebsrmvn_2xn_kernelILj128ELj12ELj16EfEEvi20rocsparse_direction_NS_24const_host_device_scalarIT2_EEPKiS6_PKS3_S8_S4_PS3_21rocsparse_index_base_b,@function
_ZN9rocsparseL19gebsrmvn_2xn_kernelILj128ELj12ELj16EfEEvi20rocsparse_direction_NS_24const_host_device_scalarIT2_EEPKiS6_PKS3_S8_S4_PS3_21rocsparse_index_base_b: ; @_ZN9rocsparseL19gebsrmvn_2xn_kernelILj128ELj12ELj16EfEEvi20rocsparse_direction_NS_24const_host_device_scalarIT2_EEPKiS6_PKS3_S8_S4_PS3_21rocsparse_index_base_b
; %bb.0:
	s_load_dwordx2 s[16:17], s[0:1], 0x40
	s_load_dwordx2 s[14:15], s[0:1], 0x8
	;; [unrolled: 1-line block ×3, first 2 shown]
	s_waitcnt lgkmcnt(0)
	s_bitcmp1_b32 s17, 0
	s_cselect_b64 s[6:7], -1, 0
	s_xor_b64 s[4:5], s[6:7], -1
	s_and_b64 vcc, exec, s[6:7]
	s_cbranch_vccnz .LBB52_2
; %bb.1:
	s_load_dword s14, s[14:15], 0x0
.LBB52_2:
	s_andn2_b64 vcc, exec, s[4:5]
	s_cbranch_vccnz .LBB52_4
; %bb.3:
	s_load_dword s12, s[12:13], 0x0
.LBB52_4:
	s_waitcnt lgkmcnt(0)
	v_cmp_eq_f32_e64 s[4:5], s14, 0
	v_cmp_eq_f32_e64 s[6:7], s12, 1.0
	s_and_b64 s[4:5], s[4:5], s[6:7]
	s_and_b64 vcc, exec, s[4:5]
	s_cbranch_vccnz .LBB52_22
; %bb.5:
	s_load_dwordx2 s[18:19], s[0:1], 0x0
	v_lshrrev_b32_e32 v1, 4, v0
	v_lshl_or_b32 v2, s2, 3, v1
	s_waitcnt lgkmcnt(0)
	v_cmp_gt_i32_e32 vcc, s18, v2
	s_and_saveexec_b64 s[2:3], vcc
	s_cbranch_execz .LBB52_22
; %bb.6:
	s_load_dwordx8 s[4:11], s[0:1], 0x10
	v_ashrrev_i32_e32 v3, 31, v2
	s_cmp_lg_u32 s19, 0
	s_waitcnt lgkmcnt(0)
	v_lshl_add_u64 v[4:5], v[2:3], 2, s[4:5]
	global_load_dwordx2 v[4:5], v[4:5], off
	v_and_b32_e32 v3, 15, v0
	s_waitcnt vmcnt(0)
	v_subrev_u32_e32 v0, s16, v4
	v_subrev_u32_e32 v12, s16, v5
	v_add_u32_e32 v0, v0, v3
	v_cmp_lt_i32_e64 s[2:3], v0, v12
	s_cbranch_scc0 .LBB52_12
; %bb.7:
	v_mov_b32_e32 v5, 0
	v_mov_b32_e32 v4, v5
	s_and_saveexec_b64 s[4:5], s[2:3]
	s_cbranch_execz .LBB52_11
; %bb.8:
	v_mad_u64_u32 v[6:7], s[18:19], v0, 24, 22
	v_mov_b32_e32 v9, 0
	s_mov_b64 s[18:19], 0
	v_mov_b32_e32 v10, v0
	v_mov_b32_e32 v4, v9
	;; [unrolled: 1-line block ×3, first 2 shown]
.LBB52_9:                               ; =>This Inner Loop Header: Depth=1
	v_ashrrev_i32_e32 v11, 31, v10
	v_lshl_add_u64 v[14:15], v[10:11], 2, s[6:7]
	global_load_dword v1, v[14:15], off
	v_subrev_u32_e32 v8, 22, v6
	v_lshl_add_u64 v[22:23], v[8:9], 2, s[8:9]
	v_add_u32_e32 v8, -14, v6
	v_mov_b32_e32 v31, v9
	global_load_dwordx4 v[14:17], v[22:23], off offset:16
	global_load_dwordx4 v[18:21], v[22:23], off
	v_lshl_add_u64 v[22:23], v[8:9], 2, s[8:9]
	global_load_dwordx2 v[36:37], v[22:23], off
	v_mov_b32_e32 v7, v9
	v_lshl_add_u64 v[34:35], v[6:7], 2, s[8:9]
	v_add_u32_e32 v10, 16, v10
	v_cmp_ge_i32_e32 vcc, v10, v12
	s_or_b64 s[18:19], vcc, s[18:19]
	s_waitcnt vmcnt(3)
	v_subrev_u32_e32 v1, s16, v1
	v_mul_lo_u32 v30, v1, 12
	v_lshl_add_u64 v[22:23], v[30:31], 2, s[10:11]
	global_load_dwordx4 v[22:25], v[22:23], off
	v_add_u32_e32 v8, 4, v30
	v_lshl_add_u64 v[26:27], v[8:9], 2, s[10:11]
	global_load_dwordx4 v[26:29], v[26:27], off
	v_add_u32_e32 v8, -12, v6
	v_lshl_add_u64 v[32:33], v[8:9], 2, s[8:9]
	v_add_u32_e32 v8, -10, v6
	v_lshl_add_u64 v[38:39], v[8:9], 2, s[8:9]
	v_add_u32_e32 v8, -8, v6
	global_load_dwordx2 v[40:41], v[32:33], off
	s_waitcnt vmcnt(2)
	v_pk_fma_f32 v[4:5], v[18:19], v[22:23], v[4:5] op_sel_hi:[1,0,1]
	global_load_dwordx2 v[38:39], v[38:39], off
	v_lshl_add_u64 v[32:33], v[8:9], 2, s[8:9]
	v_add_u32_e32 v8, -6, v6
	v_lshl_add_u64 v[42:43], v[8:9], 2, s[8:9]
	v_add_u32_e32 v8, 8, v30
	v_lshl_add_u64 v[30:31], v[8:9], 2, s[10:11]
	global_load_dwordx2 v[44:45], v[32:33], off
	global_load_dwordx2 v[46:47], v[42:43], off
	v_add_u32_e32 v8, -4, v6
	global_load_dwordx4 v[30:33], v[30:31], off
	v_lshl_add_u64 v[42:43], v[8:9], 2, s[8:9]
	v_add_u32_e32 v8, -2, v6
	v_lshl_add_u64 v[48:49], v[8:9], 2, s[8:9]
	global_load_dwordx2 v[50:51], v[42:43], off
	global_load_dwordx2 v[52:53], v[48:49], off
	;; [unrolled: 1-line block ×3, first 2 shown]
	v_pk_fma_f32 v[4:5], v[20:21], v[22:23], v[4:5] op_sel:[0,1,0]
	v_mov_b32_e32 v8, v25
	v_pk_fma_f32 v[4:5], v[14:15], v[24:25], v[4:5] op_sel_hi:[1,0,1]
	s_waitcnt vmcnt(8)
	v_mov_b32_e32 v18, v29
	v_pk_fma_f32 v[4:5], v[16:17], v[8:9], v[4:5] op_sel_hi:[1,0,1]
	v_add_u32_e32 v6, 0x180, v6
	v_pk_fma_f32 v[4:5], v[36:37], v[26:27], v[4:5] op_sel_hi:[1,0,1]
	s_waitcnt vmcnt(3)
	v_mov_b32_e32 v8, v33
	v_pk_fma_f32 v[4:5], v[40:41], v[26:27], v[4:5] op_sel:[0,1,0]
	s_nop 0
	v_pk_fma_f32 v[4:5], v[38:39], v[28:29], v[4:5] op_sel_hi:[1,0,1]
	s_nop 0
	v_pk_fma_f32 v[4:5], v[44:45], v[18:19], v[4:5] op_sel_hi:[1,0,1]
	;; [unrolled: 2-line block ×3, first 2 shown]
	s_waitcnt vmcnt(2)
	v_pk_fma_f32 v[4:5], v[50:51], v[30:31], v[4:5] op_sel:[0,1,0]
	s_waitcnt vmcnt(1)
	v_pk_fma_f32 v[4:5], v[52:53], v[32:33], v[4:5] op_sel_hi:[1,0,1]
	s_waitcnt vmcnt(0)
	v_pk_fma_f32 v[4:5], v[54:55], v[8:9], v[4:5] op_sel_hi:[1,0,1]
	s_andn2_b64 exec, exec, s[18:19]
	s_cbranch_execnz .LBB52_9
; %bb.10:
	s_or_b64 exec, exec, s[18:19]
.LBB52_11:
	s_or_b64 exec, exec, s[4:5]
	s_cbranch_execz .LBB52_13
	s_branch .LBB52_18
.LBB52_12:
                                        ; implicit-def: $vgpr5
.LBB52_13:
	v_mov_b32_e32 v5, 0
	v_mov_b32_e32 v4, v5
	s_and_saveexec_b64 s[4:5], s[2:3]
	s_cbranch_execz .LBB52_17
; %bb.14:
	v_mad_u64_u32 v[6:7], s[2:3], v0, 24, 23
	v_mov_b32_e32 v9, 0
	s_mov_b64 s[2:3], 0
	v_mov_b32_e32 v4, v9
	v_mov_b32_e32 v5, v9
.LBB52_15:                              ; =>This Inner Loop Header: Depth=1
	v_ashrrev_i32_e32 v1, 31, v0
	v_lshl_add_u64 v[10:11], v[0:1], 2, s[6:7]
	global_load_dword v1, v[10:11], off
	v_subrev_u32_e32 v8, 23, v6
	v_lshl_add_u64 v[22:23], v[8:9], 2, s[8:9]
	v_add_u32_e32 v8, -10, v6
	v_add_u32_e32 v10, -11, v6
	v_mov_b32_e32 v11, v9
	global_load_dwordx4 v[14:17], v[22:23], off offset:16
	global_load_dwordx4 v[18:21], v[22:23], off
	v_lshl_add_u64 v[22:23], v[8:9], 2, s[8:9]
	v_add_u32_e32 v8, -9, v6
	v_lshl_add_u64 v[10:11], v[10:11], 2, s[8:9]
	v_lshl_add_u64 v[24:25], v[8:9], 2, s[8:9]
	v_add_u32_e32 v8, -8, v6
	v_mov_b32_e32 v31, v9
	global_load_dword v11, v[10:11], off
	v_mov_b32_e32 v7, v9
	global_load_dword v37, v[22:23], off
	v_lshl_add_u64 v[22:23], v[8:9], 2, s[8:9]
	global_load_dword v39, v[24:25], off
	global_load_dword v41, v[22:23], off
	v_lshl_add_u64 v[34:35], v[6:7], 2, s[8:9]
	v_add_u32_e32 v0, 16, v0
	v_cmp_ge_i32_e32 vcc, v0, v12
	s_or_b64 s[2:3], vcc, s[2:3]
	s_waitcnt vmcnt(6)
	v_subrev_u32_e32 v1, s16, v1
	v_mul_lo_u32 v30, v1, 12
	v_add_u32_e32 v8, 4, v30
	v_lshl_add_u64 v[22:23], v[30:31], 2, s[10:11]
	v_lshl_add_u64 v[26:27], v[8:9], 2, s[10:11]
	v_add_u32_e32 v8, -7, v6
	global_load_dwordx4 v[22:25], v[22:23], off
	v_lshl_add_u64 v[32:33], v[8:9], 2, s[8:9]
	global_load_dwordx4 v[26:29], v[26:27], off
	v_add_u32_e32 v8, -6, v6
	v_lshl_add_u64 v[42:43], v[8:9], 2, s[8:9]
	v_add_u32_e32 v8, -5, v6
	global_load_dword v45, v[32:33], off
	s_waitcnt vmcnt(7)
	v_mov_b32_e32 v10, v18
	global_load_dword v43, v[42:43], off
	v_lshl_add_u64 v[32:33], v[8:9], 2, s[8:9]
	v_add_u32_e32 v8, -4, v6
	v_lshl_add_u64 v[46:47], v[8:9], 2, s[8:9]
	v_add_u32_e32 v8, -15, v6
	global_load_dword v49, v[32:33], off
	v_lshl_add_u64 v[32:33], v[8:9], 2, s[8:9]
	v_add_u32_e32 v8, 8, v30
	v_lshl_add_u64 v[30:31], v[8:9], 2, s[10:11]
	v_add_u32_e32 v8, -3, v6
	global_load_dword v51, v[46:47], off
	global_load_dword v52, v[32:33], off
	v_lshl_add_u64 v[46:47], v[8:9], 2, s[8:9]
	v_add_u32_e32 v8, -14, v6
	v_lshl_add_u64 v[54:55], v[8:9], 2, s[8:9]
	v_add_u32_e32 v8, -2, v6
	global_load_dwordx4 v[30:33], v[30:31], off
	v_mov_b32_e32 v36, v19
	global_load_dword v53, v[46:47], off
	v_mov_b32_e32 v38, v20
	global_load_dword v54, v[54:55], off
	v_lshl_add_u64 v[46:47], v[8:9], 2, s[8:9]
	v_add_u32_e32 v8, -13, v6
	v_lshl_add_u64 v[56:57], v[8:9], 2, s[8:9]
	v_add_u32_e32 v8, -1, v6
	global_load_dword v55, v[46:47], off
	v_mov_b32_e32 v40, v21
	global_load_dword v56, v[56:57], off
	v_lshl_add_u64 v[46:47], v[8:9], 2, s[8:9]
	v_add_u32_e32 v8, -12, v6
	v_lshl_add_u64 v[58:59], v[8:9], 2, s[8:9]
	global_load_dword v57, v[46:47], off
	global_load_dword v60, v[58:59], off
	;; [unrolled: 1-line block ×3, first 2 shown]
	v_mov_b32_e32 v44, v14
	v_mov_b32_e32 v42, v15
	;; [unrolled: 1-line block ×4, first 2 shown]
	v_add_u32_e32 v6, 0x180, v6
	s_waitcnt vmcnt(14)
	v_pk_fma_f32 v[4:5], v[10:11], v[22:23], v[4:5] op_sel_hi:[1,0,1]
	s_nop 0
	v_pk_fma_f32 v[4:5], v[36:37], v[22:23], v[4:5] op_sel:[0,1,0]
	v_mov_b32_e32 v8, v25
	v_pk_fma_f32 v[4:5], v[38:39], v[24:25], v[4:5] op_sel_hi:[1,0,1]
	s_waitcnt vmcnt(13)
	v_mov_b32_e32 v10, v29
	v_pk_fma_f32 v[4:5], v[40:41], v[8:9], v[4:5] op_sel_hi:[1,0,1]
	s_waitcnt vmcnt(7)
	v_mov_b32_e32 v8, v33
	v_pk_fma_f32 v[4:5], v[44:45], v[26:27], v[4:5] op_sel_hi:[1,0,1]
	s_nop 0
	v_pk_fma_f32 v[4:5], v[42:43], v[26:27], v[4:5] op_sel:[0,1,0]
	s_nop 0
	v_pk_fma_f32 v[4:5], v[48:49], v[28:29], v[4:5] op_sel_hi:[1,0,1]
	s_nop 0
	v_pk_fma_f32 v[4:5], v[50:51], v[10:11], v[4:5] op_sel_hi:[1,0,1]
	s_waitcnt vmcnt(6)
	v_pk_fma_f32 v[4:5], v[52:53], v[30:31], v[4:5] op_sel_hi:[1,0,1]
	s_waitcnt vmcnt(4)
	v_pk_fma_f32 v[4:5], v[54:55], v[30:31], v[4:5] op_sel:[0,1,0]
	s_waitcnt vmcnt(2)
	v_pk_fma_f32 v[4:5], v[56:57], v[32:33], v[4:5] op_sel_hi:[1,0,1]
	s_waitcnt vmcnt(0)
	v_pk_fma_f32 v[4:5], v[60:61], v[8:9], v[4:5] op_sel_hi:[1,0,1]
	s_andn2_b64 exec, exec, s[2:3]
	s_cbranch_execnz .LBB52_15
; %bb.16:
	s_or_b64 exec, exec, s[2:3]
.LBB52_17:
	s_or_b64 exec, exec, s[4:5]
.LBB52_18:
	v_mov_b32_dpp v0, v4 row_shr:1 row_mask:0xf bank_mask:0xf
	v_mov_b32_dpp v1, v5 row_shr:1 row_mask:0xf bank_mask:0xf
	v_pk_add_f32 v[0:1], v[4:5], v[0:1]
	v_cmp_eq_u32_e32 vcc, 15, v3
	s_nop 0
	v_mov_b32_dpp v4, v0 row_shr:2 row_mask:0xf bank_mask:0xf
	v_mov_b32_dpp v5, v1 row_shr:2 row_mask:0xf bank_mask:0xf
	v_pk_add_f32 v[0:1], v[0:1], v[4:5]
	s_nop 1
	v_mov_b32_dpp v4, v0 row_shr:4 row_mask:0xf bank_mask:0xe
	v_mov_b32_dpp v5, v1 row_shr:4 row_mask:0xf bank_mask:0xe
	v_pk_add_f32 v[0:1], v[0:1], v[4:5]
	s_nop 1
	v_mov_b32_dpp v4, v0 row_shr:8 row_mask:0xf bank_mask:0xc
	v_mov_b32_dpp v5, v1 row_shr:8 row_mask:0xf bank_mask:0xc
	s_and_b64 exec, exec, vcc
	s_cbranch_execz .LBB52_22
; %bb.19:
	s_load_dwordx2 s[0:1], s[0:1], 0x38
	v_cmp_eq_f32_e64 s[2:3], s12, 0
	v_pk_add_f32 v[0:1], v[0:1], v[4:5]
	s_and_b64 vcc, exec, s[2:3]
	v_lshlrev_b32_e32 v2, 1, v2
	s_cbranch_vccz .LBB52_23
; %bb.20:
	v_ashrrev_i32_e32 v3, 31, v2
	s_waitcnt lgkmcnt(0)
	v_lshl_add_u64 v[4:5], v[2:3], 2, s[0:1]
	v_pk_mul_f32 v[6:7], s[14:15], v[0:1] op_sel_hi:[0,1]
	global_store_dwordx2 v[4:5], v[6:7], off
	s_cbranch_execnz .LBB52_22
.LBB52_21:
	v_ashrrev_i32_e32 v3, 31, v2
	s_waitcnt lgkmcnt(0)
	v_lshl_add_u64 v[2:3], v[2:3], 2, s[0:1]
	global_load_dwordx2 v[4:5], v[2:3], off
	v_pk_mul_f32 v[0:1], s[14:15], v[0:1] op_sel_hi:[0,1]
	s_waitcnt vmcnt(0)
	v_pk_fma_f32 v[0:1], s[12:13], v[4:5], v[0:1] op_sel_hi:[0,1,1]
	global_store_dwordx2 v[2:3], v[0:1], off
.LBB52_22:
	s_endpgm
.LBB52_23:
	s_branch .LBB52_21
	.section	.rodata,"a",@progbits
	.p2align	6, 0x0
	.amdhsa_kernel _ZN9rocsparseL19gebsrmvn_2xn_kernelILj128ELj12ELj16EfEEvi20rocsparse_direction_NS_24const_host_device_scalarIT2_EEPKiS6_PKS3_S8_S4_PS3_21rocsparse_index_base_b
		.amdhsa_group_segment_fixed_size 0
		.amdhsa_private_segment_fixed_size 0
		.amdhsa_kernarg_size 72
		.amdhsa_user_sgpr_count 2
		.amdhsa_user_sgpr_dispatch_ptr 0
		.amdhsa_user_sgpr_queue_ptr 0
		.amdhsa_user_sgpr_kernarg_segment_ptr 1
		.amdhsa_user_sgpr_dispatch_id 0
		.amdhsa_user_sgpr_kernarg_preload_length 0
		.amdhsa_user_sgpr_kernarg_preload_offset 0
		.amdhsa_user_sgpr_private_segment_size 0
		.amdhsa_uses_dynamic_stack 0
		.amdhsa_enable_private_segment 0
		.amdhsa_system_sgpr_workgroup_id_x 1
		.amdhsa_system_sgpr_workgroup_id_y 0
		.amdhsa_system_sgpr_workgroup_id_z 0
		.amdhsa_system_sgpr_workgroup_info 0
		.amdhsa_system_vgpr_workitem_id 0
		.amdhsa_next_free_vgpr 62
		.amdhsa_next_free_sgpr 20
		.amdhsa_accum_offset 64
		.amdhsa_reserve_vcc 1
		.amdhsa_float_round_mode_32 0
		.amdhsa_float_round_mode_16_64 0
		.amdhsa_float_denorm_mode_32 3
		.amdhsa_float_denorm_mode_16_64 3
		.amdhsa_dx10_clamp 1
		.amdhsa_ieee_mode 1
		.amdhsa_fp16_overflow 0
		.amdhsa_tg_split 0
		.amdhsa_exception_fp_ieee_invalid_op 0
		.amdhsa_exception_fp_denorm_src 0
		.amdhsa_exception_fp_ieee_div_zero 0
		.amdhsa_exception_fp_ieee_overflow 0
		.amdhsa_exception_fp_ieee_underflow 0
		.amdhsa_exception_fp_ieee_inexact 0
		.amdhsa_exception_int_div_zero 0
	.end_amdhsa_kernel
	.section	.text._ZN9rocsparseL19gebsrmvn_2xn_kernelILj128ELj12ELj16EfEEvi20rocsparse_direction_NS_24const_host_device_scalarIT2_EEPKiS6_PKS3_S8_S4_PS3_21rocsparse_index_base_b,"axG",@progbits,_ZN9rocsparseL19gebsrmvn_2xn_kernelILj128ELj12ELj16EfEEvi20rocsparse_direction_NS_24const_host_device_scalarIT2_EEPKiS6_PKS3_S8_S4_PS3_21rocsparse_index_base_b,comdat
.Lfunc_end52:
	.size	_ZN9rocsparseL19gebsrmvn_2xn_kernelILj128ELj12ELj16EfEEvi20rocsparse_direction_NS_24const_host_device_scalarIT2_EEPKiS6_PKS3_S8_S4_PS3_21rocsparse_index_base_b, .Lfunc_end52-_ZN9rocsparseL19gebsrmvn_2xn_kernelILj128ELj12ELj16EfEEvi20rocsparse_direction_NS_24const_host_device_scalarIT2_EEPKiS6_PKS3_S8_S4_PS3_21rocsparse_index_base_b
                                        ; -- End function
	.section	.AMDGPU.csdata,"",@progbits
; Kernel info:
; codeLenInByte = 1680
; NumSgprs: 26
; NumVgprs: 62
; NumAgprs: 0
; TotalNumVgprs: 62
; ScratchSize: 0
; MemoryBound: 0
; FloatMode: 240
; IeeeMode: 1
; LDSByteSize: 0 bytes/workgroup (compile time only)
; SGPRBlocks: 3
; VGPRBlocks: 7
; NumSGPRsForWavesPerEU: 26
; NumVGPRsForWavesPerEU: 62
; AccumOffset: 64
; Occupancy: 8
; WaveLimiterHint : 1
; COMPUTE_PGM_RSRC2:SCRATCH_EN: 0
; COMPUTE_PGM_RSRC2:USER_SGPR: 2
; COMPUTE_PGM_RSRC2:TRAP_HANDLER: 0
; COMPUTE_PGM_RSRC2:TGID_X_EN: 1
; COMPUTE_PGM_RSRC2:TGID_Y_EN: 0
; COMPUTE_PGM_RSRC2:TGID_Z_EN: 0
; COMPUTE_PGM_RSRC2:TIDIG_COMP_CNT: 0
; COMPUTE_PGM_RSRC3_GFX90A:ACCUM_OFFSET: 15
; COMPUTE_PGM_RSRC3_GFX90A:TG_SPLIT: 0
	.section	.text._ZN9rocsparseL19gebsrmvn_2xn_kernelILj128ELj12ELj32EfEEvi20rocsparse_direction_NS_24const_host_device_scalarIT2_EEPKiS6_PKS3_S8_S4_PS3_21rocsparse_index_base_b,"axG",@progbits,_ZN9rocsparseL19gebsrmvn_2xn_kernelILj128ELj12ELj32EfEEvi20rocsparse_direction_NS_24const_host_device_scalarIT2_EEPKiS6_PKS3_S8_S4_PS3_21rocsparse_index_base_b,comdat
	.globl	_ZN9rocsparseL19gebsrmvn_2xn_kernelILj128ELj12ELj32EfEEvi20rocsparse_direction_NS_24const_host_device_scalarIT2_EEPKiS6_PKS3_S8_S4_PS3_21rocsparse_index_base_b ; -- Begin function _ZN9rocsparseL19gebsrmvn_2xn_kernelILj128ELj12ELj32EfEEvi20rocsparse_direction_NS_24const_host_device_scalarIT2_EEPKiS6_PKS3_S8_S4_PS3_21rocsparse_index_base_b
	.p2align	8
	.type	_ZN9rocsparseL19gebsrmvn_2xn_kernelILj128ELj12ELj32EfEEvi20rocsparse_direction_NS_24const_host_device_scalarIT2_EEPKiS6_PKS3_S8_S4_PS3_21rocsparse_index_base_b,@function
_ZN9rocsparseL19gebsrmvn_2xn_kernelILj128ELj12ELj32EfEEvi20rocsparse_direction_NS_24const_host_device_scalarIT2_EEPKiS6_PKS3_S8_S4_PS3_21rocsparse_index_base_b: ; @_ZN9rocsparseL19gebsrmvn_2xn_kernelILj128ELj12ELj32EfEEvi20rocsparse_direction_NS_24const_host_device_scalarIT2_EEPKiS6_PKS3_S8_S4_PS3_21rocsparse_index_base_b
; %bb.0:
	s_load_dwordx2 s[16:17], s[0:1], 0x40
	s_load_dwordx2 s[14:15], s[0:1], 0x8
	;; [unrolled: 1-line block ×3, first 2 shown]
	s_waitcnt lgkmcnt(0)
	s_bitcmp1_b32 s17, 0
	s_cselect_b64 s[6:7], -1, 0
	s_xor_b64 s[4:5], s[6:7], -1
	s_and_b64 vcc, exec, s[6:7]
	s_cbranch_vccnz .LBB53_2
; %bb.1:
	s_load_dword s14, s[14:15], 0x0
.LBB53_2:
	s_andn2_b64 vcc, exec, s[4:5]
	s_cbranch_vccnz .LBB53_4
; %bb.3:
	s_load_dword s12, s[12:13], 0x0
.LBB53_4:
	s_waitcnt lgkmcnt(0)
	v_cmp_eq_f32_e64 s[4:5], s14, 0
	v_cmp_eq_f32_e64 s[6:7], s12, 1.0
	s_and_b64 s[4:5], s[4:5], s[6:7]
	s_and_b64 vcc, exec, s[4:5]
	s_cbranch_vccnz .LBB53_22
; %bb.5:
	s_load_dwordx2 s[18:19], s[0:1], 0x0
	v_lshrrev_b32_e32 v1, 5, v0
	v_lshl_or_b32 v2, s2, 2, v1
	s_waitcnt lgkmcnt(0)
	v_cmp_gt_i32_e32 vcc, s18, v2
	s_and_saveexec_b64 s[2:3], vcc
	s_cbranch_execz .LBB53_22
; %bb.6:
	s_load_dwordx8 s[4:11], s[0:1], 0x10
	v_ashrrev_i32_e32 v3, 31, v2
	s_cmp_lg_u32 s19, 0
	s_waitcnt lgkmcnt(0)
	v_lshl_add_u64 v[4:5], v[2:3], 2, s[4:5]
	global_load_dwordx2 v[4:5], v[4:5], off
	v_and_b32_e32 v3, 31, v0
	s_waitcnt vmcnt(0)
	v_subrev_u32_e32 v0, s16, v4
	v_subrev_u32_e32 v12, s16, v5
	v_add_u32_e32 v0, v0, v3
	v_cmp_lt_i32_e64 s[2:3], v0, v12
	s_cbranch_scc0 .LBB53_12
; %bb.7:
	v_mov_b32_e32 v5, 0
	v_mov_b32_e32 v4, v5
	s_and_saveexec_b64 s[4:5], s[2:3]
	s_cbranch_execz .LBB53_11
; %bb.8:
	v_mad_u64_u32 v[6:7], s[18:19], v0, 24, 22
	v_mov_b32_e32 v9, 0
	s_mov_b64 s[18:19], 0
	v_mov_b32_e32 v10, v0
	v_mov_b32_e32 v4, v9
	;; [unrolled: 1-line block ×3, first 2 shown]
.LBB53_9:                               ; =>This Inner Loop Header: Depth=1
	v_ashrrev_i32_e32 v11, 31, v10
	v_lshl_add_u64 v[14:15], v[10:11], 2, s[6:7]
	global_load_dword v1, v[14:15], off
	v_subrev_u32_e32 v8, 22, v6
	v_lshl_add_u64 v[22:23], v[8:9], 2, s[8:9]
	v_add_u32_e32 v8, -14, v6
	v_mov_b32_e32 v31, v9
	global_load_dwordx4 v[14:17], v[22:23], off offset:16
	global_load_dwordx4 v[18:21], v[22:23], off
	v_lshl_add_u64 v[22:23], v[8:9], 2, s[8:9]
	global_load_dwordx2 v[36:37], v[22:23], off
	v_mov_b32_e32 v7, v9
	v_lshl_add_u64 v[34:35], v[6:7], 2, s[8:9]
	v_add_u32_e32 v10, 32, v10
	v_cmp_ge_i32_e32 vcc, v10, v12
	s_or_b64 s[18:19], vcc, s[18:19]
	s_waitcnt vmcnt(3)
	v_subrev_u32_e32 v1, s16, v1
	v_mul_lo_u32 v30, v1, 12
	v_lshl_add_u64 v[22:23], v[30:31], 2, s[10:11]
	global_load_dwordx4 v[22:25], v[22:23], off
	v_add_u32_e32 v8, 4, v30
	v_lshl_add_u64 v[26:27], v[8:9], 2, s[10:11]
	global_load_dwordx4 v[26:29], v[26:27], off
	v_add_u32_e32 v8, -12, v6
	v_lshl_add_u64 v[32:33], v[8:9], 2, s[8:9]
	v_add_u32_e32 v8, -10, v6
	v_lshl_add_u64 v[38:39], v[8:9], 2, s[8:9]
	v_add_u32_e32 v8, -8, v6
	global_load_dwordx2 v[40:41], v[32:33], off
	s_waitcnt vmcnt(2)
	v_pk_fma_f32 v[4:5], v[18:19], v[22:23], v[4:5] op_sel_hi:[1,0,1]
	global_load_dwordx2 v[38:39], v[38:39], off
	v_lshl_add_u64 v[32:33], v[8:9], 2, s[8:9]
	v_add_u32_e32 v8, -6, v6
	v_lshl_add_u64 v[42:43], v[8:9], 2, s[8:9]
	v_add_u32_e32 v8, 8, v30
	v_lshl_add_u64 v[30:31], v[8:9], 2, s[10:11]
	global_load_dwordx2 v[44:45], v[32:33], off
	global_load_dwordx2 v[46:47], v[42:43], off
	v_add_u32_e32 v8, -4, v6
	global_load_dwordx4 v[30:33], v[30:31], off
	v_lshl_add_u64 v[42:43], v[8:9], 2, s[8:9]
	v_add_u32_e32 v8, -2, v6
	v_lshl_add_u64 v[48:49], v[8:9], 2, s[8:9]
	global_load_dwordx2 v[50:51], v[42:43], off
	global_load_dwordx2 v[52:53], v[48:49], off
	;; [unrolled: 1-line block ×3, first 2 shown]
	v_pk_fma_f32 v[4:5], v[20:21], v[22:23], v[4:5] op_sel:[0,1,0]
	v_mov_b32_e32 v8, v25
	v_pk_fma_f32 v[4:5], v[14:15], v[24:25], v[4:5] op_sel_hi:[1,0,1]
	s_waitcnt vmcnt(8)
	v_mov_b32_e32 v18, v29
	v_pk_fma_f32 v[4:5], v[16:17], v[8:9], v[4:5] op_sel_hi:[1,0,1]
	v_add_u32_e32 v6, 0x300, v6
	v_pk_fma_f32 v[4:5], v[36:37], v[26:27], v[4:5] op_sel_hi:[1,0,1]
	s_waitcnt vmcnt(3)
	v_mov_b32_e32 v8, v33
	v_pk_fma_f32 v[4:5], v[40:41], v[26:27], v[4:5] op_sel:[0,1,0]
	s_nop 0
	v_pk_fma_f32 v[4:5], v[38:39], v[28:29], v[4:5] op_sel_hi:[1,0,1]
	s_nop 0
	v_pk_fma_f32 v[4:5], v[44:45], v[18:19], v[4:5] op_sel_hi:[1,0,1]
	;; [unrolled: 2-line block ×3, first 2 shown]
	s_waitcnt vmcnt(2)
	v_pk_fma_f32 v[4:5], v[50:51], v[30:31], v[4:5] op_sel:[0,1,0]
	s_waitcnt vmcnt(1)
	v_pk_fma_f32 v[4:5], v[52:53], v[32:33], v[4:5] op_sel_hi:[1,0,1]
	s_waitcnt vmcnt(0)
	v_pk_fma_f32 v[4:5], v[54:55], v[8:9], v[4:5] op_sel_hi:[1,0,1]
	s_andn2_b64 exec, exec, s[18:19]
	s_cbranch_execnz .LBB53_9
; %bb.10:
	s_or_b64 exec, exec, s[18:19]
.LBB53_11:
	s_or_b64 exec, exec, s[4:5]
	s_cbranch_execz .LBB53_13
	s_branch .LBB53_18
.LBB53_12:
                                        ; implicit-def: $vgpr5
.LBB53_13:
	v_mov_b32_e32 v5, 0
	v_mov_b32_e32 v4, v5
	s_and_saveexec_b64 s[4:5], s[2:3]
	s_cbranch_execz .LBB53_17
; %bb.14:
	v_mad_u64_u32 v[6:7], s[2:3], v0, 24, 23
	v_mov_b32_e32 v9, 0
	s_mov_b64 s[2:3], 0
	v_mov_b32_e32 v4, v9
	v_mov_b32_e32 v5, v9
.LBB53_15:                              ; =>This Inner Loop Header: Depth=1
	v_ashrrev_i32_e32 v1, 31, v0
	v_lshl_add_u64 v[10:11], v[0:1], 2, s[6:7]
	global_load_dword v1, v[10:11], off
	v_subrev_u32_e32 v8, 23, v6
	v_lshl_add_u64 v[22:23], v[8:9], 2, s[8:9]
	v_add_u32_e32 v8, -10, v6
	v_add_u32_e32 v10, -11, v6
	v_mov_b32_e32 v11, v9
	global_load_dwordx4 v[14:17], v[22:23], off offset:16
	global_load_dwordx4 v[18:21], v[22:23], off
	v_lshl_add_u64 v[22:23], v[8:9], 2, s[8:9]
	v_add_u32_e32 v8, -9, v6
	v_lshl_add_u64 v[10:11], v[10:11], 2, s[8:9]
	v_lshl_add_u64 v[24:25], v[8:9], 2, s[8:9]
	v_add_u32_e32 v8, -8, v6
	v_mov_b32_e32 v31, v9
	global_load_dword v11, v[10:11], off
	v_mov_b32_e32 v7, v9
	global_load_dword v37, v[22:23], off
	v_lshl_add_u64 v[22:23], v[8:9], 2, s[8:9]
	global_load_dword v39, v[24:25], off
	global_load_dword v41, v[22:23], off
	v_lshl_add_u64 v[34:35], v[6:7], 2, s[8:9]
	v_add_u32_e32 v0, 32, v0
	v_cmp_ge_i32_e32 vcc, v0, v12
	s_or_b64 s[2:3], vcc, s[2:3]
	s_waitcnt vmcnt(6)
	v_subrev_u32_e32 v1, s16, v1
	v_mul_lo_u32 v30, v1, 12
	v_add_u32_e32 v8, 4, v30
	v_lshl_add_u64 v[22:23], v[30:31], 2, s[10:11]
	v_lshl_add_u64 v[26:27], v[8:9], 2, s[10:11]
	v_add_u32_e32 v8, -7, v6
	global_load_dwordx4 v[22:25], v[22:23], off
	v_lshl_add_u64 v[32:33], v[8:9], 2, s[8:9]
	global_load_dwordx4 v[26:29], v[26:27], off
	v_add_u32_e32 v8, -6, v6
	v_lshl_add_u64 v[42:43], v[8:9], 2, s[8:9]
	v_add_u32_e32 v8, -5, v6
	global_load_dword v45, v[32:33], off
	s_waitcnt vmcnt(7)
	v_mov_b32_e32 v10, v18
	global_load_dword v43, v[42:43], off
	v_lshl_add_u64 v[32:33], v[8:9], 2, s[8:9]
	v_add_u32_e32 v8, -4, v6
	v_lshl_add_u64 v[46:47], v[8:9], 2, s[8:9]
	v_add_u32_e32 v8, -15, v6
	global_load_dword v49, v[32:33], off
	v_lshl_add_u64 v[32:33], v[8:9], 2, s[8:9]
	v_add_u32_e32 v8, 8, v30
	v_lshl_add_u64 v[30:31], v[8:9], 2, s[10:11]
	v_add_u32_e32 v8, -3, v6
	global_load_dword v51, v[46:47], off
	global_load_dword v52, v[32:33], off
	v_lshl_add_u64 v[46:47], v[8:9], 2, s[8:9]
	v_add_u32_e32 v8, -14, v6
	v_lshl_add_u64 v[54:55], v[8:9], 2, s[8:9]
	v_add_u32_e32 v8, -2, v6
	global_load_dwordx4 v[30:33], v[30:31], off
	v_mov_b32_e32 v36, v19
	global_load_dword v53, v[46:47], off
	v_mov_b32_e32 v38, v20
	global_load_dword v54, v[54:55], off
	v_lshl_add_u64 v[46:47], v[8:9], 2, s[8:9]
	v_add_u32_e32 v8, -13, v6
	v_lshl_add_u64 v[56:57], v[8:9], 2, s[8:9]
	v_add_u32_e32 v8, -1, v6
	global_load_dword v55, v[46:47], off
	v_mov_b32_e32 v40, v21
	global_load_dword v56, v[56:57], off
	v_lshl_add_u64 v[46:47], v[8:9], 2, s[8:9]
	v_add_u32_e32 v8, -12, v6
	v_lshl_add_u64 v[58:59], v[8:9], 2, s[8:9]
	global_load_dword v57, v[46:47], off
	global_load_dword v60, v[58:59], off
	;; [unrolled: 1-line block ×3, first 2 shown]
	v_mov_b32_e32 v44, v14
	v_mov_b32_e32 v42, v15
	;; [unrolled: 1-line block ×4, first 2 shown]
	v_add_u32_e32 v6, 0x300, v6
	s_waitcnt vmcnt(14)
	v_pk_fma_f32 v[4:5], v[10:11], v[22:23], v[4:5] op_sel_hi:[1,0,1]
	s_nop 0
	v_pk_fma_f32 v[4:5], v[36:37], v[22:23], v[4:5] op_sel:[0,1,0]
	v_mov_b32_e32 v8, v25
	v_pk_fma_f32 v[4:5], v[38:39], v[24:25], v[4:5] op_sel_hi:[1,0,1]
	s_waitcnt vmcnt(13)
	v_mov_b32_e32 v10, v29
	v_pk_fma_f32 v[4:5], v[40:41], v[8:9], v[4:5] op_sel_hi:[1,0,1]
	s_waitcnt vmcnt(7)
	v_mov_b32_e32 v8, v33
	v_pk_fma_f32 v[4:5], v[44:45], v[26:27], v[4:5] op_sel_hi:[1,0,1]
	s_nop 0
	v_pk_fma_f32 v[4:5], v[42:43], v[26:27], v[4:5] op_sel:[0,1,0]
	s_nop 0
	v_pk_fma_f32 v[4:5], v[48:49], v[28:29], v[4:5] op_sel_hi:[1,0,1]
	s_nop 0
	v_pk_fma_f32 v[4:5], v[50:51], v[10:11], v[4:5] op_sel_hi:[1,0,1]
	s_waitcnt vmcnt(6)
	v_pk_fma_f32 v[4:5], v[52:53], v[30:31], v[4:5] op_sel_hi:[1,0,1]
	s_waitcnt vmcnt(4)
	v_pk_fma_f32 v[4:5], v[54:55], v[30:31], v[4:5] op_sel:[0,1,0]
	s_waitcnt vmcnt(2)
	v_pk_fma_f32 v[4:5], v[56:57], v[32:33], v[4:5] op_sel_hi:[1,0,1]
	s_waitcnt vmcnt(0)
	v_pk_fma_f32 v[4:5], v[60:61], v[8:9], v[4:5] op_sel_hi:[1,0,1]
	s_andn2_b64 exec, exec, s[2:3]
	s_cbranch_execnz .LBB53_15
; %bb.16:
	s_or_b64 exec, exec, s[2:3]
.LBB53_17:
	s_or_b64 exec, exec, s[4:5]
.LBB53_18:
	v_mov_b32_dpp v0, v4 row_shr:1 row_mask:0xf bank_mask:0xf
	v_mov_b32_dpp v1, v5 row_shr:1 row_mask:0xf bank_mask:0xf
	v_pk_add_f32 v[0:1], v[4:5], v[0:1]
	v_cmp_eq_u32_e32 vcc, 31, v3
	s_nop 0
	v_mov_b32_dpp v4, v0 row_shr:2 row_mask:0xf bank_mask:0xf
	v_mov_b32_dpp v5, v1 row_shr:2 row_mask:0xf bank_mask:0xf
	v_pk_add_f32 v[0:1], v[0:1], v[4:5]
	s_nop 1
	v_mov_b32_dpp v4, v0 row_shr:4 row_mask:0xf bank_mask:0xe
	v_mov_b32_dpp v5, v1 row_shr:4 row_mask:0xf bank_mask:0xe
	v_pk_add_f32 v[0:1], v[0:1], v[4:5]
	;; [unrolled: 4-line block ×3, first 2 shown]
	s_nop 1
	v_mov_b32_dpp v4, v0 row_bcast:15 row_mask:0xa bank_mask:0xf
	v_mov_b32_dpp v5, v1 row_bcast:15 row_mask:0xa bank_mask:0xf
	s_and_b64 exec, exec, vcc
	s_cbranch_execz .LBB53_22
; %bb.19:
	s_load_dwordx2 s[0:1], s[0:1], 0x38
	v_cmp_eq_f32_e64 s[2:3], s12, 0
	v_pk_add_f32 v[0:1], v[0:1], v[4:5]
	s_and_b64 vcc, exec, s[2:3]
	v_lshlrev_b32_e32 v2, 1, v2
	s_cbranch_vccz .LBB53_23
; %bb.20:
	v_ashrrev_i32_e32 v3, 31, v2
	s_waitcnt lgkmcnt(0)
	v_lshl_add_u64 v[4:5], v[2:3], 2, s[0:1]
	v_pk_mul_f32 v[6:7], s[14:15], v[0:1] op_sel_hi:[0,1]
	global_store_dwordx2 v[4:5], v[6:7], off
	s_cbranch_execnz .LBB53_22
.LBB53_21:
	v_ashrrev_i32_e32 v3, 31, v2
	s_waitcnt lgkmcnt(0)
	v_lshl_add_u64 v[2:3], v[2:3], 2, s[0:1]
	global_load_dwordx2 v[4:5], v[2:3], off
	v_pk_mul_f32 v[0:1], s[14:15], v[0:1] op_sel_hi:[0,1]
	s_waitcnt vmcnt(0)
	v_pk_fma_f32 v[0:1], s[12:13], v[4:5], v[0:1] op_sel_hi:[0,1,1]
	global_store_dwordx2 v[2:3], v[0:1], off
.LBB53_22:
	s_endpgm
.LBB53_23:
	s_branch .LBB53_21
	.section	.rodata,"a",@progbits
	.p2align	6, 0x0
	.amdhsa_kernel _ZN9rocsparseL19gebsrmvn_2xn_kernelILj128ELj12ELj32EfEEvi20rocsparse_direction_NS_24const_host_device_scalarIT2_EEPKiS6_PKS3_S8_S4_PS3_21rocsparse_index_base_b
		.amdhsa_group_segment_fixed_size 0
		.amdhsa_private_segment_fixed_size 0
		.amdhsa_kernarg_size 72
		.amdhsa_user_sgpr_count 2
		.amdhsa_user_sgpr_dispatch_ptr 0
		.amdhsa_user_sgpr_queue_ptr 0
		.amdhsa_user_sgpr_kernarg_segment_ptr 1
		.amdhsa_user_sgpr_dispatch_id 0
		.amdhsa_user_sgpr_kernarg_preload_length 0
		.amdhsa_user_sgpr_kernarg_preload_offset 0
		.amdhsa_user_sgpr_private_segment_size 0
		.amdhsa_uses_dynamic_stack 0
		.amdhsa_enable_private_segment 0
		.amdhsa_system_sgpr_workgroup_id_x 1
		.amdhsa_system_sgpr_workgroup_id_y 0
		.amdhsa_system_sgpr_workgroup_id_z 0
		.amdhsa_system_sgpr_workgroup_info 0
		.amdhsa_system_vgpr_workitem_id 0
		.amdhsa_next_free_vgpr 62
		.amdhsa_next_free_sgpr 20
		.amdhsa_accum_offset 64
		.amdhsa_reserve_vcc 1
		.amdhsa_float_round_mode_32 0
		.amdhsa_float_round_mode_16_64 0
		.amdhsa_float_denorm_mode_32 3
		.amdhsa_float_denorm_mode_16_64 3
		.amdhsa_dx10_clamp 1
		.amdhsa_ieee_mode 1
		.amdhsa_fp16_overflow 0
		.amdhsa_tg_split 0
		.amdhsa_exception_fp_ieee_invalid_op 0
		.amdhsa_exception_fp_denorm_src 0
		.amdhsa_exception_fp_ieee_div_zero 0
		.amdhsa_exception_fp_ieee_overflow 0
		.amdhsa_exception_fp_ieee_underflow 0
		.amdhsa_exception_fp_ieee_inexact 0
		.amdhsa_exception_int_div_zero 0
	.end_amdhsa_kernel
	.section	.text._ZN9rocsparseL19gebsrmvn_2xn_kernelILj128ELj12ELj32EfEEvi20rocsparse_direction_NS_24const_host_device_scalarIT2_EEPKiS6_PKS3_S8_S4_PS3_21rocsparse_index_base_b,"axG",@progbits,_ZN9rocsparseL19gebsrmvn_2xn_kernelILj128ELj12ELj32EfEEvi20rocsparse_direction_NS_24const_host_device_scalarIT2_EEPKiS6_PKS3_S8_S4_PS3_21rocsparse_index_base_b,comdat
.Lfunc_end53:
	.size	_ZN9rocsparseL19gebsrmvn_2xn_kernelILj128ELj12ELj32EfEEvi20rocsparse_direction_NS_24const_host_device_scalarIT2_EEPKiS6_PKS3_S8_S4_PS3_21rocsparse_index_base_b, .Lfunc_end53-_ZN9rocsparseL19gebsrmvn_2xn_kernelILj128ELj12ELj32EfEEvi20rocsparse_direction_NS_24const_host_device_scalarIT2_EEPKiS6_PKS3_S8_S4_PS3_21rocsparse_index_base_b
                                        ; -- End function
	.section	.AMDGPU.csdata,"",@progbits
; Kernel info:
; codeLenInByte = 1708
; NumSgprs: 26
; NumVgprs: 62
; NumAgprs: 0
; TotalNumVgprs: 62
; ScratchSize: 0
; MemoryBound: 0
; FloatMode: 240
; IeeeMode: 1
; LDSByteSize: 0 bytes/workgroup (compile time only)
; SGPRBlocks: 3
; VGPRBlocks: 7
; NumSGPRsForWavesPerEU: 26
; NumVGPRsForWavesPerEU: 62
; AccumOffset: 64
; Occupancy: 8
; WaveLimiterHint : 1
; COMPUTE_PGM_RSRC2:SCRATCH_EN: 0
; COMPUTE_PGM_RSRC2:USER_SGPR: 2
; COMPUTE_PGM_RSRC2:TRAP_HANDLER: 0
; COMPUTE_PGM_RSRC2:TGID_X_EN: 1
; COMPUTE_PGM_RSRC2:TGID_Y_EN: 0
; COMPUTE_PGM_RSRC2:TGID_Z_EN: 0
; COMPUTE_PGM_RSRC2:TIDIG_COMP_CNT: 0
; COMPUTE_PGM_RSRC3_GFX90A:ACCUM_OFFSET: 15
; COMPUTE_PGM_RSRC3_GFX90A:TG_SPLIT: 0
	.section	.text._ZN9rocsparseL19gebsrmvn_2xn_kernelILj128ELj12ELj64EfEEvi20rocsparse_direction_NS_24const_host_device_scalarIT2_EEPKiS6_PKS3_S8_S4_PS3_21rocsparse_index_base_b,"axG",@progbits,_ZN9rocsparseL19gebsrmvn_2xn_kernelILj128ELj12ELj64EfEEvi20rocsparse_direction_NS_24const_host_device_scalarIT2_EEPKiS6_PKS3_S8_S4_PS3_21rocsparse_index_base_b,comdat
	.globl	_ZN9rocsparseL19gebsrmvn_2xn_kernelILj128ELj12ELj64EfEEvi20rocsparse_direction_NS_24const_host_device_scalarIT2_EEPKiS6_PKS3_S8_S4_PS3_21rocsparse_index_base_b ; -- Begin function _ZN9rocsparseL19gebsrmvn_2xn_kernelILj128ELj12ELj64EfEEvi20rocsparse_direction_NS_24const_host_device_scalarIT2_EEPKiS6_PKS3_S8_S4_PS3_21rocsparse_index_base_b
	.p2align	8
	.type	_ZN9rocsparseL19gebsrmvn_2xn_kernelILj128ELj12ELj64EfEEvi20rocsparse_direction_NS_24const_host_device_scalarIT2_EEPKiS6_PKS3_S8_S4_PS3_21rocsparse_index_base_b,@function
_ZN9rocsparseL19gebsrmvn_2xn_kernelILj128ELj12ELj64EfEEvi20rocsparse_direction_NS_24const_host_device_scalarIT2_EEPKiS6_PKS3_S8_S4_PS3_21rocsparse_index_base_b: ; @_ZN9rocsparseL19gebsrmvn_2xn_kernelILj128ELj12ELj64EfEEvi20rocsparse_direction_NS_24const_host_device_scalarIT2_EEPKiS6_PKS3_S8_S4_PS3_21rocsparse_index_base_b
; %bb.0:
	s_load_dwordx2 s[16:17], s[0:1], 0x40
	s_load_dwordx2 s[14:15], s[0:1], 0x8
	;; [unrolled: 1-line block ×3, first 2 shown]
	s_waitcnt lgkmcnt(0)
	s_bitcmp1_b32 s17, 0
	s_cselect_b64 s[6:7], -1, 0
	s_xor_b64 s[4:5], s[6:7], -1
	s_and_b64 vcc, exec, s[6:7]
	s_cbranch_vccnz .LBB54_2
; %bb.1:
	s_load_dword s14, s[14:15], 0x0
.LBB54_2:
	s_andn2_b64 vcc, exec, s[4:5]
	s_cbranch_vccnz .LBB54_4
; %bb.3:
	s_load_dword s12, s[12:13], 0x0
.LBB54_4:
	s_waitcnt lgkmcnt(0)
	v_cmp_eq_f32_e64 s[4:5], s14, 0
	v_cmp_eq_f32_e64 s[6:7], s12, 1.0
	s_and_b64 s[4:5], s[4:5], s[6:7]
	s_and_b64 vcc, exec, s[4:5]
	s_cbranch_vccnz .LBB54_22
; %bb.5:
	s_load_dwordx2 s[18:19], s[0:1], 0x0
	v_lshrrev_b32_e32 v1, 6, v0
	v_lshl_or_b32 v2, s2, 1, v1
	s_waitcnt lgkmcnt(0)
	v_cmp_gt_i32_e32 vcc, s18, v2
	s_and_saveexec_b64 s[2:3], vcc
	s_cbranch_execz .LBB54_22
; %bb.6:
	s_load_dwordx8 s[4:11], s[0:1], 0x10
	v_ashrrev_i32_e32 v3, 31, v2
	s_cmp_lg_u32 s19, 0
	s_waitcnt lgkmcnt(0)
	v_lshl_add_u64 v[4:5], v[2:3], 2, s[4:5]
	global_load_dwordx2 v[4:5], v[4:5], off
	v_and_b32_e32 v3, 63, v0
	s_waitcnt vmcnt(0)
	v_subrev_u32_e32 v0, s16, v4
	v_subrev_u32_e32 v12, s16, v5
	v_add_u32_e32 v0, v0, v3
	v_cmp_lt_i32_e64 s[2:3], v0, v12
	s_cbranch_scc0 .LBB54_12
; %bb.7:
	v_mov_b32_e32 v5, 0
	v_mov_b32_e32 v4, v5
	s_and_saveexec_b64 s[4:5], s[2:3]
	s_cbranch_execz .LBB54_11
; %bb.8:
	v_mad_u64_u32 v[6:7], s[18:19], v0, 24, 22
	v_mov_b32_e32 v9, 0
	s_mov_b64 s[18:19], 0
	v_mov_b32_e32 v10, v0
	v_mov_b32_e32 v4, v9
	;; [unrolled: 1-line block ×3, first 2 shown]
.LBB54_9:                               ; =>This Inner Loop Header: Depth=1
	v_ashrrev_i32_e32 v11, 31, v10
	v_lshl_add_u64 v[14:15], v[10:11], 2, s[6:7]
	global_load_dword v1, v[14:15], off
	v_subrev_u32_e32 v8, 22, v6
	v_lshl_add_u64 v[22:23], v[8:9], 2, s[8:9]
	v_add_u32_e32 v8, -14, v6
	v_mov_b32_e32 v31, v9
	global_load_dwordx4 v[14:17], v[22:23], off offset:16
	global_load_dwordx4 v[18:21], v[22:23], off
	v_lshl_add_u64 v[22:23], v[8:9], 2, s[8:9]
	global_load_dwordx2 v[36:37], v[22:23], off
	v_mov_b32_e32 v7, v9
	v_lshl_add_u64 v[34:35], v[6:7], 2, s[8:9]
	v_add_u32_e32 v10, 64, v10
	v_cmp_ge_i32_e32 vcc, v10, v12
	s_or_b64 s[18:19], vcc, s[18:19]
	s_waitcnt vmcnt(3)
	v_subrev_u32_e32 v1, s16, v1
	v_mul_lo_u32 v30, v1, 12
	v_lshl_add_u64 v[22:23], v[30:31], 2, s[10:11]
	global_load_dwordx4 v[22:25], v[22:23], off
	v_add_u32_e32 v8, 4, v30
	v_lshl_add_u64 v[26:27], v[8:9], 2, s[10:11]
	global_load_dwordx4 v[26:29], v[26:27], off
	v_add_u32_e32 v8, -12, v6
	v_lshl_add_u64 v[32:33], v[8:9], 2, s[8:9]
	v_add_u32_e32 v8, -10, v6
	v_lshl_add_u64 v[38:39], v[8:9], 2, s[8:9]
	v_add_u32_e32 v8, -8, v6
	global_load_dwordx2 v[40:41], v[32:33], off
	s_waitcnt vmcnt(2)
	v_pk_fma_f32 v[4:5], v[18:19], v[22:23], v[4:5] op_sel_hi:[1,0,1]
	global_load_dwordx2 v[38:39], v[38:39], off
	v_lshl_add_u64 v[32:33], v[8:9], 2, s[8:9]
	v_add_u32_e32 v8, -6, v6
	v_lshl_add_u64 v[42:43], v[8:9], 2, s[8:9]
	v_add_u32_e32 v8, 8, v30
	v_lshl_add_u64 v[30:31], v[8:9], 2, s[10:11]
	global_load_dwordx2 v[44:45], v[32:33], off
	global_load_dwordx2 v[46:47], v[42:43], off
	v_add_u32_e32 v8, -4, v6
	global_load_dwordx4 v[30:33], v[30:31], off
	v_lshl_add_u64 v[42:43], v[8:9], 2, s[8:9]
	v_add_u32_e32 v8, -2, v6
	v_lshl_add_u64 v[48:49], v[8:9], 2, s[8:9]
	global_load_dwordx2 v[50:51], v[42:43], off
	global_load_dwordx2 v[52:53], v[48:49], off
	;; [unrolled: 1-line block ×3, first 2 shown]
	v_pk_fma_f32 v[4:5], v[20:21], v[22:23], v[4:5] op_sel:[0,1,0]
	v_mov_b32_e32 v8, v25
	v_pk_fma_f32 v[4:5], v[14:15], v[24:25], v[4:5] op_sel_hi:[1,0,1]
	s_waitcnt vmcnt(8)
	v_mov_b32_e32 v18, v29
	v_pk_fma_f32 v[4:5], v[16:17], v[8:9], v[4:5] op_sel_hi:[1,0,1]
	v_add_u32_e32 v6, 0x600, v6
	v_pk_fma_f32 v[4:5], v[36:37], v[26:27], v[4:5] op_sel_hi:[1,0,1]
	s_waitcnt vmcnt(3)
	v_mov_b32_e32 v8, v33
	v_pk_fma_f32 v[4:5], v[40:41], v[26:27], v[4:5] op_sel:[0,1,0]
	s_nop 0
	v_pk_fma_f32 v[4:5], v[38:39], v[28:29], v[4:5] op_sel_hi:[1,0,1]
	s_nop 0
	v_pk_fma_f32 v[4:5], v[44:45], v[18:19], v[4:5] op_sel_hi:[1,0,1]
	;; [unrolled: 2-line block ×3, first 2 shown]
	s_waitcnt vmcnt(2)
	v_pk_fma_f32 v[4:5], v[50:51], v[30:31], v[4:5] op_sel:[0,1,0]
	s_waitcnt vmcnt(1)
	v_pk_fma_f32 v[4:5], v[52:53], v[32:33], v[4:5] op_sel_hi:[1,0,1]
	s_waitcnt vmcnt(0)
	v_pk_fma_f32 v[4:5], v[54:55], v[8:9], v[4:5] op_sel_hi:[1,0,1]
	s_andn2_b64 exec, exec, s[18:19]
	s_cbranch_execnz .LBB54_9
; %bb.10:
	s_or_b64 exec, exec, s[18:19]
.LBB54_11:
	s_or_b64 exec, exec, s[4:5]
	s_cbranch_execz .LBB54_13
	s_branch .LBB54_18
.LBB54_12:
                                        ; implicit-def: $vgpr5
.LBB54_13:
	v_mov_b32_e32 v5, 0
	v_mov_b32_e32 v4, v5
	s_and_saveexec_b64 s[4:5], s[2:3]
	s_cbranch_execz .LBB54_17
; %bb.14:
	v_mad_u64_u32 v[6:7], s[2:3], v0, 24, 23
	v_mov_b32_e32 v9, 0
	s_mov_b64 s[2:3], 0
	v_mov_b32_e32 v4, v9
	v_mov_b32_e32 v5, v9
.LBB54_15:                              ; =>This Inner Loop Header: Depth=1
	v_ashrrev_i32_e32 v1, 31, v0
	v_lshl_add_u64 v[10:11], v[0:1], 2, s[6:7]
	global_load_dword v1, v[10:11], off
	v_subrev_u32_e32 v8, 23, v6
	v_lshl_add_u64 v[22:23], v[8:9], 2, s[8:9]
	v_add_u32_e32 v8, -10, v6
	v_add_u32_e32 v10, -11, v6
	v_mov_b32_e32 v11, v9
	global_load_dwordx4 v[14:17], v[22:23], off offset:16
	global_load_dwordx4 v[18:21], v[22:23], off
	v_lshl_add_u64 v[22:23], v[8:9], 2, s[8:9]
	v_add_u32_e32 v8, -9, v6
	v_lshl_add_u64 v[10:11], v[10:11], 2, s[8:9]
	v_lshl_add_u64 v[24:25], v[8:9], 2, s[8:9]
	v_add_u32_e32 v8, -8, v6
	v_mov_b32_e32 v31, v9
	global_load_dword v11, v[10:11], off
	v_mov_b32_e32 v7, v9
	global_load_dword v37, v[22:23], off
	v_lshl_add_u64 v[22:23], v[8:9], 2, s[8:9]
	global_load_dword v39, v[24:25], off
	global_load_dword v41, v[22:23], off
	v_lshl_add_u64 v[34:35], v[6:7], 2, s[8:9]
	v_add_u32_e32 v0, 64, v0
	v_cmp_ge_i32_e32 vcc, v0, v12
	s_or_b64 s[2:3], vcc, s[2:3]
	s_waitcnt vmcnt(6)
	v_subrev_u32_e32 v1, s16, v1
	v_mul_lo_u32 v30, v1, 12
	v_add_u32_e32 v8, 4, v30
	v_lshl_add_u64 v[22:23], v[30:31], 2, s[10:11]
	v_lshl_add_u64 v[26:27], v[8:9], 2, s[10:11]
	v_add_u32_e32 v8, -7, v6
	global_load_dwordx4 v[22:25], v[22:23], off
	v_lshl_add_u64 v[32:33], v[8:9], 2, s[8:9]
	global_load_dwordx4 v[26:29], v[26:27], off
	v_add_u32_e32 v8, -6, v6
	v_lshl_add_u64 v[42:43], v[8:9], 2, s[8:9]
	v_add_u32_e32 v8, -5, v6
	global_load_dword v45, v[32:33], off
	s_waitcnt vmcnt(7)
	v_mov_b32_e32 v10, v18
	global_load_dword v43, v[42:43], off
	v_lshl_add_u64 v[32:33], v[8:9], 2, s[8:9]
	v_add_u32_e32 v8, -4, v6
	v_lshl_add_u64 v[46:47], v[8:9], 2, s[8:9]
	v_add_u32_e32 v8, -15, v6
	global_load_dword v49, v[32:33], off
	v_lshl_add_u64 v[32:33], v[8:9], 2, s[8:9]
	v_add_u32_e32 v8, 8, v30
	v_lshl_add_u64 v[30:31], v[8:9], 2, s[10:11]
	v_add_u32_e32 v8, -3, v6
	global_load_dword v51, v[46:47], off
	global_load_dword v52, v[32:33], off
	v_lshl_add_u64 v[46:47], v[8:9], 2, s[8:9]
	v_add_u32_e32 v8, -14, v6
	v_lshl_add_u64 v[54:55], v[8:9], 2, s[8:9]
	v_add_u32_e32 v8, -2, v6
	global_load_dwordx4 v[30:33], v[30:31], off
	v_mov_b32_e32 v36, v19
	global_load_dword v53, v[46:47], off
	v_mov_b32_e32 v38, v20
	global_load_dword v54, v[54:55], off
	v_lshl_add_u64 v[46:47], v[8:9], 2, s[8:9]
	v_add_u32_e32 v8, -13, v6
	v_lshl_add_u64 v[56:57], v[8:9], 2, s[8:9]
	v_add_u32_e32 v8, -1, v6
	global_load_dword v55, v[46:47], off
	v_mov_b32_e32 v40, v21
	global_load_dword v56, v[56:57], off
	v_lshl_add_u64 v[46:47], v[8:9], 2, s[8:9]
	v_add_u32_e32 v8, -12, v6
	v_lshl_add_u64 v[58:59], v[8:9], 2, s[8:9]
	global_load_dword v57, v[46:47], off
	global_load_dword v60, v[58:59], off
	global_load_dword v61, v[34:35], off
	v_mov_b32_e32 v44, v14
	v_mov_b32_e32 v42, v15
	;; [unrolled: 1-line block ×4, first 2 shown]
	v_add_u32_e32 v6, 0x600, v6
	s_waitcnt vmcnt(14)
	v_pk_fma_f32 v[4:5], v[10:11], v[22:23], v[4:5] op_sel_hi:[1,0,1]
	s_nop 0
	v_pk_fma_f32 v[4:5], v[36:37], v[22:23], v[4:5] op_sel:[0,1,0]
	v_mov_b32_e32 v8, v25
	v_pk_fma_f32 v[4:5], v[38:39], v[24:25], v[4:5] op_sel_hi:[1,0,1]
	s_waitcnt vmcnt(13)
	v_mov_b32_e32 v10, v29
	v_pk_fma_f32 v[4:5], v[40:41], v[8:9], v[4:5] op_sel_hi:[1,0,1]
	s_waitcnt vmcnt(7)
	v_mov_b32_e32 v8, v33
	v_pk_fma_f32 v[4:5], v[44:45], v[26:27], v[4:5] op_sel_hi:[1,0,1]
	s_nop 0
	v_pk_fma_f32 v[4:5], v[42:43], v[26:27], v[4:5] op_sel:[0,1,0]
	s_nop 0
	v_pk_fma_f32 v[4:5], v[48:49], v[28:29], v[4:5] op_sel_hi:[1,0,1]
	s_nop 0
	v_pk_fma_f32 v[4:5], v[50:51], v[10:11], v[4:5] op_sel_hi:[1,0,1]
	s_waitcnt vmcnt(6)
	v_pk_fma_f32 v[4:5], v[52:53], v[30:31], v[4:5] op_sel_hi:[1,0,1]
	s_waitcnt vmcnt(4)
	v_pk_fma_f32 v[4:5], v[54:55], v[30:31], v[4:5] op_sel:[0,1,0]
	s_waitcnt vmcnt(2)
	v_pk_fma_f32 v[4:5], v[56:57], v[32:33], v[4:5] op_sel_hi:[1,0,1]
	s_waitcnt vmcnt(0)
	v_pk_fma_f32 v[4:5], v[60:61], v[8:9], v[4:5] op_sel_hi:[1,0,1]
	s_andn2_b64 exec, exec, s[2:3]
	s_cbranch_execnz .LBB54_15
; %bb.16:
	s_or_b64 exec, exec, s[2:3]
.LBB54_17:
	s_or_b64 exec, exec, s[4:5]
.LBB54_18:
	v_mov_b32_dpp v0, v4 row_shr:1 row_mask:0xf bank_mask:0xf
	v_mov_b32_dpp v1, v5 row_shr:1 row_mask:0xf bank_mask:0xf
	v_pk_add_f32 v[0:1], v[4:5], v[0:1]
	v_cmp_eq_u32_e32 vcc, 63, v3
	s_nop 0
	v_mov_b32_dpp v4, v0 row_shr:2 row_mask:0xf bank_mask:0xf
	v_mov_b32_dpp v5, v1 row_shr:2 row_mask:0xf bank_mask:0xf
	v_pk_add_f32 v[0:1], v[0:1], v[4:5]
	s_nop 1
	v_mov_b32_dpp v4, v0 row_shr:4 row_mask:0xf bank_mask:0xe
	v_mov_b32_dpp v5, v1 row_shr:4 row_mask:0xf bank_mask:0xe
	v_pk_add_f32 v[0:1], v[0:1], v[4:5]
	;; [unrolled: 4-line block ×3, first 2 shown]
	s_nop 1
	v_mov_b32_dpp v4, v0 row_bcast:15 row_mask:0xa bank_mask:0xf
	v_mov_b32_dpp v5, v1 row_bcast:15 row_mask:0xa bank_mask:0xf
	v_pk_add_f32 v[0:1], v[0:1], v[4:5]
	s_nop 1
	v_mov_b32_dpp v4, v0 row_bcast:31 row_mask:0xc bank_mask:0xf
	v_mov_b32_dpp v5, v1 row_bcast:31 row_mask:0xc bank_mask:0xf
	s_and_b64 exec, exec, vcc
	s_cbranch_execz .LBB54_22
; %bb.19:
	s_load_dwordx2 s[0:1], s[0:1], 0x38
	v_cmp_eq_f32_e64 s[2:3], s12, 0
	v_pk_add_f32 v[0:1], v[0:1], v[4:5]
	s_and_b64 vcc, exec, s[2:3]
	v_lshlrev_b32_e32 v2, 1, v2
	s_cbranch_vccz .LBB54_23
; %bb.20:
	v_ashrrev_i32_e32 v3, 31, v2
	s_waitcnt lgkmcnt(0)
	v_lshl_add_u64 v[4:5], v[2:3], 2, s[0:1]
	v_pk_mul_f32 v[6:7], s[14:15], v[0:1] op_sel_hi:[0,1]
	global_store_dwordx2 v[4:5], v[6:7], off
	s_cbranch_execnz .LBB54_22
.LBB54_21:
	v_ashrrev_i32_e32 v3, 31, v2
	s_waitcnt lgkmcnt(0)
	v_lshl_add_u64 v[2:3], v[2:3], 2, s[0:1]
	global_load_dwordx2 v[4:5], v[2:3], off
	v_pk_mul_f32 v[0:1], s[14:15], v[0:1] op_sel_hi:[0,1]
	s_waitcnt vmcnt(0)
	v_pk_fma_f32 v[0:1], s[12:13], v[4:5], v[0:1] op_sel_hi:[0,1,1]
	global_store_dwordx2 v[2:3], v[0:1], off
.LBB54_22:
	s_endpgm
.LBB54_23:
	s_branch .LBB54_21
	.section	.rodata,"a",@progbits
	.p2align	6, 0x0
	.amdhsa_kernel _ZN9rocsparseL19gebsrmvn_2xn_kernelILj128ELj12ELj64EfEEvi20rocsparse_direction_NS_24const_host_device_scalarIT2_EEPKiS6_PKS3_S8_S4_PS3_21rocsparse_index_base_b
		.amdhsa_group_segment_fixed_size 0
		.amdhsa_private_segment_fixed_size 0
		.amdhsa_kernarg_size 72
		.amdhsa_user_sgpr_count 2
		.amdhsa_user_sgpr_dispatch_ptr 0
		.amdhsa_user_sgpr_queue_ptr 0
		.amdhsa_user_sgpr_kernarg_segment_ptr 1
		.amdhsa_user_sgpr_dispatch_id 0
		.amdhsa_user_sgpr_kernarg_preload_length 0
		.amdhsa_user_sgpr_kernarg_preload_offset 0
		.amdhsa_user_sgpr_private_segment_size 0
		.amdhsa_uses_dynamic_stack 0
		.amdhsa_enable_private_segment 0
		.amdhsa_system_sgpr_workgroup_id_x 1
		.amdhsa_system_sgpr_workgroup_id_y 0
		.amdhsa_system_sgpr_workgroup_id_z 0
		.amdhsa_system_sgpr_workgroup_info 0
		.amdhsa_system_vgpr_workitem_id 0
		.amdhsa_next_free_vgpr 62
		.amdhsa_next_free_sgpr 20
		.amdhsa_accum_offset 64
		.amdhsa_reserve_vcc 1
		.amdhsa_float_round_mode_32 0
		.amdhsa_float_round_mode_16_64 0
		.amdhsa_float_denorm_mode_32 3
		.amdhsa_float_denorm_mode_16_64 3
		.amdhsa_dx10_clamp 1
		.amdhsa_ieee_mode 1
		.amdhsa_fp16_overflow 0
		.amdhsa_tg_split 0
		.amdhsa_exception_fp_ieee_invalid_op 0
		.amdhsa_exception_fp_denorm_src 0
		.amdhsa_exception_fp_ieee_div_zero 0
		.amdhsa_exception_fp_ieee_overflow 0
		.amdhsa_exception_fp_ieee_underflow 0
		.amdhsa_exception_fp_ieee_inexact 0
		.amdhsa_exception_int_div_zero 0
	.end_amdhsa_kernel
	.section	.text._ZN9rocsparseL19gebsrmvn_2xn_kernelILj128ELj12ELj64EfEEvi20rocsparse_direction_NS_24const_host_device_scalarIT2_EEPKiS6_PKS3_S8_S4_PS3_21rocsparse_index_base_b,"axG",@progbits,_ZN9rocsparseL19gebsrmvn_2xn_kernelILj128ELj12ELj64EfEEvi20rocsparse_direction_NS_24const_host_device_scalarIT2_EEPKiS6_PKS3_S8_S4_PS3_21rocsparse_index_base_b,comdat
.Lfunc_end54:
	.size	_ZN9rocsparseL19gebsrmvn_2xn_kernelILj128ELj12ELj64EfEEvi20rocsparse_direction_NS_24const_host_device_scalarIT2_EEPKiS6_PKS3_S8_S4_PS3_21rocsparse_index_base_b, .Lfunc_end54-_ZN9rocsparseL19gebsrmvn_2xn_kernelILj128ELj12ELj64EfEEvi20rocsparse_direction_NS_24const_host_device_scalarIT2_EEPKiS6_PKS3_S8_S4_PS3_21rocsparse_index_base_b
                                        ; -- End function
	.section	.AMDGPU.csdata,"",@progbits
; Kernel info:
; codeLenInByte = 1736
; NumSgprs: 26
; NumVgprs: 62
; NumAgprs: 0
; TotalNumVgprs: 62
; ScratchSize: 0
; MemoryBound: 0
; FloatMode: 240
; IeeeMode: 1
; LDSByteSize: 0 bytes/workgroup (compile time only)
; SGPRBlocks: 3
; VGPRBlocks: 7
; NumSGPRsForWavesPerEU: 26
; NumVGPRsForWavesPerEU: 62
; AccumOffset: 64
; Occupancy: 8
; WaveLimiterHint : 1
; COMPUTE_PGM_RSRC2:SCRATCH_EN: 0
; COMPUTE_PGM_RSRC2:USER_SGPR: 2
; COMPUTE_PGM_RSRC2:TRAP_HANDLER: 0
; COMPUTE_PGM_RSRC2:TGID_X_EN: 1
; COMPUTE_PGM_RSRC2:TGID_Y_EN: 0
; COMPUTE_PGM_RSRC2:TGID_Z_EN: 0
; COMPUTE_PGM_RSRC2:TIDIG_COMP_CNT: 0
; COMPUTE_PGM_RSRC3_GFX90A:ACCUM_OFFSET: 15
; COMPUTE_PGM_RSRC3_GFX90A:TG_SPLIT: 0
	.section	.text._ZN9rocsparseL19gebsrmvn_2xn_kernelILj128ELj13ELj4EfEEvi20rocsparse_direction_NS_24const_host_device_scalarIT2_EEPKiS6_PKS3_S8_S4_PS3_21rocsparse_index_base_b,"axG",@progbits,_ZN9rocsparseL19gebsrmvn_2xn_kernelILj128ELj13ELj4EfEEvi20rocsparse_direction_NS_24const_host_device_scalarIT2_EEPKiS6_PKS3_S8_S4_PS3_21rocsparse_index_base_b,comdat
	.globl	_ZN9rocsparseL19gebsrmvn_2xn_kernelILj128ELj13ELj4EfEEvi20rocsparse_direction_NS_24const_host_device_scalarIT2_EEPKiS6_PKS3_S8_S4_PS3_21rocsparse_index_base_b ; -- Begin function _ZN9rocsparseL19gebsrmvn_2xn_kernelILj128ELj13ELj4EfEEvi20rocsparse_direction_NS_24const_host_device_scalarIT2_EEPKiS6_PKS3_S8_S4_PS3_21rocsparse_index_base_b
	.p2align	8
	.type	_ZN9rocsparseL19gebsrmvn_2xn_kernelILj128ELj13ELj4EfEEvi20rocsparse_direction_NS_24const_host_device_scalarIT2_EEPKiS6_PKS3_S8_S4_PS3_21rocsparse_index_base_b,@function
_ZN9rocsparseL19gebsrmvn_2xn_kernelILj128ELj13ELj4EfEEvi20rocsparse_direction_NS_24const_host_device_scalarIT2_EEPKiS6_PKS3_S8_S4_PS3_21rocsparse_index_base_b: ; @_ZN9rocsparseL19gebsrmvn_2xn_kernelILj128ELj13ELj4EfEEvi20rocsparse_direction_NS_24const_host_device_scalarIT2_EEPKiS6_PKS3_S8_S4_PS3_21rocsparse_index_base_b
; %bb.0:
	s_load_dwordx2 s[16:17], s[0:1], 0x40
	s_load_dwordx2 s[14:15], s[0:1], 0x8
	;; [unrolled: 1-line block ×3, first 2 shown]
	s_waitcnt lgkmcnt(0)
	s_bitcmp1_b32 s17, 0
	s_cselect_b64 s[6:7], -1, 0
	s_xor_b64 s[4:5], s[6:7], -1
	s_and_b64 vcc, exec, s[6:7]
	s_cbranch_vccnz .LBB55_2
; %bb.1:
	s_load_dword s14, s[14:15], 0x0
.LBB55_2:
	s_andn2_b64 vcc, exec, s[4:5]
	s_cbranch_vccnz .LBB55_4
; %bb.3:
	s_load_dword s12, s[12:13], 0x0
.LBB55_4:
	s_waitcnt lgkmcnt(0)
	v_cmp_eq_f32_e64 s[4:5], s14, 0
	v_cmp_eq_f32_e64 s[6:7], s12, 1.0
	s_and_b64 s[4:5], s[4:5], s[6:7]
	s_and_b64 vcc, exec, s[4:5]
	s_cbranch_vccnz .LBB55_22
; %bb.5:
	s_load_dwordx2 s[18:19], s[0:1], 0x0
	v_lshrrev_b32_e32 v1, 2, v0
	v_lshl_or_b32 v2, s2, 5, v1
	s_waitcnt lgkmcnt(0)
	v_cmp_gt_i32_e32 vcc, s18, v2
	s_and_saveexec_b64 s[2:3], vcc
	s_cbranch_execz .LBB55_22
; %bb.6:
	s_load_dwordx8 s[4:11], s[0:1], 0x10
	v_ashrrev_i32_e32 v3, 31, v2
	s_cmp_lg_u32 s19, 0
	s_waitcnt lgkmcnt(0)
	v_lshl_add_u64 v[4:5], v[2:3], 2, s[4:5]
	global_load_dwordx2 v[4:5], v[4:5], off
	v_and_b32_e32 v3, 3, v0
	s_waitcnt vmcnt(0)
	v_subrev_u32_e32 v0, s16, v4
	v_subrev_u32_e32 v14, s16, v5
	v_add_u32_e32 v0, v0, v3
	v_cmp_lt_i32_e64 s[2:3], v0, v14
	s_cbranch_scc0 .LBB55_12
; %bb.7:
	v_mov_b32_e32 v5, 0
	v_mov_b32_e32 v4, v5
	s_and_saveexec_b64 s[4:5], s[2:3]
	s_cbranch_execz .LBB55_11
; %bb.8:
	v_mad_u64_u32 v[6:7], s[18:19], v0, 26, 24
	v_mov_b32_e32 v9, 0
	s_mov_b64 s[18:19], 0
	v_mov_b32_e32 v10, v0
	v_mov_b32_e32 v4, v9
	;; [unrolled: 1-line block ×3, first 2 shown]
.LBB55_9:                               ; =>This Inner Loop Header: Depth=1
	v_ashrrev_i32_e32 v11, 31, v10
	v_subrev_u32_e32 v8, 24, v6
	v_lshl_add_u64 v[16:17], v[10:11], 2, s[6:7]
	v_lshl_add_u64 v[18:19], v[8:9], 2, s[8:9]
	global_load_dword v1, v[16:17], off
	global_load_dwordx2 v[22:23], v[18:19], off
	v_mov_b32_e32 v7, v9
	v_subrev_u32_e32 v8, 22, v6
	v_lshl_add_u64 v[20:21], v[6:7], 2, s[8:9]
	v_lshl_add_u64 v[16:17], v[8:9], 2, s[8:9]
	global_load_dwordx2 v[18:19], v[20:21], off
	global_load_dwordx2 v[24:25], v[16:17], off
	v_mov_b32_e32 v13, v9
	v_add_u32_e32 v10, 4, v10
	v_cmp_ge_i32_e32 vcc, v10, v14
	s_or_b64 s[18:19], vcc, s[18:19]
	s_waitcnt vmcnt(3)
	v_subrev_u32_e32 v1, s16, v1
	v_mul_lo_u32 v12, v1, 13
	v_add_u32_e32 v8, 1, v12
	v_lshl_add_u64 v[16:17], v[8:9], 2, s[10:11]
	v_subrev_u32_e32 v8, 20, v6
	v_lshl_add_u64 v[20:21], v[8:9], 2, s[8:9]
	v_add_u32_e32 v8, 2, v12
	v_lshl_add_u64 v[26:27], v[8:9], 2, s[10:11]
	v_subrev_u32_e32 v8, 18, v6
	v_lshl_add_u64 v[28:29], v[8:9], 2, s[8:9]
	v_add_u32_e32 v8, 3, v12
	v_lshl_add_u64 v[30:31], v[8:9], 2, s[10:11]
	v_add_u32_e32 v8, -16, v6
	v_lshl_add_u64 v[32:33], v[8:9], 2, s[8:9]
	v_add_u32_e32 v8, 4, v12
	v_lshl_add_u64 v[34:35], v[8:9], 2, s[10:11]
	v_add_u32_e32 v8, -14, v6
	;; [unrolled: 4-line block ×8, first 2 shown]
	v_lshl_add_u64 v[60:61], v[8:9], 2, s[8:9]
	v_add_u32_e32 v8, 11, v12
	v_lshl_add_u64 v[62:63], v[8:9], 2, s[10:11]
	v_add_u32_e32 v8, 12, v12
	v_lshl_add_u64 v[12:13], v[12:13], 2, s[10:11]
	global_load_dword v64, v[12:13], off
	global_load_dword v66, v[16:17], off
	global_load_dwordx2 v[68:69], v[20:21], off
	global_load_dword v70, v[26:27], off
	global_load_dwordx2 v[72:73], v[28:29], off
	;; [unrolled: 2-line block ×7, first 2 shown]
                                        ; kill: killed $vgpr42_vgpr43
                                        ; kill: killed $vgpr40_vgpr41
                                        ; kill: killed $vgpr38_vgpr39
                                        ; kill: killed $vgpr36_vgpr37
                                        ; kill: killed $vgpr34_vgpr35
                                        ; kill: killed $vgpr32_vgpr33
                                        ; kill: killed $vgpr12_vgpr13
                                        ; kill: killed $vgpr20_vgpr21
                                        ; kill: killed $vgpr30_vgpr31
                                        ; kill: killed $vgpr28_vgpr29
                                        ; kill: killed $vgpr48_vgpr49
                                        ; kill: killed $vgpr46_vgpr47
                                        ; kill: killed $vgpr16_vgpr17
                                        ; kill: killed $vgpr44_vgpr45
                                        ; kill: killed $vgpr26_vgpr27
	global_load_dword v12, v[50:51], off
	global_load_dwordx2 v[16:17], v[52:53], off
	global_load_dword v20, v[54:55], off
	global_load_dwordx2 v[26:27], v[56:57], off
	;; [unrolled: 2-line block ×3, first 2 shown]
	global_load_dword v32, v[62:63], off
	v_add_u32_e32 v6, 0x68, v6
	s_waitcnt vmcnt(21)
	v_pk_fma_f32 v[4:5], v[22:23], v[64:65], v[4:5] op_sel_hi:[1,0,1]
	v_lshl_add_u64 v[22:23], v[8:9], 2, s[10:11]
	global_load_dword v8, v[22:23], off
	s_waitcnt vmcnt(21)
	v_pk_fma_f32 v[4:5], v[24:25], v[66:67], v[4:5] op_sel_hi:[1,0,1]
	s_waitcnt vmcnt(19)
	v_pk_fma_f32 v[4:5], v[68:69], v[70:71], v[4:5] op_sel_hi:[1,0,1]
	;; [unrolled: 2-line block ×12, first 2 shown]
	s_andn2_b64 exec, exec, s[18:19]
	s_cbranch_execnz .LBB55_9
; %bb.10:
	s_or_b64 exec, exec, s[18:19]
.LBB55_11:
	s_or_b64 exec, exec, s[4:5]
	s_cbranch_execz .LBB55_13
	s_branch .LBB55_18
.LBB55_12:
                                        ; implicit-def: $vgpr5
.LBB55_13:
	v_mov_b32_e32 v5, 0
	v_mov_b32_e32 v4, v5
	s_and_saveexec_b64 s[4:5], s[2:3]
	s_cbranch_execz .LBB55_17
; %bb.14:
	v_mad_u64_u32 v[6:7], s[2:3], v0, 26, 25
	v_mov_b32_e32 v9, 0
	s_mov_b64 s[2:3], 0
	v_mov_b32_e32 v4, v9
	v_mov_b32_e32 v5, v9
.LBB55_15:                              ; =>This Inner Loop Header: Depth=1
	v_ashrrev_i32_e32 v1, 31, v0
	v_subrev_u32_e32 v8, 25, v6
	v_add_u32_e32 v10, -12, v6
	v_mov_b32_e32 v11, v9
	v_lshl_add_u64 v[16:17], v[0:1], 2, s[6:7]
	v_lshl_add_u64 v[18:19], v[8:9], 2, s[8:9]
	;; [unrolled: 1-line block ×3, first 2 shown]
	global_load_dword v1, v[16:17], off
	global_load_dwordx2 v[10:11], v[18:19], off
	global_load_dword v23, v[20:21], off
	v_mov_b32_e32 v13, v9
	v_mov_b32_e32 v7, v9
	v_add_u32_e32 v0, 4, v0
	v_cmp_ge_i32_e32 vcc, v0, v14
	s_or_b64 s[2:3], vcc, s[2:3]
	s_waitcnt vmcnt(2)
	v_subrev_u32_e32 v1, s16, v1
	v_mul_lo_u32 v12, v1, 13
	v_lshl_add_u64 v[16:17], v[12:13], 2, s[10:11]
	s_waitcnt vmcnt(1)
	v_mov_b32_e32 v22, v10
	global_load_dword v10, v[16:17], off
	v_add_u32_e32 v8, 1, v12
	v_lshl_add_u64 v[16:17], v[8:9], 2, s[10:11]
	v_add_u32_e32 v8, -11, v6
	v_lshl_add_u64 v[18:19], v[8:9], 2, s[8:9]
	v_subrev_u32_e32 v8, 23, v6
	v_lshl_add_u64 v[20:21], v[8:9], 2, s[8:9]
	v_add_u32_e32 v8, 2, v12
	v_lshl_add_u64 v[24:25], v[8:9], 2, s[10:11]
	v_add_u32_e32 v8, -10, v6
	v_lshl_add_u64 v[26:27], v[8:9], 2, s[8:9]
	v_subrev_u32_e32 v8, 22, v6
	v_lshl_add_u64 v[28:29], v[8:9], 2, s[8:9]
	v_add_u32_e32 v8, 3, v12
	global_load_dword v20, v[20:21], off
	s_nop 0
	global_load_dword v21, v[26:27], off
	global_load_dword v30, v[28:29], off
	v_lshl_add_u64 v[26:27], v[8:9], 2, s[10:11]
	v_add_u32_e32 v8, -9, v6
	v_lshl_add_u64 v[28:29], v[8:9], 2, s[8:9]
	v_subrev_u32_e32 v8, 21, v6
	v_lshl_add_u64 v[32:33], v[8:9], 2, s[8:9]
	v_add_u32_e32 v8, 4, v12
	global_load_dword v31, v[28:29], off
	global_load_dword v34, v[32:33], off
	v_lshl_add_u64 v[28:29], v[8:9], 2, s[10:11]
	v_add_u32_e32 v8, -8, v6
	v_lshl_add_u64 v[32:33], v[8:9], 2, s[8:9]
	v_subrev_u32_e32 v8, 20, v6
	v_lshl_add_u64 v[36:37], v[8:9], 2, s[8:9]
	v_add_u32_e32 v8, 5, v12
	;; [unrolled: 8-line block ×5, first 2 shown]
	global_load_dword v47, v[44:45], off
	global_load_dword v50, v[48:49], off
	v_lshl_add_u64 v[44:45], v[8:9], 2, s[10:11]
	v_add_u32_e32 v8, -4, v6
	v_lshl_add_u64 v[48:49], v[8:9], 2, s[8:9]
	v_add_u32_e32 v8, -16, v6
	v_lshl_add_u64 v[52:53], v[8:9], 2, s[8:9]
	v_add_u32_e32 v8, 9, v12
	global_load_dword v51, v[48:49], off
	global_load_dword v54, v[52:53], off
	v_lshl_add_u64 v[48:49], v[8:9], 2, s[10:11]
	v_add_u32_e32 v8, -3, v6
	v_lshl_add_u64 v[52:53], v[8:9], 2, s[8:9]
	v_add_u32_e32 v8, -15, v6
	v_lshl_add_u64 v[56:57], v[8:9], 2, s[8:9]
	v_add_u32_e32 v8, 10, v12
	global_load_dword v55, v[52:53], off
	global_load_dword v58, v[56:57], off
	v_lshl_add_u64 v[52:53], v[8:9], 2, s[10:11]
	v_add_u32_e32 v8, -2, v6
	v_lshl_add_u64 v[56:57], v[8:9], 2, s[8:9]
	v_add_u32_e32 v8, -14, v6
	global_load_dword v59, v[56:57], off
	v_lshl_add_u64 v[56:57], v[8:9], 2, s[8:9]
	v_add_u32_e32 v8, 11, v12
	v_mov_b32_e32 v64, v11
	s_waitcnt vmcnt(18)
	v_pk_fma_f32 v[4:5], v[22:23], v[10:11], v[4:5] op_sel_hi:[1,0,1]
	v_lshl_add_u64 v[22:23], v[8:9], 2, s[10:11]
	v_add_u32_e32 v8, -1, v6
	v_lshl_add_u64 v[60:61], v[8:9], 2, s[8:9]
	v_add_u32_e32 v8, -13, v6
	v_lshl_add_u64 v[62:63], v[8:9], 2, s[8:9]
	v_add_u32_e32 v8, 12, v12
	global_load_dword v12, v[56:57], off
	global_load_dword v13, v[60:61], off
	v_lshl_add_u64 v[56:57], v[6:7], 2, s[8:9]
	global_load_dword v61, v[56:57], off
	global_load_dword v10, v[16:17], off
	;; [unrolled: 1-line block ×14, first 2 shown]
	v_lshl_add_u64 v[16:17], v[8:9], 2, s[10:11]
	global_load_dword v8, v[16:17], off
	v_add_u32_e32 v6, 0x68, v6
	s_waitcnt vmcnt(12)
	v_pk_fma_f32 v[4:5], v[64:65], v[10:11], v[4:5] op_sel_hi:[1,0,1]
	s_waitcnt vmcnt(11)
	v_pk_fma_f32 v[4:5], v[20:21], v[66:67], v[4:5] op_sel_hi:[1,0,1]
	;; [unrolled: 2-line block ×12, first 2 shown]
	s_andn2_b64 exec, exec, s[2:3]
	s_cbranch_execnz .LBB55_15
; %bb.16:
	s_or_b64 exec, exec, s[2:3]
.LBB55_17:
	s_or_b64 exec, exec, s[4:5]
.LBB55_18:
	v_mov_b32_dpp v0, v4 row_shr:1 row_mask:0xf bank_mask:0xf
	v_mov_b32_dpp v1, v5 row_shr:1 row_mask:0xf bank_mask:0xf
	v_pk_add_f32 v[0:1], v[4:5], v[0:1]
	v_cmp_eq_u32_e32 vcc, 3, v3
	s_nop 0
	v_mov_b32_dpp v4, v0 row_shr:2 row_mask:0xf bank_mask:0xf
	v_mov_b32_dpp v5, v1 row_shr:2 row_mask:0xf bank_mask:0xf
	s_and_b64 exec, exec, vcc
	s_cbranch_execz .LBB55_22
; %bb.19:
	s_load_dwordx2 s[0:1], s[0:1], 0x38
	v_cmp_eq_f32_e64 s[2:3], s12, 0
	v_pk_add_f32 v[0:1], v[0:1], v[4:5]
	s_and_b64 vcc, exec, s[2:3]
	v_lshlrev_b32_e32 v2, 1, v2
	s_cbranch_vccz .LBB55_23
; %bb.20:
	v_ashrrev_i32_e32 v3, 31, v2
	s_waitcnt lgkmcnt(0)
	v_lshl_add_u64 v[4:5], v[2:3], 2, s[0:1]
	v_pk_mul_f32 v[6:7], s[14:15], v[0:1] op_sel_hi:[0,1]
	global_store_dwordx2 v[4:5], v[6:7], off
	s_cbranch_execnz .LBB55_22
.LBB55_21:
	v_ashrrev_i32_e32 v3, 31, v2
	s_waitcnt lgkmcnt(0)
	v_lshl_add_u64 v[2:3], v[2:3], 2, s[0:1]
	global_load_dwordx2 v[4:5], v[2:3], off
	v_pk_mul_f32 v[0:1], s[14:15], v[0:1] op_sel_hi:[0,1]
	s_waitcnt vmcnt(0)
	v_pk_fma_f32 v[0:1], s[12:13], v[4:5], v[0:1] op_sel_hi:[0,1,1]
	global_store_dwordx2 v[2:3], v[0:1], off
.LBB55_22:
	s_endpgm
.LBB55_23:
	s_branch .LBB55_21
	.section	.rodata,"a",@progbits
	.p2align	6, 0x0
	.amdhsa_kernel _ZN9rocsparseL19gebsrmvn_2xn_kernelILj128ELj13ELj4EfEEvi20rocsparse_direction_NS_24const_host_device_scalarIT2_EEPKiS6_PKS3_S8_S4_PS3_21rocsparse_index_base_b
		.amdhsa_group_segment_fixed_size 0
		.amdhsa_private_segment_fixed_size 0
		.amdhsa_kernarg_size 72
		.amdhsa_user_sgpr_count 2
		.amdhsa_user_sgpr_dispatch_ptr 0
		.amdhsa_user_sgpr_queue_ptr 0
		.amdhsa_user_sgpr_kernarg_segment_ptr 1
		.amdhsa_user_sgpr_dispatch_id 0
		.amdhsa_user_sgpr_kernarg_preload_length 0
		.amdhsa_user_sgpr_kernarg_preload_offset 0
		.amdhsa_user_sgpr_private_segment_size 0
		.amdhsa_uses_dynamic_stack 0
		.amdhsa_enable_private_segment 0
		.amdhsa_system_sgpr_workgroup_id_x 1
		.amdhsa_system_sgpr_workgroup_id_y 0
		.amdhsa_system_sgpr_workgroup_id_z 0
		.amdhsa_system_sgpr_workgroup_info 0
		.amdhsa_system_vgpr_workitem_id 0
		.amdhsa_next_free_vgpr 94
		.amdhsa_next_free_sgpr 20
		.amdhsa_accum_offset 96
		.amdhsa_reserve_vcc 1
		.amdhsa_float_round_mode_32 0
		.amdhsa_float_round_mode_16_64 0
		.amdhsa_float_denorm_mode_32 3
		.amdhsa_float_denorm_mode_16_64 3
		.amdhsa_dx10_clamp 1
		.amdhsa_ieee_mode 1
		.amdhsa_fp16_overflow 0
		.amdhsa_tg_split 0
		.amdhsa_exception_fp_ieee_invalid_op 0
		.amdhsa_exception_fp_denorm_src 0
		.amdhsa_exception_fp_ieee_div_zero 0
		.amdhsa_exception_fp_ieee_overflow 0
		.amdhsa_exception_fp_ieee_underflow 0
		.amdhsa_exception_fp_ieee_inexact 0
		.amdhsa_exception_int_div_zero 0
	.end_amdhsa_kernel
	.section	.text._ZN9rocsparseL19gebsrmvn_2xn_kernelILj128ELj13ELj4EfEEvi20rocsparse_direction_NS_24const_host_device_scalarIT2_EEPKiS6_PKS3_S8_S4_PS3_21rocsparse_index_base_b,"axG",@progbits,_ZN9rocsparseL19gebsrmvn_2xn_kernelILj128ELj13ELj4EfEEvi20rocsparse_direction_NS_24const_host_device_scalarIT2_EEPKiS6_PKS3_S8_S4_PS3_21rocsparse_index_base_b,comdat
.Lfunc_end55:
	.size	_ZN9rocsparseL19gebsrmvn_2xn_kernelILj128ELj13ELj4EfEEvi20rocsparse_direction_NS_24const_host_device_scalarIT2_EEPKiS6_PKS3_S8_S4_PS3_21rocsparse_index_base_b, .Lfunc_end55-_ZN9rocsparseL19gebsrmvn_2xn_kernelILj128ELj13ELj4EfEEvi20rocsparse_direction_NS_24const_host_device_scalarIT2_EEPKiS6_PKS3_S8_S4_PS3_21rocsparse_index_base_b
                                        ; -- End function
	.section	.AMDGPU.csdata,"",@progbits
; Kernel info:
; codeLenInByte = 2244
; NumSgprs: 26
; NumVgprs: 94
; NumAgprs: 0
; TotalNumVgprs: 94
; ScratchSize: 0
; MemoryBound: 0
; FloatMode: 240
; IeeeMode: 1
; LDSByteSize: 0 bytes/workgroup (compile time only)
; SGPRBlocks: 3
; VGPRBlocks: 11
; NumSGPRsForWavesPerEU: 26
; NumVGPRsForWavesPerEU: 94
; AccumOffset: 96
; Occupancy: 5
; WaveLimiterHint : 1
; COMPUTE_PGM_RSRC2:SCRATCH_EN: 0
; COMPUTE_PGM_RSRC2:USER_SGPR: 2
; COMPUTE_PGM_RSRC2:TRAP_HANDLER: 0
; COMPUTE_PGM_RSRC2:TGID_X_EN: 1
; COMPUTE_PGM_RSRC2:TGID_Y_EN: 0
; COMPUTE_PGM_RSRC2:TGID_Z_EN: 0
; COMPUTE_PGM_RSRC2:TIDIG_COMP_CNT: 0
; COMPUTE_PGM_RSRC3_GFX90A:ACCUM_OFFSET: 23
; COMPUTE_PGM_RSRC3_GFX90A:TG_SPLIT: 0
	.section	.text._ZN9rocsparseL19gebsrmvn_2xn_kernelILj128ELj13ELj8EfEEvi20rocsparse_direction_NS_24const_host_device_scalarIT2_EEPKiS6_PKS3_S8_S4_PS3_21rocsparse_index_base_b,"axG",@progbits,_ZN9rocsparseL19gebsrmvn_2xn_kernelILj128ELj13ELj8EfEEvi20rocsparse_direction_NS_24const_host_device_scalarIT2_EEPKiS6_PKS3_S8_S4_PS3_21rocsparse_index_base_b,comdat
	.globl	_ZN9rocsparseL19gebsrmvn_2xn_kernelILj128ELj13ELj8EfEEvi20rocsparse_direction_NS_24const_host_device_scalarIT2_EEPKiS6_PKS3_S8_S4_PS3_21rocsparse_index_base_b ; -- Begin function _ZN9rocsparseL19gebsrmvn_2xn_kernelILj128ELj13ELj8EfEEvi20rocsparse_direction_NS_24const_host_device_scalarIT2_EEPKiS6_PKS3_S8_S4_PS3_21rocsparse_index_base_b
	.p2align	8
	.type	_ZN9rocsparseL19gebsrmvn_2xn_kernelILj128ELj13ELj8EfEEvi20rocsparse_direction_NS_24const_host_device_scalarIT2_EEPKiS6_PKS3_S8_S4_PS3_21rocsparse_index_base_b,@function
_ZN9rocsparseL19gebsrmvn_2xn_kernelILj128ELj13ELj8EfEEvi20rocsparse_direction_NS_24const_host_device_scalarIT2_EEPKiS6_PKS3_S8_S4_PS3_21rocsparse_index_base_b: ; @_ZN9rocsparseL19gebsrmvn_2xn_kernelILj128ELj13ELj8EfEEvi20rocsparse_direction_NS_24const_host_device_scalarIT2_EEPKiS6_PKS3_S8_S4_PS3_21rocsparse_index_base_b
; %bb.0:
	s_load_dwordx2 s[16:17], s[0:1], 0x40
	s_load_dwordx2 s[14:15], s[0:1], 0x8
	;; [unrolled: 1-line block ×3, first 2 shown]
	s_waitcnt lgkmcnt(0)
	s_bitcmp1_b32 s17, 0
	s_cselect_b64 s[6:7], -1, 0
	s_xor_b64 s[4:5], s[6:7], -1
	s_and_b64 vcc, exec, s[6:7]
	s_cbranch_vccnz .LBB56_2
; %bb.1:
	s_load_dword s14, s[14:15], 0x0
.LBB56_2:
	s_andn2_b64 vcc, exec, s[4:5]
	s_cbranch_vccnz .LBB56_4
; %bb.3:
	s_load_dword s12, s[12:13], 0x0
.LBB56_4:
	s_waitcnt lgkmcnt(0)
	v_cmp_eq_f32_e64 s[4:5], s14, 0
	v_cmp_eq_f32_e64 s[6:7], s12, 1.0
	s_and_b64 s[4:5], s[4:5], s[6:7]
	s_and_b64 vcc, exec, s[4:5]
	s_cbranch_vccnz .LBB56_22
; %bb.5:
	s_load_dwordx2 s[18:19], s[0:1], 0x0
	v_lshrrev_b32_e32 v1, 3, v0
	v_lshl_or_b32 v2, s2, 4, v1
	s_waitcnt lgkmcnt(0)
	v_cmp_gt_i32_e32 vcc, s18, v2
	s_and_saveexec_b64 s[2:3], vcc
	s_cbranch_execz .LBB56_22
; %bb.6:
	s_load_dwordx8 s[4:11], s[0:1], 0x10
	v_ashrrev_i32_e32 v3, 31, v2
	s_cmp_lg_u32 s19, 0
	s_waitcnt lgkmcnt(0)
	v_lshl_add_u64 v[4:5], v[2:3], 2, s[4:5]
	global_load_dwordx2 v[4:5], v[4:5], off
	v_and_b32_e32 v3, 7, v0
	s_waitcnt vmcnt(0)
	v_subrev_u32_e32 v0, s16, v4
	v_subrev_u32_e32 v16, s16, v5
	v_add_u32_e32 v0, v0, v3
	v_cmp_lt_i32_e64 s[2:3], v0, v16
	s_cbranch_scc0 .LBB56_12
; %bb.7:
	v_mov_b32_e32 v5, 0
	v_mov_b32_e32 v4, v5
	s_and_saveexec_b64 s[4:5], s[2:3]
	s_cbranch_execz .LBB56_11
; %bb.8:
	v_mad_u64_u32 v[6:7], s[18:19], v0, 26, 24
	v_mov_b32_e32 v9, 0
	s_mov_b64 s[18:19], 0
	v_mov_b32_e32 v10, v0
	v_mov_b32_e32 v4, v9
	v_mov_b32_e32 v5, v9
.LBB56_9:                               ; =>This Inner Loop Header: Depth=1
	v_ashrrev_i32_e32 v11, 31, v10
	v_subrev_u32_e32 v8, 24, v6
	v_lshl_add_u64 v[14:15], v[10:11], 2, s[6:7]
	v_lshl_add_u64 v[18:19], v[8:9], 2, s[8:9]
	global_load_dword v1, v[14:15], off
	global_load_dwordx2 v[22:23], v[18:19], off
	v_mov_b32_e32 v7, v9
	v_subrev_u32_e32 v8, 22, v6
	v_lshl_add_u64 v[20:21], v[6:7], 2, s[8:9]
	v_lshl_add_u64 v[14:15], v[8:9], 2, s[8:9]
	global_load_dwordx2 v[18:19], v[20:21], off
	global_load_dwordx2 v[24:25], v[14:15], off
	v_mov_b32_e32 v13, v9
	v_add_u32_e32 v10, 8, v10
	v_cmp_ge_i32_e32 vcc, v10, v16
	s_or_b64 s[18:19], vcc, s[18:19]
	s_waitcnt vmcnt(3)
	v_subrev_u32_e32 v1, s16, v1
	v_mul_lo_u32 v12, v1, 13
	v_add_u32_e32 v8, 1, v12
	v_lshl_add_u64 v[14:15], v[8:9], 2, s[10:11]
	v_subrev_u32_e32 v8, 20, v6
	v_lshl_add_u64 v[20:21], v[8:9], 2, s[8:9]
	v_add_u32_e32 v8, 2, v12
	v_lshl_add_u64 v[26:27], v[8:9], 2, s[10:11]
	v_subrev_u32_e32 v8, 18, v6
	v_lshl_add_u64 v[28:29], v[8:9], 2, s[8:9]
	v_add_u32_e32 v8, 3, v12
	v_lshl_add_u64 v[30:31], v[8:9], 2, s[10:11]
	v_add_u32_e32 v8, -16, v6
	v_lshl_add_u64 v[32:33], v[8:9], 2, s[8:9]
	v_add_u32_e32 v8, 4, v12
	v_lshl_add_u64 v[34:35], v[8:9], 2, s[10:11]
	v_add_u32_e32 v8, -14, v6
	;; [unrolled: 4-line block ×8, first 2 shown]
	v_lshl_add_u64 v[60:61], v[8:9], 2, s[8:9]
	v_add_u32_e32 v8, 11, v12
	v_lshl_add_u64 v[62:63], v[8:9], 2, s[10:11]
	v_add_u32_e32 v8, 12, v12
	v_lshl_add_u64 v[12:13], v[12:13], 2, s[10:11]
	global_load_dword v64, v[12:13], off
	global_load_dword v66, v[14:15], off
	global_load_dwordx2 v[68:69], v[20:21], off
	global_load_dword v70, v[26:27], off
	global_load_dwordx2 v[72:73], v[28:29], off
	;; [unrolled: 2-line block ×7, first 2 shown]
                                        ; kill: killed $vgpr46_vgpr47
                                        ; kill: killed $vgpr44_vgpr45
                                        ; kill: killed $vgpr42_vgpr43
                                        ; kill: killed $vgpr40_vgpr41
                                        ; kill: killed $vgpr38_vgpr39
                                        ; kill: killed $vgpr36_vgpr37
                                        ; kill: killed $vgpr34_vgpr35
                                        ; kill: killed $vgpr32_vgpr33
                                        ; kill: killed $vgpr12_vgpr13
                                        ; kill: killed $vgpr20_vgpr21
                                        ; kill: killed $vgpr30_vgpr31
                                        ; kill: killed $vgpr28_vgpr29
                                        ; kill: killed $vgpr48_vgpr49
                                        ; kill: killed $vgpr14_vgpr15
                                        ; kill: killed $vgpr26_vgpr27
	global_load_dword v12, v[50:51], off
	global_load_dwordx2 v[14:15], v[52:53], off
	global_load_dword v20, v[54:55], off
	global_load_dwordx2 v[26:27], v[56:57], off
	;; [unrolled: 2-line block ×3, first 2 shown]
	global_load_dword v32, v[62:63], off
	v_add_u32_e32 v6, 0xd0, v6
	s_waitcnt vmcnt(21)
	v_pk_fma_f32 v[4:5], v[22:23], v[64:65], v[4:5] op_sel_hi:[1,0,1]
	v_lshl_add_u64 v[22:23], v[8:9], 2, s[10:11]
	global_load_dword v8, v[22:23], off
	s_waitcnt vmcnt(21)
	v_pk_fma_f32 v[4:5], v[24:25], v[66:67], v[4:5] op_sel_hi:[1,0,1]
	s_waitcnt vmcnt(19)
	v_pk_fma_f32 v[4:5], v[68:69], v[70:71], v[4:5] op_sel_hi:[1,0,1]
	;; [unrolled: 2-line block ×12, first 2 shown]
	s_andn2_b64 exec, exec, s[18:19]
	s_cbranch_execnz .LBB56_9
; %bb.10:
	s_or_b64 exec, exec, s[18:19]
.LBB56_11:
	s_or_b64 exec, exec, s[4:5]
	s_cbranch_execz .LBB56_13
	s_branch .LBB56_18
.LBB56_12:
                                        ; implicit-def: $vgpr5
.LBB56_13:
	v_mov_b32_e32 v5, 0
	v_mov_b32_e32 v4, v5
	s_and_saveexec_b64 s[4:5], s[2:3]
	s_cbranch_execz .LBB56_17
; %bb.14:
	v_mad_u64_u32 v[6:7], s[2:3], v0, 26, 25
	v_mov_b32_e32 v9, 0
	s_mov_b64 s[2:3], 0
	v_mov_b32_e32 v4, v9
	v_mov_b32_e32 v5, v9
.LBB56_15:                              ; =>This Inner Loop Header: Depth=1
	v_ashrrev_i32_e32 v1, 31, v0
	v_subrev_u32_e32 v8, 25, v6
	v_add_u32_e32 v10, -12, v6
	v_mov_b32_e32 v11, v9
	v_lshl_add_u64 v[18:19], v[0:1], 2, s[6:7]
	v_lshl_add_u64 v[20:21], v[8:9], 2, s[8:9]
	;; [unrolled: 1-line block ×3, first 2 shown]
	global_load_dword v1, v[18:19], off
	global_load_dwordx2 v[10:11], v[20:21], off
	global_load_dword v15, v[22:23], off
	v_mov_b32_e32 v13, v9
	v_mov_b32_e32 v7, v9
	v_add_u32_e32 v0, 8, v0
	v_cmp_ge_i32_e32 vcc, v0, v16
	s_or_b64 s[2:3], vcc, s[2:3]
	s_waitcnt vmcnt(2)
	v_subrev_u32_e32 v1, s16, v1
	v_mul_lo_u32 v12, v1, 13
	v_lshl_add_u64 v[18:19], v[12:13], 2, s[10:11]
	s_waitcnt vmcnt(1)
	v_mov_b32_e32 v14, v10
	global_load_dword v10, v[18:19], off
	v_add_u32_e32 v8, 1, v12
	v_lshl_add_u64 v[18:19], v[8:9], 2, s[10:11]
	v_add_u32_e32 v8, -11, v6
	v_lshl_add_u64 v[20:21], v[8:9], 2, s[8:9]
	v_subrev_u32_e32 v8, 23, v6
	v_lshl_add_u64 v[22:23], v[8:9], 2, s[8:9]
	v_add_u32_e32 v8, 2, v12
	v_lshl_add_u64 v[24:25], v[8:9], 2, s[10:11]
	v_add_u32_e32 v8, -10, v6
	v_lshl_add_u64 v[26:27], v[8:9], 2, s[8:9]
	v_subrev_u32_e32 v8, 22, v6
	v_lshl_add_u64 v[28:29], v[8:9], 2, s[8:9]
	v_add_u32_e32 v8, 3, v12
	global_load_dword v22, v[22:23], off
	s_nop 0
	global_load_dword v23, v[26:27], off
	global_load_dword v30, v[28:29], off
	v_lshl_add_u64 v[26:27], v[8:9], 2, s[10:11]
	v_add_u32_e32 v8, -9, v6
	v_lshl_add_u64 v[28:29], v[8:9], 2, s[8:9]
	v_subrev_u32_e32 v8, 21, v6
	v_lshl_add_u64 v[32:33], v[8:9], 2, s[8:9]
	v_add_u32_e32 v8, 4, v12
	global_load_dword v31, v[28:29], off
	global_load_dword v34, v[32:33], off
	v_lshl_add_u64 v[28:29], v[8:9], 2, s[10:11]
	v_add_u32_e32 v8, -8, v6
	v_lshl_add_u64 v[32:33], v[8:9], 2, s[8:9]
	v_subrev_u32_e32 v8, 20, v6
	v_lshl_add_u64 v[36:37], v[8:9], 2, s[8:9]
	v_add_u32_e32 v8, 5, v12
	global_load_dword v35, v[32:33], off
	global_load_dword v38, v[36:37], off
	v_lshl_add_u64 v[32:33], v[8:9], 2, s[10:11]
	v_add_u32_e32 v8, -7, v6
	v_lshl_add_u64 v[36:37], v[8:9], 2, s[8:9]
	v_subrev_u32_e32 v8, 19, v6
	v_lshl_add_u64 v[40:41], v[8:9], 2, s[8:9]
	v_add_u32_e32 v8, 6, v12
	global_load_dword v39, v[36:37], off
	global_load_dword v42, v[40:41], off
	v_lshl_add_u64 v[36:37], v[8:9], 2, s[10:11]
	v_add_u32_e32 v8, -6, v6
	v_lshl_add_u64 v[40:41], v[8:9], 2, s[8:9]
	v_subrev_u32_e32 v8, 18, v6
	v_lshl_add_u64 v[44:45], v[8:9], 2, s[8:9]
	v_add_u32_e32 v8, 7, v12
	global_load_dword v43, v[40:41], off
	global_load_dword v46, v[44:45], off
	v_lshl_add_u64 v[40:41], v[8:9], 2, s[10:11]
	v_add_u32_e32 v8, -5, v6
	v_lshl_add_u64 v[44:45], v[8:9], 2, s[8:9]
	v_subrev_u32_e32 v8, 17, v6
	v_lshl_add_u64 v[48:49], v[8:9], 2, s[8:9]
	v_add_u32_e32 v8, 8, v12
	global_load_dword v47, v[44:45], off
	global_load_dword v50, v[48:49], off
	v_lshl_add_u64 v[44:45], v[8:9], 2, s[10:11]
	v_add_u32_e32 v8, -4, v6
	v_lshl_add_u64 v[48:49], v[8:9], 2, s[8:9]
	v_add_u32_e32 v8, -16, v6
	v_lshl_add_u64 v[52:53], v[8:9], 2, s[8:9]
	v_add_u32_e32 v8, 9, v12
	global_load_dword v51, v[48:49], off
	global_load_dword v54, v[52:53], off
	v_lshl_add_u64 v[48:49], v[8:9], 2, s[10:11]
	v_add_u32_e32 v8, -3, v6
	v_lshl_add_u64 v[52:53], v[8:9], 2, s[8:9]
	v_add_u32_e32 v8, -15, v6
	v_lshl_add_u64 v[56:57], v[8:9], 2, s[8:9]
	v_add_u32_e32 v8, 10, v12
	global_load_dword v55, v[52:53], off
	global_load_dword v58, v[56:57], off
	v_lshl_add_u64 v[52:53], v[8:9], 2, s[10:11]
	v_add_u32_e32 v8, -2, v6
	v_lshl_add_u64 v[56:57], v[8:9], 2, s[8:9]
	v_add_u32_e32 v8, -14, v6
	global_load_dword v59, v[56:57], off
	v_lshl_add_u64 v[56:57], v[8:9], 2, s[8:9]
	v_add_u32_e32 v8, 11, v12
	v_mov_b32_e32 v64, v11
	s_waitcnt vmcnt(18)
	v_pk_fma_f32 v[4:5], v[14:15], v[10:11], v[4:5] op_sel_hi:[1,0,1]
	v_lshl_add_u64 v[14:15], v[8:9], 2, s[10:11]
	v_add_u32_e32 v8, -1, v6
	v_lshl_add_u64 v[60:61], v[8:9], 2, s[8:9]
	v_add_u32_e32 v8, -13, v6
	v_lshl_add_u64 v[62:63], v[8:9], 2, s[8:9]
	v_add_u32_e32 v8, 12, v12
	global_load_dword v12, v[56:57], off
	global_load_dword v13, v[60:61], off
	v_lshl_add_u64 v[56:57], v[6:7], 2, s[8:9]
	global_load_dword v61, v[56:57], off
	global_load_dword v10, v[18:19], off
	global_load_dword v65, v[20:21], off
	global_load_dword v66, v[24:25], off
	global_load_dword v68, v[26:27], off
	global_load_dword v70, v[28:29], off
	global_load_dword v72, v[32:33], off
	global_load_dword v74, v[36:37], off
	global_load_dword v76, v[40:41], off
	global_load_dword v78, v[44:45], off
	global_load_dword v80, v[48:49], off
	global_load_dword v82, v[52:53], off
	global_load_dword v84, v[14:15], off
	global_load_dword v60, v[62:63], off
	v_lshl_add_u64 v[14:15], v[8:9], 2, s[10:11]
	global_load_dword v8, v[14:15], off
	v_add_u32_e32 v6, 0xd0, v6
	s_waitcnt vmcnt(12)
	v_pk_fma_f32 v[4:5], v[64:65], v[10:11], v[4:5] op_sel_hi:[1,0,1]
	s_waitcnt vmcnt(11)
	v_pk_fma_f32 v[4:5], v[22:23], v[66:67], v[4:5] op_sel_hi:[1,0,1]
	;; [unrolled: 2-line block ×12, first 2 shown]
	s_andn2_b64 exec, exec, s[2:3]
	s_cbranch_execnz .LBB56_15
; %bb.16:
	s_or_b64 exec, exec, s[2:3]
.LBB56_17:
	s_or_b64 exec, exec, s[4:5]
.LBB56_18:
	v_mov_b32_dpp v0, v4 row_shr:1 row_mask:0xf bank_mask:0xf
	v_mov_b32_dpp v1, v5 row_shr:1 row_mask:0xf bank_mask:0xf
	v_pk_add_f32 v[0:1], v[4:5], v[0:1]
	v_cmp_eq_u32_e32 vcc, 7, v3
	s_nop 0
	v_mov_b32_dpp v4, v0 row_shr:2 row_mask:0xf bank_mask:0xf
	v_mov_b32_dpp v5, v1 row_shr:2 row_mask:0xf bank_mask:0xf
	v_pk_add_f32 v[0:1], v[0:1], v[4:5]
	s_nop 1
	v_mov_b32_dpp v4, v0 row_shr:4 row_mask:0xf bank_mask:0xe
	v_mov_b32_dpp v5, v1 row_shr:4 row_mask:0xf bank_mask:0xe
	s_and_b64 exec, exec, vcc
	s_cbranch_execz .LBB56_22
; %bb.19:
	s_load_dwordx2 s[0:1], s[0:1], 0x38
	v_cmp_eq_f32_e64 s[2:3], s12, 0
	v_pk_add_f32 v[0:1], v[0:1], v[4:5]
	s_and_b64 vcc, exec, s[2:3]
	v_lshlrev_b32_e32 v2, 1, v2
	s_cbranch_vccz .LBB56_23
; %bb.20:
	v_ashrrev_i32_e32 v3, 31, v2
	s_waitcnt lgkmcnt(0)
	v_lshl_add_u64 v[4:5], v[2:3], 2, s[0:1]
	v_pk_mul_f32 v[6:7], s[14:15], v[0:1] op_sel_hi:[0,1]
	global_store_dwordx2 v[4:5], v[6:7], off
	s_cbranch_execnz .LBB56_22
.LBB56_21:
	v_ashrrev_i32_e32 v3, 31, v2
	s_waitcnt lgkmcnt(0)
	v_lshl_add_u64 v[2:3], v[2:3], 2, s[0:1]
	global_load_dwordx2 v[4:5], v[2:3], off
	v_pk_mul_f32 v[0:1], s[14:15], v[0:1] op_sel_hi:[0,1]
	s_waitcnt vmcnt(0)
	v_pk_fma_f32 v[0:1], s[12:13], v[4:5], v[0:1] op_sel_hi:[0,1,1]
	global_store_dwordx2 v[2:3], v[0:1], off
.LBB56_22:
	s_endpgm
.LBB56_23:
	s_branch .LBB56_21
	.section	.rodata,"a",@progbits
	.p2align	6, 0x0
	.amdhsa_kernel _ZN9rocsparseL19gebsrmvn_2xn_kernelILj128ELj13ELj8EfEEvi20rocsparse_direction_NS_24const_host_device_scalarIT2_EEPKiS6_PKS3_S8_S4_PS3_21rocsparse_index_base_b
		.amdhsa_group_segment_fixed_size 0
		.amdhsa_private_segment_fixed_size 0
		.amdhsa_kernarg_size 72
		.amdhsa_user_sgpr_count 2
		.amdhsa_user_sgpr_dispatch_ptr 0
		.amdhsa_user_sgpr_queue_ptr 0
		.amdhsa_user_sgpr_kernarg_segment_ptr 1
		.amdhsa_user_sgpr_dispatch_id 0
		.amdhsa_user_sgpr_kernarg_preload_length 0
		.amdhsa_user_sgpr_kernarg_preload_offset 0
		.amdhsa_user_sgpr_private_segment_size 0
		.amdhsa_uses_dynamic_stack 0
		.amdhsa_enable_private_segment 0
		.amdhsa_system_sgpr_workgroup_id_x 1
		.amdhsa_system_sgpr_workgroup_id_y 0
		.amdhsa_system_sgpr_workgroup_id_z 0
		.amdhsa_system_sgpr_workgroup_info 0
		.amdhsa_system_vgpr_workitem_id 0
		.amdhsa_next_free_vgpr 94
		.amdhsa_next_free_sgpr 20
		.amdhsa_accum_offset 96
		.amdhsa_reserve_vcc 1
		.amdhsa_float_round_mode_32 0
		.amdhsa_float_round_mode_16_64 0
		.amdhsa_float_denorm_mode_32 3
		.amdhsa_float_denorm_mode_16_64 3
		.amdhsa_dx10_clamp 1
		.amdhsa_ieee_mode 1
		.amdhsa_fp16_overflow 0
		.amdhsa_tg_split 0
		.amdhsa_exception_fp_ieee_invalid_op 0
		.amdhsa_exception_fp_denorm_src 0
		.amdhsa_exception_fp_ieee_div_zero 0
		.amdhsa_exception_fp_ieee_overflow 0
		.amdhsa_exception_fp_ieee_underflow 0
		.amdhsa_exception_fp_ieee_inexact 0
		.amdhsa_exception_int_div_zero 0
	.end_amdhsa_kernel
	.section	.text._ZN9rocsparseL19gebsrmvn_2xn_kernelILj128ELj13ELj8EfEEvi20rocsparse_direction_NS_24const_host_device_scalarIT2_EEPKiS6_PKS3_S8_S4_PS3_21rocsparse_index_base_b,"axG",@progbits,_ZN9rocsparseL19gebsrmvn_2xn_kernelILj128ELj13ELj8EfEEvi20rocsparse_direction_NS_24const_host_device_scalarIT2_EEPKiS6_PKS3_S8_S4_PS3_21rocsparse_index_base_b,comdat
.Lfunc_end56:
	.size	_ZN9rocsparseL19gebsrmvn_2xn_kernelILj128ELj13ELj8EfEEvi20rocsparse_direction_NS_24const_host_device_scalarIT2_EEPKiS6_PKS3_S8_S4_PS3_21rocsparse_index_base_b, .Lfunc_end56-_ZN9rocsparseL19gebsrmvn_2xn_kernelILj128ELj13ELj8EfEEvi20rocsparse_direction_NS_24const_host_device_scalarIT2_EEPKiS6_PKS3_S8_S4_PS3_21rocsparse_index_base_b
                                        ; -- End function
	.section	.AMDGPU.csdata,"",@progbits
; Kernel info:
; codeLenInByte = 2272
; NumSgprs: 26
; NumVgprs: 94
; NumAgprs: 0
; TotalNumVgprs: 94
; ScratchSize: 0
; MemoryBound: 0
; FloatMode: 240
; IeeeMode: 1
; LDSByteSize: 0 bytes/workgroup (compile time only)
; SGPRBlocks: 3
; VGPRBlocks: 11
; NumSGPRsForWavesPerEU: 26
; NumVGPRsForWavesPerEU: 94
; AccumOffset: 96
; Occupancy: 5
; WaveLimiterHint : 1
; COMPUTE_PGM_RSRC2:SCRATCH_EN: 0
; COMPUTE_PGM_RSRC2:USER_SGPR: 2
; COMPUTE_PGM_RSRC2:TRAP_HANDLER: 0
; COMPUTE_PGM_RSRC2:TGID_X_EN: 1
; COMPUTE_PGM_RSRC2:TGID_Y_EN: 0
; COMPUTE_PGM_RSRC2:TGID_Z_EN: 0
; COMPUTE_PGM_RSRC2:TIDIG_COMP_CNT: 0
; COMPUTE_PGM_RSRC3_GFX90A:ACCUM_OFFSET: 23
; COMPUTE_PGM_RSRC3_GFX90A:TG_SPLIT: 0
	.section	.text._ZN9rocsparseL19gebsrmvn_2xn_kernelILj128ELj13ELj16EfEEvi20rocsparse_direction_NS_24const_host_device_scalarIT2_EEPKiS6_PKS3_S8_S4_PS3_21rocsparse_index_base_b,"axG",@progbits,_ZN9rocsparseL19gebsrmvn_2xn_kernelILj128ELj13ELj16EfEEvi20rocsparse_direction_NS_24const_host_device_scalarIT2_EEPKiS6_PKS3_S8_S4_PS3_21rocsparse_index_base_b,comdat
	.globl	_ZN9rocsparseL19gebsrmvn_2xn_kernelILj128ELj13ELj16EfEEvi20rocsparse_direction_NS_24const_host_device_scalarIT2_EEPKiS6_PKS3_S8_S4_PS3_21rocsparse_index_base_b ; -- Begin function _ZN9rocsparseL19gebsrmvn_2xn_kernelILj128ELj13ELj16EfEEvi20rocsparse_direction_NS_24const_host_device_scalarIT2_EEPKiS6_PKS3_S8_S4_PS3_21rocsparse_index_base_b
	.p2align	8
	.type	_ZN9rocsparseL19gebsrmvn_2xn_kernelILj128ELj13ELj16EfEEvi20rocsparse_direction_NS_24const_host_device_scalarIT2_EEPKiS6_PKS3_S8_S4_PS3_21rocsparse_index_base_b,@function
_ZN9rocsparseL19gebsrmvn_2xn_kernelILj128ELj13ELj16EfEEvi20rocsparse_direction_NS_24const_host_device_scalarIT2_EEPKiS6_PKS3_S8_S4_PS3_21rocsparse_index_base_b: ; @_ZN9rocsparseL19gebsrmvn_2xn_kernelILj128ELj13ELj16EfEEvi20rocsparse_direction_NS_24const_host_device_scalarIT2_EEPKiS6_PKS3_S8_S4_PS3_21rocsparse_index_base_b
; %bb.0:
	s_load_dwordx2 s[16:17], s[0:1], 0x40
	s_load_dwordx2 s[14:15], s[0:1], 0x8
	s_load_dwordx2 s[12:13], s[0:1], 0x30
	s_waitcnt lgkmcnt(0)
	s_bitcmp1_b32 s17, 0
	s_cselect_b64 s[6:7], -1, 0
	s_xor_b64 s[4:5], s[6:7], -1
	s_and_b64 vcc, exec, s[6:7]
	s_cbranch_vccnz .LBB57_2
; %bb.1:
	s_load_dword s14, s[14:15], 0x0
.LBB57_2:
	s_andn2_b64 vcc, exec, s[4:5]
	s_cbranch_vccnz .LBB57_4
; %bb.3:
	s_load_dword s12, s[12:13], 0x0
.LBB57_4:
	s_waitcnt lgkmcnt(0)
	v_cmp_eq_f32_e64 s[4:5], s14, 0
	v_cmp_eq_f32_e64 s[6:7], s12, 1.0
	s_and_b64 s[4:5], s[4:5], s[6:7]
	s_and_b64 vcc, exec, s[4:5]
	s_cbranch_vccnz .LBB57_22
; %bb.5:
	s_load_dwordx2 s[18:19], s[0:1], 0x0
	v_lshrrev_b32_e32 v1, 4, v0
	v_lshl_or_b32 v2, s2, 3, v1
	s_waitcnt lgkmcnt(0)
	v_cmp_gt_i32_e32 vcc, s18, v2
	s_and_saveexec_b64 s[2:3], vcc
	s_cbranch_execz .LBB57_22
; %bb.6:
	s_load_dwordx8 s[4:11], s[0:1], 0x10
	v_ashrrev_i32_e32 v3, 31, v2
	s_cmp_lg_u32 s19, 0
	s_waitcnt lgkmcnt(0)
	v_lshl_add_u64 v[4:5], v[2:3], 2, s[4:5]
	global_load_dwordx2 v[4:5], v[4:5], off
	v_and_b32_e32 v3, 15, v0
	s_waitcnt vmcnt(0)
	v_subrev_u32_e32 v0, s16, v4
	v_subrev_u32_e32 v16, s16, v5
	v_add_u32_e32 v0, v0, v3
	v_cmp_lt_i32_e64 s[2:3], v0, v16
	s_cbranch_scc0 .LBB57_12
; %bb.7:
	v_mov_b32_e32 v5, 0
	v_mov_b32_e32 v4, v5
	s_and_saveexec_b64 s[4:5], s[2:3]
	s_cbranch_execz .LBB57_11
; %bb.8:
	v_mad_u64_u32 v[6:7], s[18:19], v0, 26, 24
	v_mov_b32_e32 v9, 0
	s_mov_b64 s[18:19], 0
	v_mov_b32_e32 v10, v0
	v_mov_b32_e32 v4, v9
	;; [unrolled: 1-line block ×3, first 2 shown]
.LBB57_9:                               ; =>This Inner Loop Header: Depth=1
	v_ashrrev_i32_e32 v11, 31, v10
	v_subrev_u32_e32 v8, 24, v6
	v_lshl_add_u64 v[14:15], v[10:11], 2, s[6:7]
	v_lshl_add_u64 v[18:19], v[8:9], 2, s[8:9]
	global_load_dword v1, v[14:15], off
	global_load_dwordx2 v[22:23], v[18:19], off
	v_mov_b32_e32 v7, v9
	v_subrev_u32_e32 v8, 22, v6
	v_lshl_add_u64 v[20:21], v[6:7], 2, s[8:9]
	v_lshl_add_u64 v[14:15], v[8:9], 2, s[8:9]
	global_load_dwordx2 v[18:19], v[20:21], off
	global_load_dwordx2 v[24:25], v[14:15], off
	v_mov_b32_e32 v13, v9
	v_add_u32_e32 v10, 16, v10
	v_cmp_ge_i32_e32 vcc, v10, v16
	s_or_b64 s[18:19], vcc, s[18:19]
	s_waitcnt vmcnt(3)
	v_subrev_u32_e32 v1, s16, v1
	v_mul_lo_u32 v12, v1, 13
	v_add_u32_e32 v8, 1, v12
	v_lshl_add_u64 v[14:15], v[8:9], 2, s[10:11]
	v_subrev_u32_e32 v8, 20, v6
	v_lshl_add_u64 v[20:21], v[8:9], 2, s[8:9]
	v_add_u32_e32 v8, 2, v12
	v_lshl_add_u64 v[26:27], v[8:9], 2, s[10:11]
	v_subrev_u32_e32 v8, 18, v6
	v_lshl_add_u64 v[28:29], v[8:9], 2, s[8:9]
	v_add_u32_e32 v8, 3, v12
	v_lshl_add_u64 v[30:31], v[8:9], 2, s[10:11]
	v_add_u32_e32 v8, -16, v6
	v_lshl_add_u64 v[32:33], v[8:9], 2, s[8:9]
	v_add_u32_e32 v8, 4, v12
	v_lshl_add_u64 v[34:35], v[8:9], 2, s[10:11]
	v_add_u32_e32 v8, -14, v6
	;; [unrolled: 4-line block ×8, first 2 shown]
	v_lshl_add_u64 v[60:61], v[8:9], 2, s[8:9]
	v_add_u32_e32 v8, 11, v12
	v_lshl_add_u64 v[62:63], v[8:9], 2, s[10:11]
	v_add_u32_e32 v8, 12, v12
	v_lshl_add_u64 v[12:13], v[12:13], 2, s[10:11]
	global_load_dword v64, v[12:13], off
	global_load_dword v66, v[14:15], off
	global_load_dwordx2 v[68:69], v[20:21], off
	global_load_dword v70, v[26:27], off
	global_load_dwordx2 v[72:73], v[28:29], off
	;; [unrolled: 2-line block ×7, first 2 shown]
                                        ; kill: killed $vgpr48_vgpr49
                                        ; kill: killed $vgpr46_vgpr47
                                        ; kill: killed $vgpr44_vgpr45
                                        ; kill: killed $vgpr42_vgpr43
                                        ; kill: killed $vgpr40_vgpr41
                                        ; kill: killed $vgpr38_vgpr39
                                        ; kill: killed $vgpr36_vgpr37
                                        ; kill: killed $vgpr34_vgpr35
                                        ; kill: killed $vgpr32_vgpr33
                                        ; kill: killed $vgpr12_vgpr13
                                        ; kill: killed $vgpr20_vgpr21
                                        ; kill: killed $vgpr30_vgpr31
                                        ; kill: killed $vgpr28_vgpr29
                                        ; kill: killed $vgpr14_vgpr15
                                        ; kill: killed $vgpr26_vgpr27
	global_load_dword v12, v[50:51], off
	global_load_dwordx2 v[14:15], v[52:53], off
	global_load_dword v20, v[54:55], off
	global_load_dwordx2 v[26:27], v[56:57], off
	;; [unrolled: 2-line block ×3, first 2 shown]
	global_load_dword v32, v[62:63], off
	v_add_u32_e32 v6, 0x1a0, v6
	s_waitcnt vmcnt(21)
	v_pk_fma_f32 v[4:5], v[22:23], v[64:65], v[4:5] op_sel_hi:[1,0,1]
	v_lshl_add_u64 v[22:23], v[8:9], 2, s[10:11]
	global_load_dword v8, v[22:23], off
	s_waitcnt vmcnt(21)
	v_pk_fma_f32 v[4:5], v[24:25], v[66:67], v[4:5] op_sel_hi:[1,0,1]
	s_waitcnt vmcnt(19)
	v_pk_fma_f32 v[4:5], v[68:69], v[70:71], v[4:5] op_sel_hi:[1,0,1]
	;; [unrolled: 2-line block ×12, first 2 shown]
	s_andn2_b64 exec, exec, s[18:19]
	s_cbranch_execnz .LBB57_9
; %bb.10:
	s_or_b64 exec, exec, s[18:19]
.LBB57_11:
	s_or_b64 exec, exec, s[4:5]
	s_cbranch_execz .LBB57_13
	s_branch .LBB57_18
.LBB57_12:
                                        ; implicit-def: $vgpr5
.LBB57_13:
	v_mov_b32_e32 v5, 0
	v_mov_b32_e32 v4, v5
	s_and_saveexec_b64 s[4:5], s[2:3]
	s_cbranch_execz .LBB57_17
; %bb.14:
	v_mad_u64_u32 v[6:7], s[2:3], v0, 26, 25
	v_mov_b32_e32 v9, 0
	s_mov_b64 s[2:3], 0
	v_mov_b32_e32 v4, v9
	v_mov_b32_e32 v5, v9
.LBB57_15:                              ; =>This Inner Loop Header: Depth=1
	v_ashrrev_i32_e32 v1, 31, v0
	v_subrev_u32_e32 v8, 25, v6
	v_add_u32_e32 v10, -12, v6
	v_mov_b32_e32 v11, v9
	v_lshl_add_u64 v[18:19], v[0:1], 2, s[6:7]
	v_lshl_add_u64 v[20:21], v[8:9], 2, s[8:9]
	;; [unrolled: 1-line block ×3, first 2 shown]
	global_load_dword v1, v[18:19], off
	global_load_dwordx2 v[10:11], v[20:21], off
	global_load_dword v15, v[22:23], off
	v_mov_b32_e32 v13, v9
	v_mov_b32_e32 v7, v9
	v_add_u32_e32 v0, 16, v0
	v_cmp_ge_i32_e32 vcc, v0, v16
	s_or_b64 s[2:3], vcc, s[2:3]
	s_waitcnt vmcnt(2)
	v_subrev_u32_e32 v1, s16, v1
	v_mul_lo_u32 v12, v1, 13
	v_lshl_add_u64 v[18:19], v[12:13], 2, s[10:11]
	s_waitcnt vmcnt(1)
	v_mov_b32_e32 v14, v10
	global_load_dword v10, v[18:19], off
	v_add_u32_e32 v8, 1, v12
	v_lshl_add_u64 v[18:19], v[8:9], 2, s[10:11]
	v_add_u32_e32 v8, -11, v6
	v_lshl_add_u64 v[20:21], v[8:9], 2, s[8:9]
	v_subrev_u32_e32 v8, 23, v6
	v_lshl_add_u64 v[22:23], v[8:9], 2, s[8:9]
	v_add_u32_e32 v8, 2, v12
	v_lshl_add_u64 v[24:25], v[8:9], 2, s[10:11]
	v_add_u32_e32 v8, -10, v6
	v_lshl_add_u64 v[26:27], v[8:9], 2, s[8:9]
	v_subrev_u32_e32 v8, 22, v6
	v_lshl_add_u64 v[28:29], v[8:9], 2, s[8:9]
	v_add_u32_e32 v8, 3, v12
	global_load_dword v22, v[22:23], off
	s_nop 0
	global_load_dword v23, v[26:27], off
	global_load_dword v30, v[28:29], off
	v_lshl_add_u64 v[26:27], v[8:9], 2, s[10:11]
	v_add_u32_e32 v8, -9, v6
	v_lshl_add_u64 v[28:29], v[8:9], 2, s[8:9]
	v_subrev_u32_e32 v8, 21, v6
	v_lshl_add_u64 v[32:33], v[8:9], 2, s[8:9]
	v_add_u32_e32 v8, 4, v12
	global_load_dword v31, v[28:29], off
	global_load_dword v34, v[32:33], off
	v_lshl_add_u64 v[28:29], v[8:9], 2, s[10:11]
	v_add_u32_e32 v8, -8, v6
	v_lshl_add_u64 v[32:33], v[8:9], 2, s[8:9]
	v_subrev_u32_e32 v8, 20, v6
	v_lshl_add_u64 v[36:37], v[8:9], 2, s[8:9]
	v_add_u32_e32 v8, 5, v12
	;; [unrolled: 8-line block ×5, first 2 shown]
	global_load_dword v47, v[44:45], off
	global_load_dword v50, v[48:49], off
	v_lshl_add_u64 v[44:45], v[8:9], 2, s[10:11]
	v_add_u32_e32 v8, -4, v6
	v_lshl_add_u64 v[48:49], v[8:9], 2, s[8:9]
	v_add_u32_e32 v8, -16, v6
	v_lshl_add_u64 v[52:53], v[8:9], 2, s[8:9]
	v_add_u32_e32 v8, 9, v12
	global_load_dword v51, v[48:49], off
	global_load_dword v54, v[52:53], off
	v_lshl_add_u64 v[48:49], v[8:9], 2, s[10:11]
	v_add_u32_e32 v8, -3, v6
	v_lshl_add_u64 v[52:53], v[8:9], 2, s[8:9]
	v_add_u32_e32 v8, -15, v6
	v_lshl_add_u64 v[56:57], v[8:9], 2, s[8:9]
	v_add_u32_e32 v8, 10, v12
	global_load_dword v55, v[52:53], off
	global_load_dword v58, v[56:57], off
	v_lshl_add_u64 v[52:53], v[8:9], 2, s[10:11]
	v_add_u32_e32 v8, -2, v6
	v_lshl_add_u64 v[56:57], v[8:9], 2, s[8:9]
	v_add_u32_e32 v8, -14, v6
	global_load_dword v59, v[56:57], off
	v_lshl_add_u64 v[56:57], v[8:9], 2, s[8:9]
	v_add_u32_e32 v8, 11, v12
	v_mov_b32_e32 v64, v11
	s_waitcnt vmcnt(18)
	v_pk_fma_f32 v[4:5], v[14:15], v[10:11], v[4:5] op_sel_hi:[1,0,1]
	v_lshl_add_u64 v[14:15], v[8:9], 2, s[10:11]
	v_add_u32_e32 v8, -1, v6
	v_lshl_add_u64 v[60:61], v[8:9], 2, s[8:9]
	v_add_u32_e32 v8, -13, v6
	v_lshl_add_u64 v[62:63], v[8:9], 2, s[8:9]
	v_add_u32_e32 v8, 12, v12
	global_load_dword v12, v[56:57], off
	global_load_dword v13, v[60:61], off
	v_lshl_add_u64 v[56:57], v[6:7], 2, s[8:9]
	global_load_dword v61, v[56:57], off
	global_load_dword v10, v[18:19], off
	;; [unrolled: 1-line block ×14, first 2 shown]
	v_lshl_add_u64 v[14:15], v[8:9], 2, s[10:11]
	global_load_dword v8, v[14:15], off
	v_add_u32_e32 v6, 0x1a0, v6
	s_waitcnt vmcnt(12)
	v_pk_fma_f32 v[4:5], v[64:65], v[10:11], v[4:5] op_sel_hi:[1,0,1]
	s_waitcnt vmcnt(11)
	v_pk_fma_f32 v[4:5], v[22:23], v[66:67], v[4:5] op_sel_hi:[1,0,1]
	;; [unrolled: 2-line block ×12, first 2 shown]
	s_andn2_b64 exec, exec, s[2:3]
	s_cbranch_execnz .LBB57_15
; %bb.16:
	s_or_b64 exec, exec, s[2:3]
.LBB57_17:
	s_or_b64 exec, exec, s[4:5]
.LBB57_18:
	v_mov_b32_dpp v0, v4 row_shr:1 row_mask:0xf bank_mask:0xf
	v_mov_b32_dpp v1, v5 row_shr:1 row_mask:0xf bank_mask:0xf
	v_pk_add_f32 v[0:1], v[4:5], v[0:1]
	v_cmp_eq_u32_e32 vcc, 15, v3
	s_nop 0
	v_mov_b32_dpp v4, v0 row_shr:2 row_mask:0xf bank_mask:0xf
	v_mov_b32_dpp v5, v1 row_shr:2 row_mask:0xf bank_mask:0xf
	v_pk_add_f32 v[0:1], v[0:1], v[4:5]
	s_nop 1
	v_mov_b32_dpp v4, v0 row_shr:4 row_mask:0xf bank_mask:0xe
	v_mov_b32_dpp v5, v1 row_shr:4 row_mask:0xf bank_mask:0xe
	v_pk_add_f32 v[0:1], v[0:1], v[4:5]
	s_nop 1
	v_mov_b32_dpp v4, v0 row_shr:8 row_mask:0xf bank_mask:0xc
	v_mov_b32_dpp v5, v1 row_shr:8 row_mask:0xf bank_mask:0xc
	s_and_b64 exec, exec, vcc
	s_cbranch_execz .LBB57_22
; %bb.19:
	s_load_dwordx2 s[0:1], s[0:1], 0x38
	v_cmp_eq_f32_e64 s[2:3], s12, 0
	v_pk_add_f32 v[0:1], v[0:1], v[4:5]
	s_and_b64 vcc, exec, s[2:3]
	v_lshlrev_b32_e32 v2, 1, v2
	s_cbranch_vccz .LBB57_23
; %bb.20:
	v_ashrrev_i32_e32 v3, 31, v2
	s_waitcnt lgkmcnt(0)
	v_lshl_add_u64 v[4:5], v[2:3], 2, s[0:1]
	v_pk_mul_f32 v[6:7], s[14:15], v[0:1] op_sel_hi:[0,1]
	global_store_dwordx2 v[4:5], v[6:7], off
	s_cbranch_execnz .LBB57_22
.LBB57_21:
	v_ashrrev_i32_e32 v3, 31, v2
	s_waitcnt lgkmcnt(0)
	v_lshl_add_u64 v[2:3], v[2:3], 2, s[0:1]
	global_load_dwordx2 v[4:5], v[2:3], off
	v_pk_mul_f32 v[0:1], s[14:15], v[0:1] op_sel_hi:[0,1]
	s_waitcnt vmcnt(0)
	v_pk_fma_f32 v[0:1], s[12:13], v[4:5], v[0:1] op_sel_hi:[0,1,1]
	global_store_dwordx2 v[2:3], v[0:1], off
.LBB57_22:
	s_endpgm
.LBB57_23:
	s_branch .LBB57_21
	.section	.rodata,"a",@progbits
	.p2align	6, 0x0
	.amdhsa_kernel _ZN9rocsparseL19gebsrmvn_2xn_kernelILj128ELj13ELj16EfEEvi20rocsparse_direction_NS_24const_host_device_scalarIT2_EEPKiS6_PKS3_S8_S4_PS3_21rocsparse_index_base_b
		.amdhsa_group_segment_fixed_size 0
		.amdhsa_private_segment_fixed_size 0
		.amdhsa_kernarg_size 72
		.amdhsa_user_sgpr_count 2
		.amdhsa_user_sgpr_dispatch_ptr 0
		.amdhsa_user_sgpr_queue_ptr 0
		.amdhsa_user_sgpr_kernarg_segment_ptr 1
		.amdhsa_user_sgpr_dispatch_id 0
		.amdhsa_user_sgpr_kernarg_preload_length 0
		.amdhsa_user_sgpr_kernarg_preload_offset 0
		.amdhsa_user_sgpr_private_segment_size 0
		.amdhsa_uses_dynamic_stack 0
		.amdhsa_enable_private_segment 0
		.amdhsa_system_sgpr_workgroup_id_x 1
		.amdhsa_system_sgpr_workgroup_id_y 0
		.amdhsa_system_sgpr_workgroup_id_z 0
		.amdhsa_system_sgpr_workgroup_info 0
		.amdhsa_system_vgpr_workitem_id 0
		.amdhsa_next_free_vgpr 94
		.amdhsa_next_free_sgpr 20
		.amdhsa_accum_offset 96
		.amdhsa_reserve_vcc 1
		.amdhsa_float_round_mode_32 0
		.amdhsa_float_round_mode_16_64 0
		.amdhsa_float_denorm_mode_32 3
		.amdhsa_float_denorm_mode_16_64 3
		.amdhsa_dx10_clamp 1
		.amdhsa_ieee_mode 1
		.amdhsa_fp16_overflow 0
		.amdhsa_tg_split 0
		.amdhsa_exception_fp_ieee_invalid_op 0
		.amdhsa_exception_fp_denorm_src 0
		.amdhsa_exception_fp_ieee_div_zero 0
		.amdhsa_exception_fp_ieee_overflow 0
		.amdhsa_exception_fp_ieee_underflow 0
		.amdhsa_exception_fp_ieee_inexact 0
		.amdhsa_exception_int_div_zero 0
	.end_amdhsa_kernel
	.section	.text._ZN9rocsparseL19gebsrmvn_2xn_kernelILj128ELj13ELj16EfEEvi20rocsparse_direction_NS_24const_host_device_scalarIT2_EEPKiS6_PKS3_S8_S4_PS3_21rocsparse_index_base_b,"axG",@progbits,_ZN9rocsparseL19gebsrmvn_2xn_kernelILj128ELj13ELj16EfEEvi20rocsparse_direction_NS_24const_host_device_scalarIT2_EEPKiS6_PKS3_S8_S4_PS3_21rocsparse_index_base_b,comdat
.Lfunc_end57:
	.size	_ZN9rocsparseL19gebsrmvn_2xn_kernelILj128ELj13ELj16EfEEvi20rocsparse_direction_NS_24const_host_device_scalarIT2_EEPKiS6_PKS3_S8_S4_PS3_21rocsparse_index_base_b, .Lfunc_end57-_ZN9rocsparseL19gebsrmvn_2xn_kernelILj128ELj13ELj16EfEEvi20rocsparse_direction_NS_24const_host_device_scalarIT2_EEPKiS6_PKS3_S8_S4_PS3_21rocsparse_index_base_b
                                        ; -- End function
	.section	.AMDGPU.csdata,"",@progbits
; Kernel info:
; codeLenInByte = 2300
; NumSgprs: 26
; NumVgprs: 94
; NumAgprs: 0
; TotalNumVgprs: 94
; ScratchSize: 0
; MemoryBound: 0
; FloatMode: 240
; IeeeMode: 1
; LDSByteSize: 0 bytes/workgroup (compile time only)
; SGPRBlocks: 3
; VGPRBlocks: 11
; NumSGPRsForWavesPerEU: 26
; NumVGPRsForWavesPerEU: 94
; AccumOffset: 96
; Occupancy: 5
; WaveLimiterHint : 1
; COMPUTE_PGM_RSRC2:SCRATCH_EN: 0
; COMPUTE_PGM_RSRC2:USER_SGPR: 2
; COMPUTE_PGM_RSRC2:TRAP_HANDLER: 0
; COMPUTE_PGM_RSRC2:TGID_X_EN: 1
; COMPUTE_PGM_RSRC2:TGID_Y_EN: 0
; COMPUTE_PGM_RSRC2:TGID_Z_EN: 0
; COMPUTE_PGM_RSRC2:TIDIG_COMP_CNT: 0
; COMPUTE_PGM_RSRC3_GFX90A:ACCUM_OFFSET: 23
; COMPUTE_PGM_RSRC3_GFX90A:TG_SPLIT: 0
	.section	.text._ZN9rocsparseL19gebsrmvn_2xn_kernelILj128ELj13ELj32EfEEvi20rocsparse_direction_NS_24const_host_device_scalarIT2_EEPKiS6_PKS3_S8_S4_PS3_21rocsparse_index_base_b,"axG",@progbits,_ZN9rocsparseL19gebsrmvn_2xn_kernelILj128ELj13ELj32EfEEvi20rocsparse_direction_NS_24const_host_device_scalarIT2_EEPKiS6_PKS3_S8_S4_PS3_21rocsparse_index_base_b,comdat
	.globl	_ZN9rocsparseL19gebsrmvn_2xn_kernelILj128ELj13ELj32EfEEvi20rocsparse_direction_NS_24const_host_device_scalarIT2_EEPKiS6_PKS3_S8_S4_PS3_21rocsparse_index_base_b ; -- Begin function _ZN9rocsparseL19gebsrmvn_2xn_kernelILj128ELj13ELj32EfEEvi20rocsparse_direction_NS_24const_host_device_scalarIT2_EEPKiS6_PKS3_S8_S4_PS3_21rocsparse_index_base_b
	.p2align	8
	.type	_ZN9rocsparseL19gebsrmvn_2xn_kernelILj128ELj13ELj32EfEEvi20rocsparse_direction_NS_24const_host_device_scalarIT2_EEPKiS6_PKS3_S8_S4_PS3_21rocsparse_index_base_b,@function
_ZN9rocsparseL19gebsrmvn_2xn_kernelILj128ELj13ELj32EfEEvi20rocsparse_direction_NS_24const_host_device_scalarIT2_EEPKiS6_PKS3_S8_S4_PS3_21rocsparse_index_base_b: ; @_ZN9rocsparseL19gebsrmvn_2xn_kernelILj128ELj13ELj32EfEEvi20rocsparse_direction_NS_24const_host_device_scalarIT2_EEPKiS6_PKS3_S8_S4_PS3_21rocsparse_index_base_b
; %bb.0:
	s_load_dwordx2 s[16:17], s[0:1], 0x40
	s_load_dwordx2 s[14:15], s[0:1], 0x8
	;; [unrolled: 1-line block ×3, first 2 shown]
	s_waitcnt lgkmcnt(0)
	s_bitcmp1_b32 s17, 0
	s_cselect_b64 s[6:7], -1, 0
	s_xor_b64 s[4:5], s[6:7], -1
	s_and_b64 vcc, exec, s[6:7]
	s_cbranch_vccnz .LBB58_2
; %bb.1:
	s_load_dword s14, s[14:15], 0x0
.LBB58_2:
	s_andn2_b64 vcc, exec, s[4:5]
	s_cbranch_vccnz .LBB58_4
; %bb.3:
	s_load_dword s12, s[12:13], 0x0
.LBB58_4:
	s_waitcnt lgkmcnt(0)
	v_cmp_eq_f32_e64 s[4:5], s14, 0
	v_cmp_eq_f32_e64 s[6:7], s12, 1.0
	s_and_b64 s[4:5], s[4:5], s[6:7]
	s_and_b64 vcc, exec, s[4:5]
	s_cbranch_vccnz .LBB58_22
; %bb.5:
	s_load_dwordx2 s[18:19], s[0:1], 0x0
	v_lshrrev_b32_e32 v1, 5, v0
	v_lshl_or_b32 v2, s2, 2, v1
	s_waitcnt lgkmcnt(0)
	v_cmp_gt_i32_e32 vcc, s18, v2
	s_and_saveexec_b64 s[2:3], vcc
	s_cbranch_execz .LBB58_22
; %bb.6:
	s_load_dwordx8 s[4:11], s[0:1], 0x10
	v_ashrrev_i32_e32 v3, 31, v2
	s_cmp_lg_u32 s19, 0
	s_waitcnt lgkmcnt(0)
	v_lshl_add_u64 v[4:5], v[2:3], 2, s[4:5]
	global_load_dwordx2 v[4:5], v[4:5], off
	v_and_b32_e32 v3, 31, v0
	s_waitcnt vmcnt(0)
	v_subrev_u32_e32 v0, s16, v4
	v_subrev_u32_e32 v16, s16, v5
	v_add_u32_e32 v0, v0, v3
	v_cmp_lt_i32_e64 s[2:3], v0, v16
	s_cbranch_scc0 .LBB58_12
; %bb.7:
	v_mov_b32_e32 v5, 0
	v_mov_b32_e32 v4, v5
	s_and_saveexec_b64 s[4:5], s[2:3]
	s_cbranch_execz .LBB58_11
; %bb.8:
	v_mad_u64_u32 v[6:7], s[18:19], v0, 26, 24
	v_mov_b32_e32 v9, 0
	s_mov_b64 s[18:19], 0
	v_mov_b32_e32 v10, v0
	v_mov_b32_e32 v4, v9
	;; [unrolled: 1-line block ×3, first 2 shown]
.LBB58_9:                               ; =>This Inner Loop Header: Depth=1
	v_ashrrev_i32_e32 v11, 31, v10
	v_subrev_u32_e32 v8, 24, v6
	v_lshl_add_u64 v[14:15], v[10:11], 2, s[6:7]
	v_lshl_add_u64 v[18:19], v[8:9], 2, s[8:9]
	global_load_dword v1, v[14:15], off
	global_load_dwordx2 v[22:23], v[18:19], off
	v_mov_b32_e32 v7, v9
	v_subrev_u32_e32 v8, 22, v6
	v_lshl_add_u64 v[20:21], v[6:7], 2, s[8:9]
	v_lshl_add_u64 v[14:15], v[8:9], 2, s[8:9]
	global_load_dwordx2 v[18:19], v[20:21], off
	global_load_dwordx2 v[24:25], v[14:15], off
	v_mov_b32_e32 v13, v9
	v_add_u32_e32 v10, 32, v10
	v_cmp_ge_i32_e32 vcc, v10, v16
	s_or_b64 s[18:19], vcc, s[18:19]
	s_waitcnt vmcnt(3)
	v_subrev_u32_e32 v1, s16, v1
	v_mul_lo_u32 v12, v1, 13
	v_add_u32_e32 v8, 1, v12
	v_lshl_add_u64 v[14:15], v[8:9], 2, s[10:11]
	v_subrev_u32_e32 v8, 20, v6
	v_lshl_add_u64 v[20:21], v[8:9], 2, s[8:9]
	v_add_u32_e32 v8, 2, v12
	v_lshl_add_u64 v[26:27], v[8:9], 2, s[10:11]
	v_subrev_u32_e32 v8, 18, v6
	v_lshl_add_u64 v[28:29], v[8:9], 2, s[8:9]
	v_add_u32_e32 v8, 3, v12
	v_lshl_add_u64 v[30:31], v[8:9], 2, s[10:11]
	v_add_u32_e32 v8, -16, v6
	v_lshl_add_u64 v[32:33], v[8:9], 2, s[8:9]
	v_add_u32_e32 v8, 4, v12
	v_lshl_add_u64 v[34:35], v[8:9], 2, s[10:11]
	v_add_u32_e32 v8, -14, v6
	;; [unrolled: 4-line block ×8, first 2 shown]
	v_lshl_add_u64 v[60:61], v[8:9], 2, s[8:9]
	v_add_u32_e32 v8, 11, v12
	v_lshl_add_u64 v[62:63], v[8:9], 2, s[10:11]
	v_add_u32_e32 v8, 12, v12
	v_lshl_add_u64 v[12:13], v[12:13], 2, s[10:11]
	global_load_dword v64, v[12:13], off
	global_load_dword v66, v[14:15], off
	global_load_dwordx2 v[68:69], v[20:21], off
	global_load_dword v70, v[26:27], off
	global_load_dwordx2 v[72:73], v[28:29], off
	;; [unrolled: 2-line block ×7, first 2 shown]
                                        ; kill: killed $vgpr48_vgpr49
                                        ; kill: killed $vgpr46_vgpr47
                                        ; kill: killed $vgpr44_vgpr45
                                        ; kill: killed $vgpr42_vgpr43
                                        ; kill: killed $vgpr40_vgpr41
                                        ; kill: killed $vgpr38_vgpr39
                                        ; kill: killed $vgpr36_vgpr37
                                        ; kill: killed $vgpr34_vgpr35
                                        ; kill: killed $vgpr32_vgpr33
                                        ; kill: killed $vgpr12_vgpr13
                                        ; kill: killed $vgpr20_vgpr21
                                        ; kill: killed $vgpr30_vgpr31
                                        ; kill: killed $vgpr28_vgpr29
                                        ; kill: killed $vgpr14_vgpr15
                                        ; kill: killed $vgpr26_vgpr27
	global_load_dword v12, v[50:51], off
	global_load_dwordx2 v[14:15], v[52:53], off
	global_load_dword v20, v[54:55], off
	global_load_dwordx2 v[26:27], v[56:57], off
	global_load_dword v28, v[58:59], off
	global_load_dwordx2 v[30:31], v[60:61], off
	global_load_dword v32, v[62:63], off
	v_add_u32_e32 v6, 0x340, v6
	s_waitcnt vmcnt(21)
	v_pk_fma_f32 v[4:5], v[22:23], v[64:65], v[4:5] op_sel_hi:[1,0,1]
	v_lshl_add_u64 v[22:23], v[8:9], 2, s[10:11]
	global_load_dword v8, v[22:23], off
	s_waitcnt vmcnt(21)
	v_pk_fma_f32 v[4:5], v[24:25], v[66:67], v[4:5] op_sel_hi:[1,0,1]
	s_waitcnt vmcnt(19)
	v_pk_fma_f32 v[4:5], v[68:69], v[70:71], v[4:5] op_sel_hi:[1,0,1]
	;; [unrolled: 2-line block ×12, first 2 shown]
	s_andn2_b64 exec, exec, s[18:19]
	s_cbranch_execnz .LBB58_9
; %bb.10:
	s_or_b64 exec, exec, s[18:19]
.LBB58_11:
	s_or_b64 exec, exec, s[4:5]
	s_cbranch_execz .LBB58_13
	s_branch .LBB58_18
.LBB58_12:
                                        ; implicit-def: $vgpr5
.LBB58_13:
	v_mov_b32_e32 v5, 0
	v_mov_b32_e32 v4, v5
	s_and_saveexec_b64 s[4:5], s[2:3]
	s_cbranch_execz .LBB58_17
; %bb.14:
	v_mad_u64_u32 v[6:7], s[2:3], v0, 26, 25
	v_mov_b32_e32 v9, 0
	s_mov_b64 s[2:3], 0
	v_mov_b32_e32 v4, v9
	v_mov_b32_e32 v5, v9
.LBB58_15:                              ; =>This Inner Loop Header: Depth=1
	v_ashrrev_i32_e32 v1, 31, v0
	v_subrev_u32_e32 v8, 25, v6
	v_add_u32_e32 v10, -12, v6
	v_mov_b32_e32 v11, v9
	v_lshl_add_u64 v[18:19], v[0:1], 2, s[6:7]
	v_lshl_add_u64 v[20:21], v[8:9], 2, s[8:9]
	;; [unrolled: 1-line block ×3, first 2 shown]
	global_load_dword v1, v[18:19], off
	global_load_dwordx2 v[10:11], v[20:21], off
	global_load_dword v15, v[22:23], off
	v_mov_b32_e32 v13, v9
	v_mov_b32_e32 v7, v9
	v_add_u32_e32 v0, 32, v0
	v_cmp_ge_i32_e32 vcc, v0, v16
	s_or_b64 s[2:3], vcc, s[2:3]
	s_waitcnt vmcnt(2)
	v_subrev_u32_e32 v1, s16, v1
	v_mul_lo_u32 v12, v1, 13
	v_lshl_add_u64 v[18:19], v[12:13], 2, s[10:11]
	s_waitcnt vmcnt(1)
	v_mov_b32_e32 v14, v10
	global_load_dword v10, v[18:19], off
	v_add_u32_e32 v8, 1, v12
	v_lshl_add_u64 v[18:19], v[8:9], 2, s[10:11]
	v_add_u32_e32 v8, -11, v6
	v_lshl_add_u64 v[20:21], v[8:9], 2, s[8:9]
	v_subrev_u32_e32 v8, 23, v6
	v_lshl_add_u64 v[22:23], v[8:9], 2, s[8:9]
	v_add_u32_e32 v8, 2, v12
	v_lshl_add_u64 v[24:25], v[8:9], 2, s[10:11]
	v_add_u32_e32 v8, -10, v6
	v_lshl_add_u64 v[26:27], v[8:9], 2, s[8:9]
	v_subrev_u32_e32 v8, 22, v6
	v_lshl_add_u64 v[28:29], v[8:9], 2, s[8:9]
	v_add_u32_e32 v8, 3, v12
	global_load_dword v22, v[22:23], off
	s_nop 0
	global_load_dword v23, v[26:27], off
	global_load_dword v30, v[28:29], off
	v_lshl_add_u64 v[26:27], v[8:9], 2, s[10:11]
	v_add_u32_e32 v8, -9, v6
	v_lshl_add_u64 v[28:29], v[8:9], 2, s[8:9]
	v_subrev_u32_e32 v8, 21, v6
	v_lshl_add_u64 v[32:33], v[8:9], 2, s[8:9]
	v_add_u32_e32 v8, 4, v12
	global_load_dword v31, v[28:29], off
	global_load_dword v34, v[32:33], off
	v_lshl_add_u64 v[28:29], v[8:9], 2, s[10:11]
	v_add_u32_e32 v8, -8, v6
	v_lshl_add_u64 v[32:33], v[8:9], 2, s[8:9]
	v_subrev_u32_e32 v8, 20, v6
	v_lshl_add_u64 v[36:37], v[8:9], 2, s[8:9]
	v_add_u32_e32 v8, 5, v12
	;; [unrolled: 8-line block ×5, first 2 shown]
	global_load_dword v47, v[44:45], off
	global_load_dword v50, v[48:49], off
	v_lshl_add_u64 v[44:45], v[8:9], 2, s[10:11]
	v_add_u32_e32 v8, -4, v6
	v_lshl_add_u64 v[48:49], v[8:9], 2, s[8:9]
	v_add_u32_e32 v8, -16, v6
	v_lshl_add_u64 v[52:53], v[8:9], 2, s[8:9]
	v_add_u32_e32 v8, 9, v12
	global_load_dword v51, v[48:49], off
	global_load_dword v54, v[52:53], off
	v_lshl_add_u64 v[48:49], v[8:9], 2, s[10:11]
	v_add_u32_e32 v8, -3, v6
	v_lshl_add_u64 v[52:53], v[8:9], 2, s[8:9]
	v_add_u32_e32 v8, -15, v6
	v_lshl_add_u64 v[56:57], v[8:9], 2, s[8:9]
	v_add_u32_e32 v8, 10, v12
	global_load_dword v55, v[52:53], off
	global_load_dword v58, v[56:57], off
	v_lshl_add_u64 v[52:53], v[8:9], 2, s[10:11]
	v_add_u32_e32 v8, -2, v6
	v_lshl_add_u64 v[56:57], v[8:9], 2, s[8:9]
	v_add_u32_e32 v8, -14, v6
	global_load_dword v59, v[56:57], off
	v_lshl_add_u64 v[56:57], v[8:9], 2, s[8:9]
	v_add_u32_e32 v8, 11, v12
	v_mov_b32_e32 v64, v11
	s_waitcnt vmcnt(18)
	v_pk_fma_f32 v[4:5], v[14:15], v[10:11], v[4:5] op_sel_hi:[1,0,1]
	v_lshl_add_u64 v[14:15], v[8:9], 2, s[10:11]
	v_add_u32_e32 v8, -1, v6
	v_lshl_add_u64 v[60:61], v[8:9], 2, s[8:9]
	v_add_u32_e32 v8, -13, v6
	v_lshl_add_u64 v[62:63], v[8:9], 2, s[8:9]
	v_add_u32_e32 v8, 12, v12
	global_load_dword v12, v[56:57], off
	global_load_dword v13, v[60:61], off
	v_lshl_add_u64 v[56:57], v[6:7], 2, s[8:9]
	global_load_dword v61, v[56:57], off
	global_load_dword v10, v[18:19], off
	;; [unrolled: 1-line block ×14, first 2 shown]
	v_lshl_add_u64 v[14:15], v[8:9], 2, s[10:11]
	global_load_dword v8, v[14:15], off
	v_add_u32_e32 v6, 0x340, v6
	s_waitcnt vmcnt(12)
	v_pk_fma_f32 v[4:5], v[64:65], v[10:11], v[4:5] op_sel_hi:[1,0,1]
	s_waitcnt vmcnt(11)
	v_pk_fma_f32 v[4:5], v[22:23], v[66:67], v[4:5] op_sel_hi:[1,0,1]
	;; [unrolled: 2-line block ×12, first 2 shown]
	s_andn2_b64 exec, exec, s[2:3]
	s_cbranch_execnz .LBB58_15
; %bb.16:
	s_or_b64 exec, exec, s[2:3]
.LBB58_17:
	s_or_b64 exec, exec, s[4:5]
.LBB58_18:
	v_mov_b32_dpp v0, v4 row_shr:1 row_mask:0xf bank_mask:0xf
	v_mov_b32_dpp v1, v5 row_shr:1 row_mask:0xf bank_mask:0xf
	v_pk_add_f32 v[0:1], v[4:5], v[0:1]
	v_cmp_eq_u32_e32 vcc, 31, v3
	s_nop 0
	v_mov_b32_dpp v4, v0 row_shr:2 row_mask:0xf bank_mask:0xf
	v_mov_b32_dpp v5, v1 row_shr:2 row_mask:0xf bank_mask:0xf
	v_pk_add_f32 v[0:1], v[0:1], v[4:5]
	s_nop 1
	v_mov_b32_dpp v4, v0 row_shr:4 row_mask:0xf bank_mask:0xe
	v_mov_b32_dpp v5, v1 row_shr:4 row_mask:0xf bank_mask:0xe
	v_pk_add_f32 v[0:1], v[0:1], v[4:5]
	;; [unrolled: 4-line block ×3, first 2 shown]
	s_nop 1
	v_mov_b32_dpp v4, v0 row_bcast:15 row_mask:0xa bank_mask:0xf
	v_mov_b32_dpp v5, v1 row_bcast:15 row_mask:0xa bank_mask:0xf
	s_and_b64 exec, exec, vcc
	s_cbranch_execz .LBB58_22
; %bb.19:
	s_load_dwordx2 s[0:1], s[0:1], 0x38
	v_cmp_eq_f32_e64 s[2:3], s12, 0
	v_pk_add_f32 v[0:1], v[0:1], v[4:5]
	s_and_b64 vcc, exec, s[2:3]
	v_lshlrev_b32_e32 v2, 1, v2
	s_cbranch_vccz .LBB58_23
; %bb.20:
	v_ashrrev_i32_e32 v3, 31, v2
	s_waitcnt lgkmcnt(0)
	v_lshl_add_u64 v[4:5], v[2:3], 2, s[0:1]
	v_pk_mul_f32 v[6:7], s[14:15], v[0:1] op_sel_hi:[0,1]
	global_store_dwordx2 v[4:5], v[6:7], off
	s_cbranch_execnz .LBB58_22
.LBB58_21:
	v_ashrrev_i32_e32 v3, 31, v2
	s_waitcnt lgkmcnt(0)
	v_lshl_add_u64 v[2:3], v[2:3], 2, s[0:1]
	global_load_dwordx2 v[4:5], v[2:3], off
	v_pk_mul_f32 v[0:1], s[14:15], v[0:1] op_sel_hi:[0,1]
	s_waitcnt vmcnt(0)
	v_pk_fma_f32 v[0:1], s[12:13], v[4:5], v[0:1] op_sel_hi:[0,1,1]
	global_store_dwordx2 v[2:3], v[0:1], off
.LBB58_22:
	s_endpgm
.LBB58_23:
	s_branch .LBB58_21
	.section	.rodata,"a",@progbits
	.p2align	6, 0x0
	.amdhsa_kernel _ZN9rocsparseL19gebsrmvn_2xn_kernelILj128ELj13ELj32EfEEvi20rocsparse_direction_NS_24const_host_device_scalarIT2_EEPKiS6_PKS3_S8_S4_PS3_21rocsparse_index_base_b
		.amdhsa_group_segment_fixed_size 0
		.amdhsa_private_segment_fixed_size 0
		.amdhsa_kernarg_size 72
		.amdhsa_user_sgpr_count 2
		.amdhsa_user_sgpr_dispatch_ptr 0
		.amdhsa_user_sgpr_queue_ptr 0
		.amdhsa_user_sgpr_kernarg_segment_ptr 1
		.amdhsa_user_sgpr_dispatch_id 0
		.amdhsa_user_sgpr_kernarg_preload_length 0
		.amdhsa_user_sgpr_kernarg_preload_offset 0
		.amdhsa_user_sgpr_private_segment_size 0
		.amdhsa_uses_dynamic_stack 0
		.amdhsa_enable_private_segment 0
		.amdhsa_system_sgpr_workgroup_id_x 1
		.amdhsa_system_sgpr_workgroup_id_y 0
		.amdhsa_system_sgpr_workgroup_id_z 0
		.amdhsa_system_sgpr_workgroup_info 0
		.amdhsa_system_vgpr_workitem_id 0
		.amdhsa_next_free_vgpr 94
		.amdhsa_next_free_sgpr 20
		.amdhsa_accum_offset 96
		.amdhsa_reserve_vcc 1
		.amdhsa_float_round_mode_32 0
		.amdhsa_float_round_mode_16_64 0
		.amdhsa_float_denorm_mode_32 3
		.amdhsa_float_denorm_mode_16_64 3
		.amdhsa_dx10_clamp 1
		.amdhsa_ieee_mode 1
		.amdhsa_fp16_overflow 0
		.amdhsa_tg_split 0
		.amdhsa_exception_fp_ieee_invalid_op 0
		.amdhsa_exception_fp_denorm_src 0
		.amdhsa_exception_fp_ieee_div_zero 0
		.amdhsa_exception_fp_ieee_overflow 0
		.amdhsa_exception_fp_ieee_underflow 0
		.amdhsa_exception_fp_ieee_inexact 0
		.amdhsa_exception_int_div_zero 0
	.end_amdhsa_kernel
	.section	.text._ZN9rocsparseL19gebsrmvn_2xn_kernelILj128ELj13ELj32EfEEvi20rocsparse_direction_NS_24const_host_device_scalarIT2_EEPKiS6_PKS3_S8_S4_PS3_21rocsparse_index_base_b,"axG",@progbits,_ZN9rocsparseL19gebsrmvn_2xn_kernelILj128ELj13ELj32EfEEvi20rocsparse_direction_NS_24const_host_device_scalarIT2_EEPKiS6_PKS3_S8_S4_PS3_21rocsparse_index_base_b,comdat
.Lfunc_end58:
	.size	_ZN9rocsparseL19gebsrmvn_2xn_kernelILj128ELj13ELj32EfEEvi20rocsparse_direction_NS_24const_host_device_scalarIT2_EEPKiS6_PKS3_S8_S4_PS3_21rocsparse_index_base_b, .Lfunc_end58-_ZN9rocsparseL19gebsrmvn_2xn_kernelILj128ELj13ELj32EfEEvi20rocsparse_direction_NS_24const_host_device_scalarIT2_EEPKiS6_PKS3_S8_S4_PS3_21rocsparse_index_base_b
                                        ; -- End function
	.section	.AMDGPU.csdata,"",@progbits
; Kernel info:
; codeLenInByte = 2328
; NumSgprs: 26
; NumVgprs: 94
; NumAgprs: 0
; TotalNumVgprs: 94
; ScratchSize: 0
; MemoryBound: 0
; FloatMode: 240
; IeeeMode: 1
; LDSByteSize: 0 bytes/workgroup (compile time only)
; SGPRBlocks: 3
; VGPRBlocks: 11
; NumSGPRsForWavesPerEU: 26
; NumVGPRsForWavesPerEU: 94
; AccumOffset: 96
; Occupancy: 5
; WaveLimiterHint : 1
; COMPUTE_PGM_RSRC2:SCRATCH_EN: 0
; COMPUTE_PGM_RSRC2:USER_SGPR: 2
; COMPUTE_PGM_RSRC2:TRAP_HANDLER: 0
; COMPUTE_PGM_RSRC2:TGID_X_EN: 1
; COMPUTE_PGM_RSRC2:TGID_Y_EN: 0
; COMPUTE_PGM_RSRC2:TGID_Z_EN: 0
; COMPUTE_PGM_RSRC2:TIDIG_COMP_CNT: 0
; COMPUTE_PGM_RSRC3_GFX90A:ACCUM_OFFSET: 23
; COMPUTE_PGM_RSRC3_GFX90A:TG_SPLIT: 0
	.section	.text._ZN9rocsparseL19gebsrmvn_2xn_kernelILj128ELj13ELj64EfEEvi20rocsparse_direction_NS_24const_host_device_scalarIT2_EEPKiS6_PKS3_S8_S4_PS3_21rocsparse_index_base_b,"axG",@progbits,_ZN9rocsparseL19gebsrmvn_2xn_kernelILj128ELj13ELj64EfEEvi20rocsparse_direction_NS_24const_host_device_scalarIT2_EEPKiS6_PKS3_S8_S4_PS3_21rocsparse_index_base_b,comdat
	.globl	_ZN9rocsparseL19gebsrmvn_2xn_kernelILj128ELj13ELj64EfEEvi20rocsparse_direction_NS_24const_host_device_scalarIT2_EEPKiS6_PKS3_S8_S4_PS3_21rocsparse_index_base_b ; -- Begin function _ZN9rocsparseL19gebsrmvn_2xn_kernelILj128ELj13ELj64EfEEvi20rocsparse_direction_NS_24const_host_device_scalarIT2_EEPKiS6_PKS3_S8_S4_PS3_21rocsparse_index_base_b
	.p2align	8
	.type	_ZN9rocsparseL19gebsrmvn_2xn_kernelILj128ELj13ELj64EfEEvi20rocsparse_direction_NS_24const_host_device_scalarIT2_EEPKiS6_PKS3_S8_S4_PS3_21rocsparse_index_base_b,@function
_ZN9rocsparseL19gebsrmvn_2xn_kernelILj128ELj13ELj64EfEEvi20rocsparse_direction_NS_24const_host_device_scalarIT2_EEPKiS6_PKS3_S8_S4_PS3_21rocsparse_index_base_b: ; @_ZN9rocsparseL19gebsrmvn_2xn_kernelILj128ELj13ELj64EfEEvi20rocsparse_direction_NS_24const_host_device_scalarIT2_EEPKiS6_PKS3_S8_S4_PS3_21rocsparse_index_base_b
; %bb.0:
	s_load_dwordx2 s[16:17], s[0:1], 0x40
	s_load_dwordx2 s[14:15], s[0:1], 0x8
	s_load_dwordx2 s[12:13], s[0:1], 0x30
	s_waitcnt lgkmcnt(0)
	s_bitcmp1_b32 s17, 0
	s_cselect_b64 s[6:7], -1, 0
	s_xor_b64 s[4:5], s[6:7], -1
	s_and_b64 vcc, exec, s[6:7]
	s_cbranch_vccnz .LBB59_2
; %bb.1:
	s_load_dword s14, s[14:15], 0x0
.LBB59_2:
	s_andn2_b64 vcc, exec, s[4:5]
	s_cbranch_vccnz .LBB59_4
; %bb.3:
	s_load_dword s12, s[12:13], 0x0
.LBB59_4:
	s_waitcnt lgkmcnt(0)
	v_cmp_eq_f32_e64 s[4:5], s14, 0
	v_cmp_eq_f32_e64 s[6:7], s12, 1.0
	s_and_b64 s[4:5], s[4:5], s[6:7]
	s_and_b64 vcc, exec, s[4:5]
	s_cbranch_vccnz .LBB59_22
; %bb.5:
	s_load_dwordx2 s[18:19], s[0:1], 0x0
	v_lshrrev_b32_e32 v1, 6, v0
	v_lshl_or_b32 v2, s2, 1, v1
	s_waitcnt lgkmcnt(0)
	v_cmp_gt_i32_e32 vcc, s18, v2
	s_and_saveexec_b64 s[2:3], vcc
	s_cbranch_execz .LBB59_22
; %bb.6:
	s_load_dwordx8 s[4:11], s[0:1], 0x10
	v_ashrrev_i32_e32 v3, 31, v2
	s_cmp_lg_u32 s19, 0
	s_waitcnt lgkmcnt(0)
	v_lshl_add_u64 v[4:5], v[2:3], 2, s[4:5]
	global_load_dwordx2 v[4:5], v[4:5], off
	v_and_b32_e32 v3, 63, v0
	s_waitcnt vmcnt(0)
	v_subrev_u32_e32 v0, s16, v4
	v_subrev_u32_e32 v16, s16, v5
	v_add_u32_e32 v0, v0, v3
	v_cmp_lt_i32_e64 s[2:3], v0, v16
	s_cbranch_scc0 .LBB59_12
; %bb.7:
	v_mov_b32_e32 v5, 0
	v_mov_b32_e32 v4, v5
	s_and_saveexec_b64 s[4:5], s[2:3]
	s_cbranch_execz .LBB59_11
; %bb.8:
	v_mad_u64_u32 v[6:7], s[18:19], v0, 26, 24
	v_mov_b32_e32 v9, 0
	s_mov_b64 s[18:19], 0
	v_mov_b32_e32 v10, v0
	v_mov_b32_e32 v4, v9
	;; [unrolled: 1-line block ×3, first 2 shown]
.LBB59_9:                               ; =>This Inner Loop Header: Depth=1
	v_ashrrev_i32_e32 v11, 31, v10
	v_subrev_u32_e32 v8, 24, v6
	v_lshl_add_u64 v[14:15], v[10:11], 2, s[6:7]
	v_lshl_add_u64 v[18:19], v[8:9], 2, s[8:9]
	global_load_dword v1, v[14:15], off
	global_load_dwordx2 v[22:23], v[18:19], off
	v_mov_b32_e32 v7, v9
	v_subrev_u32_e32 v8, 22, v6
	v_lshl_add_u64 v[20:21], v[6:7], 2, s[8:9]
	v_lshl_add_u64 v[14:15], v[8:9], 2, s[8:9]
	global_load_dwordx2 v[18:19], v[20:21], off
	global_load_dwordx2 v[24:25], v[14:15], off
	v_mov_b32_e32 v13, v9
	v_add_u32_e32 v10, 64, v10
	v_cmp_ge_i32_e32 vcc, v10, v16
	s_or_b64 s[18:19], vcc, s[18:19]
	s_waitcnt vmcnt(3)
	v_subrev_u32_e32 v1, s16, v1
	v_mul_lo_u32 v12, v1, 13
	v_add_u32_e32 v8, 1, v12
	v_lshl_add_u64 v[14:15], v[8:9], 2, s[10:11]
	v_subrev_u32_e32 v8, 20, v6
	v_lshl_add_u64 v[20:21], v[8:9], 2, s[8:9]
	v_add_u32_e32 v8, 2, v12
	v_lshl_add_u64 v[26:27], v[8:9], 2, s[10:11]
	v_subrev_u32_e32 v8, 18, v6
	v_lshl_add_u64 v[28:29], v[8:9], 2, s[8:9]
	v_add_u32_e32 v8, 3, v12
	v_lshl_add_u64 v[30:31], v[8:9], 2, s[10:11]
	v_add_u32_e32 v8, -16, v6
	v_lshl_add_u64 v[32:33], v[8:9], 2, s[8:9]
	v_add_u32_e32 v8, 4, v12
	v_lshl_add_u64 v[34:35], v[8:9], 2, s[10:11]
	v_add_u32_e32 v8, -14, v6
	;; [unrolled: 4-line block ×8, first 2 shown]
	v_lshl_add_u64 v[60:61], v[8:9], 2, s[8:9]
	v_add_u32_e32 v8, 11, v12
	v_lshl_add_u64 v[62:63], v[8:9], 2, s[10:11]
	v_add_u32_e32 v8, 12, v12
	v_lshl_add_u64 v[12:13], v[12:13], 2, s[10:11]
	global_load_dword v64, v[12:13], off
	global_load_dword v66, v[14:15], off
	global_load_dwordx2 v[68:69], v[20:21], off
	global_load_dword v70, v[26:27], off
	global_load_dwordx2 v[72:73], v[28:29], off
	;; [unrolled: 2-line block ×7, first 2 shown]
                                        ; kill: killed $vgpr12_vgpr13
                                        ; kill: killed $vgpr20_vgpr21
                                        ; kill: killed $vgpr30_vgpr31
                                        ; kill: killed $vgpr28_vgpr29
                                        ; kill: killed $vgpr14_vgpr15
                                        ; kill: killed $vgpr26_vgpr27
                                        ; kill: killed $vgpr48_vgpr49
                                        ; kill: killed $vgpr46_vgpr47
                                        ; kill: killed $vgpr44_vgpr45
                                        ; kill: killed $vgpr42_vgpr43
                                        ; kill: killed $vgpr40_vgpr41
                                        ; kill: killed $vgpr38_vgpr39
                                        ; kill: killed $vgpr36_vgpr37
                                        ; kill: killed $vgpr34_vgpr35
                                        ; kill: killed $vgpr32_vgpr33
	global_load_dword v12, v[50:51], off
	global_load_dwordx2 v[14:15], v[52:53], off
	global_load_dword v20, v[54:55], off
	global_load_dwordx2 v[26:27], v[56:57], off
	;; [unrolled: 2-line block ×3, first 2 shown]
	global_load_dword v32, v[62:63], off
	v_add_u32_e32 v6, 0x680, v6
	s_waitcnt vmcnt(21)
	v_pk_fma_f32 v[4:5], v[22:23], v[64:65], v[4:5] op_sel_hi:[1,0,1]
	v_lshl_add_u64 v[22:23], v[8:9], 2, s[10:11]
	global_load_dword v8, v[22:23], off
	s_waitcnt vmcnt(21)
	v_pk_fma_f32 v[4:5], v[24:25], v[66:67], v[4:5] op_sel_hi:[1,0,1]
	s_waitcnt vmcnt(19)
	v_pk_fma_f32 v[4:5], v[68:69], v[70:71], v[4:5] op_sel_hi:[1,0,1]
	;; [unrolled: 2-line block ×12, first 2 shown]
	s_andn2_b64 exec, exec, s[18:19]
	s_cbranch_execnz .LBB59_9
; %bb.10:
	s_or_b64 exec, exec, s[18:19]
.LBB59_11:
	s_or_b64 exec, exec, s[4:5]
	s_cbranch_execz .LBB59_13
	s_branch .LBB59_18
.LBB59_12:
                                        ; implicit-def: $vgpr5
.LBB59_13:
	v_mov_b32_e32 v5, 0
	v_mov_b32_e32 v4, v5
	s_and_saveexec_b64 s[4:5], s[2:3]
	s_cbranch_execz .LBB59_17
; %bb.14:
	v_mad_u64_u32 v[6:7], s[2:3], v0, 26, 25
	v_mov_b32_e32 v9, 0
	s_mov_b64 s[2:3], 0
	v_mov_b32_e32 v4, v9
	v_mov_b32_e32 v5, v9
.LBB59_15:                              ; =>This Inner Loop Header: Depth=1
	v_ashrrev_i32_e32 v1, 31, v0
	v_subrev_u32_e32 v8, 25, v6
	v_add_u32_e32 v10, -12, v6
	v_mov_b32_e32 v11, v9
	v_lshl_add_u64 v[18:19], v[0:1], 2, s[6:7]
	v_lshl_add_u64 v[20:21], v[8:9], 2, s[8:9]
	v_lshl_add_u64 v[22:23], v[10:11], 2, s[8:9]
	global_load_dword v1, v[18:19], off
	global_load_dwordx2 v[10:11], v[20:21], off
	global_load_dword v15, v[22:23], off
	v_mov_b32_e32 v13, v9
	v_mov_b32_e32 v7, v9
	v_add_u32_e32 v0, 64, v0
	v_cmp_ge_i32_e32 vcc, v0, v16
	s_or_b64 s[2:3], vcc, s[2:3]
	s_waitcnt vmcnt(2)
	v_subrev_u32_e32 v1, s16, v1
	v_mul_lo_u32 v12, v1, 13
	v_lshl_add_u64 v[18:19], v[12:13], 2, s[10:11]
	s_waitcnt vmcnt(1)
	v_mov_b32_e32 v14, v10
	global_load_dword v10, v[18:19], off
	v_add_u32_e32 v8, 1, v12
	v_lshl_add_u64 v[18:19], v[8:9], 2, s[10:11]
	v_add_u32_e32 v8, -11, v6
	v_lshl_add_u64 v[20:21], v[8:9], 2, s[8:9]
	v_subrev_u32_e32 v8, 23, v6
	v_lshl_add_u64 v[22:23], v[8:9], 2, s[8:9]
	v_add_u32_e32 v8, 2, v12
	v_lshl_add_u64 v[24:25], v[8:9], 2, s[10:11]
	v_add_u32_e32 v8, -10, v6
	v_lshl_add_u64 v[26:27], v[8:9], 2, s[8:9]
	v_subrev_u32_e32 v8, 22, v6
	v_lshl_add_u64 v[28:29], v[8:9], 2, s[8:9]
	v_add_u32_e32 v8, 3, v12
	global_load_dword v22, v[22:23], off
	s_nop 0
	global_load_dword v23, v[26:27], off
	global_load_dword v30, v[28:29], off
	v_lshl_add_u64 v[26:27], v[8:9], 2, s[10:11]
	v_add_u32_e32 v8, -9, v6
	v_lshl_add_u64 v[28:29], v[8:9], 2, s[8:9]
	v_subrev_u32_e32 v8, 21, v6
	v_lshl_add_u64 v[32:33], v[8:9], 2, s[8:9]
	v_add_u32_e32 v8, 4, v12
	global_load_dword v31, v[28:29], off
	global_load_dword v34, v[32:33], off
	v_lshl_add_u64 v[28:29], v[8:9], 2, s[10:11]
	v_add_u32_e32 v8, -8, v6
	v_lshl_add_u64 v[32:33], v[8:9], 2, s[8:9]
	v_subrev_u32_e32 v8, 20, v6
	v_lshl_add_u64 v[36:37], v[8:9], 2, s[8:9]
	v_add_u32_e32 v8, 5, v12
	;; [unrolled: 8-line block ×5, first 2 shown]
	global_load_dword v47, v[44:45], off
	global_load_dword v50, v[48:49], off
	v_lshl_add_u64 v[44:45], v[8:9], 2, s[10:11]
	v_add_u32_e32 v8, -4, v6
	v_lshl_add_u64 v[48:49], v[8:9], 2, s[8:9]
	v_add_u32_e32 v8, -16, v6
	v_lshl_add_u64 v[52:53], v[8:9], 2, s[8:9]
	v_add_u32_e32 v8, 9, v12
	global_load_dword v51, v[48:49], off
	global_load_dword v54, v[52:53], off
	v_lshl_add_u64 v[48:49], v[8:9], 2, s[10:11]
	v_add_u32_e32 v8, -3, v6
	v_lshl_add_u64 v[52:53], v[8:9], 2, s[8:9]
	v_add_u32_e32 v8, -15, v6
	v_lshl_add_u64 v[56:57], v[8:9], 2, s[8:9]
	v_add_u32_e32 v8, 10, v12
	global_load_dword v55, v[52:53], off
	global_load_dword v58, v[56:57], off
	v_lshl_add_u64 v[52:53], v[8:9], 2, s[10:11]
	v_add_u32_e32 v8, -2, v6
	v_lshl_add_u64 v[56:57], v[8:9], 2, s[8:9]
	v_add_u32_e32 v8, -14, v6
	global_load_dword v59, v[56:57], off
	v_lshl_add_u64 v[56:57], v[8:9], 2, s[8:9]
	v_add_u32_e32 v8, 11, v12
	v_mov_b32_e32 v64, v11
	s_waitcnt vmcnt(18)
	v_pk_fma_f32 v[4:5], v[14:15], v[10:11], v[4:5] op_sel_hi:[1,0,1]
	v_lshl_add_u64 v[14:15], v[8:9], 2, s[10:11]
	v_add_u32_e32 v8, -1, v6
	v_lshl_add_u64 v[60:61], v[8:9], 2, s[8:9]
	v_add_u32_e32 v8, -13, v6
	v_lshl_add_u64 v[62:63], v[8:9], 2, s[8:9]
	v_add_u32_e32 v8, 12, v12
	global_load_dword v12, v[56:57], off
	global_load_dword v13, v[60:61], off
	v_lshl_add_u64 v[56:57], v[6:7], 2, s[8:9]
	global_load_dword v61, v[56:57], off
	global_load_dword v10, v[18:19], off
	;; [unrolled: 1-line block ×14, first 2 shown]
	v_lshl_add_u64 v[14:15], v[8:9], 2, s[10:11]
	global_load_dword v8, v[14:15], off
	v_add_u32_e32 v6, 0x680, v6
	s_waitcnt vmcnt(12)
	v_pk_fma_f32 v[4:5], v[64:65], v[10:11], v[4:5] op_sel_hi:[1,0,1]
	s_waitcnt vmcnt(11)
	v_pk_fma_f32 v[4:5], v[22:23], v[66:67], v[4:5] op_sel_hi:[1,0,1]
	;; [unrolled: 2-line block ×12, first 2 shown]
	s_andn2_b64 exec, exec, s[2:3]
	s_cbranch_execnz .LBB59_15
; %bb.16:
	s_or_b64 exec, exec, s[2:3]
.LBB59_17:
	s_or_b64 exec, exec, s[4:5]
.LBB59_18:
	v_mov_b32_dpp v0, v4 row_shr:1 row_mask:0xf bank_mask:0xf
	v_mov_b32_dpp v1, v5 row_shr:1 row_mask:0xf bank_mask:0xf
	v_pk_add_f32 v[0:1], v[4:5], v[0:1]
	v_cmp_eq_u32_e32 vcc, 63, v3
	s_nop 0
	v_mov_b32_dpp v4, v0 row_shr:2 row_mask:0xf bank_mask:0xf
	v_mov_b32_dpp v5, v1 row_shr:2 row_mask:0xf bank_mask:0xf
	v_pk_add_f32 v[0:1], v[0:1], v[4:5]
	s_nop 1
	v_mov_b32_dpp v4, v0 row_shr:4 row_mask:0xf bank_mask:0xe
	v_mov_b32_dpp v5, v1 row_shr:4 row_mask:0xf bank_mask:0xe
	v_pk_add_f32 v[0:1], v[0:1], v[4:5]
	;; [unrolled: 4-line block ×3, first 2 shown]
	s_nop 1
	v_mov_b32_dpp v4, v0 row_bcast:15 row_mask:0xa bank_mask:0xf
	v_mov_b32_dpp v5, v1 row_bcast:15 row_mask:0xa bank_mask:0xf
	v_pk_add_f32 v[0:1], v[0:1], v[4:5]
	s_nop 1
	v_mov_b32_dpp v4, v0 row_bcast:31 row_mask:0xc bank_mask:0xf
	v_mov_b32_dpp v5, v1 row_bcast:31 row_mask:0xc bank_mask:0xf
	s_and_b64 exec, exec, vcc
	s_cbranch_execz .LBB59_22
; %bb.19:
	s_load_dwordx2 s[0:1], s[0:1], 0x38
	v_cmp_eq_f32_e64 s[2:3], s12, 0
	v_pk_add_f32 v[0:1], v[0:1], v[4:5]
	s_and_b64 vcc, exec, s[2:3]
	v_lshlrev_b32_e32 v2, 1, v2
	s_cbranch_vccz .LBB59_23
; %bb.20:
	v_ashrrev_i32_e32 v3, 31, v2
	s_waitcnt lgkmcnt(0)
	v_lshl_add_u64 v[4:5], v[2:3], 2, s[0:1]
	v_pk_mul_f32 v[6:7], s[14:15], v[0:1] op_sel_hi:[0,1]
	global_store_dwordx2 v[4:5], v[6:7], off
	s_cbranch_execnz .LBB59_22
.LBB59_21:
	v_ashrrev_i32_e32 v3, 31, v2
	s_waitcnt lgkmcnt(0)
	v_lshl_add_u64 v[2:3], v[2:3], 2, s[0:1]
	global_load_dwordx2 v[4:5], v[2:3], off
	v_pk_mul_f32 v[0:1], s[14:15], v[0:1] op_sel_hi:[0,1]
	s_waitcnt vmcnt(0)
	v_pk_fma_f32 v[0:1], s[12:13], v[4:5], v[0:1] op_sel_hi:[0,1,1]
	global_store_dwordx2 v[2:3], v[0:1], off
.LBB59_22:
	s_endpgm
.LBB59_23:
	s_branch .LBB59_21
	.section	.rodata,"a",@progbits
	.p2align	6, 0x0
	.amdhsa_kernel _ZN9rocsparseL19gebsrmvn_2xn_kernelILj128ELj13ELj64EfEEvi20rocsparse_direction_NS_24const_host_device_scalarIT2_EEPKiS6_PKS3_S8_S4_PS3_21rocsparse_index_base_b
		.amdhsa_group_segment_fixed_size 0
		.amdhsa_private_segment_fixed_size 0
		.amdhsa_kernarg_size 72
		.amdhsa_user_sgpr_count 2
		.amdhsa_user_sgpr_dispatch_ptr 0
		.amdhsa_user_sgpr_queue_ptr 0
		.amdhsa_user_sgpr_kernarg_segment_ptr 1
		.amdhsa_user_sgpr_dispatch_id 0
		.amdhsa_user_sgpr_kernarg_preload_length 0
		.amdhsa_user_sgpr_kernarg_preload_offset 0
		.amdhsa_user_sgpr_private_segment_size 0
		.amdhsa_uses_dynamic_stack 0
		.amdhsa_enable_private_segment 0
		.amdhsa_system_sgpr_workgroup_id_x 1
		.amdhsa_system_sgpr_workgroup_id_y 0
		.amdhsa_system_sgpr_workgroup_id_z 0
		.amdhsa_system_sgpr_workgroup_info 0
		.amdhsa_system_vgpr_workitem_id 0
		.amdhsa_next_free_vgpr 94
		.amdhsa_next_free_sgpr 20
		.amdhsa_accum_offset 96
		.amdhsa_reserve_vcc 1
		.amdhsa_float_round_mode_32 0
		.amdhsa_float_round_mode_16_64 0
		.amdhsa_float_denorm_mode_32 3
		.amdhsa_float_denorm_mode_16_64 3
		.amdhsa_dx10_clamp 1
		.amdhsa_ieee_mode 1
		.amdhsa_fp16_overflow 0
		.amdhsa_tg_split 0
		.amdhsa_exception_fp_ieee_invalid_op 0
		.amdhsa_exception_fp_denorm_src 0
		.amdhsa_exception_fp_ieee_div_zero 0
		.amdhsa_exception_fp_ieee_overflow 0
		.amdhsa_exception_fp_ieee_underflow 0
		.amdhsa_exception_fp_ieee_inexact 0
		.amdhsa_exception_int_div_zero 0
	.end_amdhsa_kernel
	.section	.text._ZN9rocsparseL19gebsrmvn_2xn_kernelILj128ELj13ELj64EfEEvi20rocsparse_direction_NS_24const_host_device_scalarIT2_EEPKiS6_PKS3_S8_S4_PS3_21rocsparse_index_base_b,"axG",@progbits,_ZN9rocsparseL19gebsrmvn_2xn_kernelILj128ELj13ELj64EfEEvi20rocsparse_direction_NS_24const_host_device_scalarIT2_EEPKiS6_PKS3_S8_S4_PS3_21rocsparse_index_base_b,comdat
.Lfunc_end59:
	.size	_ZN9rocsparseL19gebsrmvn_2xn_kernelILj128ELj13ELj64EfEEvi20rocsparse_direction_NS_24const_host_device_scalarIT2_EEPKiS6_PKS3_S8_S4_PS3_21rocsparse_index_base_b, .Lfunc_end59-_ZN9rocsparseL19gebsrmvn_2xn_kernelILj128ELj13ELj64EfEEvi20rocsparse_direction_NS_24const_host_device_scalarIT2_EEPKiS6_PKS3_S8_S4_PS3_21rocsparse_index_base_b
                                        ; -- End function
	.section	.AMDGPU.csdata,"",@progbits
; Kernel info:
; codeLenInByte = 2356
; NumSgprs: 26
; NumVgprs: 94
; NumAgprs: 0
; TotalNumVgprs: 94
; ScratchSize: 0
; MemoryBound: 0
; FloatMode: 240
; IeeeMode: 1
; LDSByteSize: 0 bytes/workgroup (compile time only)
; SGPRBlocks: 3
; VGPRBlocks: 11
; NumSGPRsForWavesPerEU: 26
; NumVGPRsForWavesPerEU: 94
; AccumOffset: 96
; Occupancy: 5
; WaveLimiterHint : 1
; COMPUTE_PGM_RSRC2:SCRATCH_EN: 0
; COMPUTE_PGM_RSRC2:USER_SGPR: 2
; COMPUTE_PGM_RSRC2:TRAP_HANDLER: 0
; COMPUTE_PGM_RSRC2:TGID_X_EN: 1
; COMPUTE_PGM_RSRC2:TGID_Y_EN: 0
; COMPUTE_PGM_RSRC2:TGID_Z_EN: 0
; COMPUTE_PGM_RSRC2:TIDIG_COMP_CNT: 0
; COMPUTE_PGM_RSRC3_GFX90A:ACCUM_OFFSET: 23
; COMPUTE_PGM_RSRC3_GFX90A:TG_SPLIT: 0
	.section	.text._ZN9rocsparseL19gebsrmvn_2xn_kernelILj128ELj14ELj4EfEEvi20rocsparse_direction_NS_24const_host_device_scalarIT2_EEPKiS6_PKS3_S8_S4_PS3_21rocsparse_index_base_b,"axG",@progbits,_ZN9rocsparseL19gebsrmvn_2xn_kernelILj128ELj14ELj4EfEEvi20rocsparse_direction_NS_24const_host_device_scalarIT2_EEPKiS6_PKS3_S8_S4_PS3_21rocsparse_index_base_b,comdat
	.globl	_ZN9rocsparseL19gebsrmvn_2xn_kernelILj128ELj14ELj4EfEEvi20rocsparse_direction_NS_24const_host_device_scalarIT2_EEPKiS6_PKS3_S8_S4_PS3_21rocsparse_index_base_b ; -- Begin function _ZN9rocsparseL19gebsrmvn_2xn_kernelILj128ELj14ELj4EfEEvi20rocsparse_direction_NS_24const_host_device_scalarIT2_EEPKiS6_PKS3_S8_S4_PS3_21rocsparse_index_base_b
	.p2align	8
	.type	_ZN9rocsparseL19gebsrmvn_2xn_kernelILj128ELj14ELj4EfEEvi20rocsparse_direction_NS_24const_host_device_scalarIT2_EEPKiS6_PKS3_S8_S4_PS3_21rocsparse_index_base_b,@function
_ZN9rocsparseL19gebsrmvn_2xn_kernelILj128ELj14ELj4EfEEvi20rocsparse_direction_NS_24const_host_device_scalarIT2_EEPKiS6_PKS3_S8_S4_PS3_21rocsparse_index_base_b: ; @_ZN9rocsparseL19gebsrmvn_2xn_kernelILj128ELj14ELj4EfEEvi20rocsparse_direction_NS_24const_host_device_scalarIT2_EEPKiS6_PKS3_S8_S4_PS3_21rocsparse_index_base_b
; %bb.0:
	s_load_dwordx2 s[16:17], s[0:1], 0x40
	s_load_dwordx2 s[14:15], s[0:1], 0x8
	;; [unrolled: 1-line block ×3, first 2 shown]
	s_waitcnt lgkmcnt(0)
	s_bitcmp1_b32 s17, 0
	s_cselect_b64 s[6:7], -1, 0
	s_xor_b64 s[4:5], s[6:7], -1
	s_and_b64 vcc, exec, s[6:7]
	s_cbranch_vccnz .LBB60_2
; %bb.1:
	s_load_dword s14, s[14:15], 0x0
.LBB60_2:
	s_andn2_b64 vcc, exec, s[4:5]
	s_cbranch_vccnz .LBB60_4
; %bb.3:
	s_load_dword s12, s[12:13], 0x0
.LBB60_4:
	s_waitcnt lgkmcnt(0)
	v_cmp_eq_f32_e64 s[4:5], s14, 0
	v_cmp_eq_f32_e64 s[6:7], s12, 1.0
	s_and_b64 s[4:5], s[4:5], s[6:7]
	s_and_b64 vcc, exec, s[4:5]
	s_cbranch_vccnz .LBB60_22
; %bb.5:
	s_load_dwordx2 s[18:19], s[0:1], 0x0
	v_lshrrev_b32_e32 v1, 2, v0
	v_lshl_or_b32 v2, s2, 5, v1
	s_waitcnt lgkmcnt(0)
	v_cmp_gt_i32_e32 vcc, s18, v2
	s_and_saveexec_b64 s[2:3], vcc
	s_cbranch_execz .LBB60_22
; %bb.6:
	s_load_dwordx8 s[4:11], s[0:1], 0x10
	v_ashrrev_i32_e32 v3, 31, v2
	s_cmp_lg_u32 s19, 0
	s_waitcnt lgkmcnt(0)
	v_lshl_add_u64 v[4:5], v[2:3], 2, s[4:5]
	global_load_dwordx2 v[4:5], v[4:5], off
	v_and_b32_e32 v3, 3, v0
	s_waitcnt vmcnt(0)
	v_subrev_u32_e32 v0, s16, v4
	v_subrev_u32_e32 v12, s16, v5
	v_add_u32_e32 v0, v0, v3
	v_cmp_lt_i32_e64 s[2:3], v0, v12
	s_cbranch_scc0 .LBB60_12
; %bb.7:
	v_mov_b32_e32 v5, 0
	v_mov_b32_e32 v4, v5
	s_and_saveexec_b64 s[4:5], s[2:3]
	s_cbranch_execz .LBB60_11
; %bb.8:
	v_mad_u64_u32 v[6:7], s[18:19], v0, 28, 26
	v_mov_b32_e32 v9, 0
	s_mov_b64 s[18:19], 0
	v_mov_b32_e32 v10, v0
	v_mov_b32_e32 v4, v9
	;; [unrolled: 1-line block ×3, first 2 shown]
.LBB60_9:                               ; =>This Inner Loop Header: Depth=1
	v_ashrrev_i32_e32 v11, 31, v10
	v_lshl_add_u64 v[14:15], v[10:11], 2, s[6:7]
	global_load_dword v1, v[14:15], off
	v_subrev_u32_e32 v8, 26, v6
	v_lshl_add_u64 v[14:15], v[8:9], 2, s[8:9]
	v_subrev_u32_e32 v8, 22, v6
	v_lshl_add_u64 v[22:23], v[8:9], 2, s[8:9]
	v_mov_b32_e32 v19, v9
	global_load_dwordx4 v[14:17], v[14:15], off
	v_mov_b32_e32 v7, v9
	global_load_dwordx2 v[22:23], v[22:23], off
	v_lshl_add_u64 v[20:21], v[6:7], 2, s[8:9]
	v_add_u32_e32 v10, 4, v10
	v_cmp_ge_i32_e32 vcc, v10, v12
	s_or_b64 s[18:19], vcc, s[18:19]
	s_waitcnt vmcnt(2)
	v_subrev_u32_e32 v1, s16, v1
	v_mul_lo_u32 v18, v1, 14
	v_add_u32_e32 v8, 2, v18
	v_lshl_add_u64 v[26:27], v[8:9], 2, s[10:11]
	v_subrev_u32_e32 v8, 20, v6
	v_lshl_add_u64 v[28:29], v[8:9], 2, s[8:9]
	v_subrev_u32_e32 v8, 18, v6
	v_lshl_add_u64 v[24:25], v[18:19], 2, s[10:11]
	v_lshl_add_u64 v[30:31], v[8:9], 2, s[8:9]
	v_add_u32_e32 v8, 4, v18
	global_load_dwordx2 v[24:25], v[24:25], off
	s_nop 0
	global_load_dwordx2 v[26:27], v[26:27], off
	s_nop 0
	global_load_dwordx2 v[32:33], v[28:29], off
	global_load_dwordx2 v[34:35], v[30:31], off
	v_lshl_add_u64 v[28:29], v[8:9], 2, s[10:11]
	v_add_u32_e32 v8, -16, v6
	v_lshl_add_u64 v[30:31], v[8:9], 2, s[8:9]
	v_add_u32_e32 v8, -14, v6
	v_lshl_add_u64 v[36:37], v[8:9], 2, s[8:9]
	v_add_u32_e32 v8, 6, v18
	global_load_dwordx2 v[28:29], v[28:29], off
	s_nop 0
	global_load_dwordx2 v[38:39], v[30:31], off
	global_load_dwordx2 v[40:41], v[36:37], off
	v_lshl_add_u64 v[30:31], v[8:9], 2, s[10:11]
	v_add_u32_e32 v8, -12, v6
	v_lshl_add_u64 v[36:37], v[8:9], 2, s[8:9]
	v_add_u32_e32 v8, -10, v6
	v_lshl_add_u64 v[42:43], v[8:9], 2, s[8:9]
	v_add_u32_e32 v8, 8, v18
	global_load_dwordx2 v[30:31], v[30:31], off
	s_nop 0
	global_load_dwordx2 v[44:45], v[36:37], off
	global_load_dwordx2 v[46:47], v[42:43], off
	v_lshl_add_u64 v[36:37], v[8:9], 2, s[10:11]
	v_add_u32_e32 v8, -8, v6
	v_lshl_add_u64 v[42:43], v[8:9], 2, s[8:9]
	v_add_u32_e32 v8, -6, v6
	global_load_dwordx2 v[36:37], v[36:37], off
	v_lshl_add_u64 v[48:49], v[8:9], 2, s[8:9]
	v_add_u32_e32 v8, 10, v18
	global_load_dwordx2 v[50:51], v[42:43], off
	global_load_dwordx2 v[52:53], v[48:49], off
	v_lshl_add_u64 v[42:43], v[8:9], 2, s[10:11]
	v_add_u32_e32 v8, -4, v6
	global_load_dwordx2 v[42:43], v[42:43], off
	v_lshl_add_u64 v[48:49], v[8:9], 2, s[8:9]
	v_add_u32_e32 v8, -2, v6
	v_lshl_add_u64 v[54:55], v[8:9], 2, s[8:9]
	v_add_u32_e32 v8, 12, v18
	global_load_dwordx2 v[18:19], v[48:49], off
	global_load_dwordx2 v[56:57], v[54:55], off
	v_lshl_add_u64 v[48:49], v[8:9], 2, s[10:11]
	global_load_dwordx2 v[54:55], v[48:49], off
	global_load_dwordx2 v[58:59], v[20:21], off
	v_add_u32_e32 v6, 0x70, v6
	s_waitcnt vmcnt(17)
	v_pk_fma_f32 v[4:5], v[14:15], v[24:25], v[4:5] op_sel_hi:[1,0,1]
	s_nop 0
	v_pk_fma_f32 v[4:5], v[16:17], v[24:25], v[4:5] op_sel:[0,1,0]
	s_waitcnt vmcnt(16)
	v_pk_fma_f32 v[4:5], v[22:23], v[26:27], v[4:5] op_sel_hi:[1,0,1]
	s_waitcnt vmcnt(15)
	v_pk_fma_f32 v[4:5], v[32:33], v[26:27], v[4:5] op_sel:[0,1,0]
	s_waitcnt vmcnt(13)
	v_pk_fma_f32 v[4:5], v[34:35], v[28:29], v[4:5] op_sel_hi:[1,0,1]
	s_waitcnt vmcnt(12)
	;; [unrolled: 4-line block ×6, first 2 shown]
	v_pk_fma_f32 v[4:5], v[58:59], v[54:55], v[4:5] op_sel:[0,1,0]
	s_andn2_b64 exec, exec, s[18:19]
	s_cbranch_execnz .LBB60_9
; %bb.10:
	s_or_b64 exec, exec, s[18:19]
.LBB60_11:
	s_or_b64 exec, exec, s[4:5]
	s_cbranch_execz .LBB60_13
	s_branch .LBB60_18
.LBB60_12:
                                        ; implicit-def: $vgpr5
.LBB60_13:
	v_mov_b32_e32 v5, 0
	v_mov_b32_e32 v4, v5
	s_and_saveexec_b64 s[4:5], s[2:3]
	s_cbranch_execz .LBB60_17
; %bb.14:
	v_mad_u64_u32 v[6:7], s[2:3], v0, 28, 27
	v_mov_b32_e32 v9, 0
	s_mov_b64 s[2:3], 0
	v_mov_b32_e32 v4, v9
	v_mov_b32_e32 v5, v9
.LBB60_15:                              ; =>This Inner Loop Header: Depth=1
	v_ashrrev_i32_e32 v1, 31, v0
	v_lshl_add_u64 v[10:11], v[0:1], 2, s[6:7]
	global_load_dword v1, v[10:11], off
	v_subrev_u32_e32 v8, 27, v6
	v_add_u32_e32 v14, -13, v6
	v_mov_b32_e32 v15, v9
	v_lshl_add_u64 v[16:17], v[8:9], 2, s[8:9]
	v_add_u32_e32 v8, -12, v6
	v_lshl_add_u64 v[18:19], v[14:15], 2, s[8:9]
	v_lshl_add_u64 v[22:23], v[8:9], 2, s[8:9]
	global_load_dwordx4 v[14:17], v[16:17], off
	s_nop 0
	global_load_dword v25, v[18:19], off
	global_load_dword v27, v[22:23], off
	v_mov_b32_e32 v11, v9
	v_mov_b32_e32 v7, v9
	v_lshl_add_u64 v[20:21], v[6:7], 2, s[8:9]
	v_add_u32_e32 v0, 4, v0
	v_cmp_ge_i32_e32 vcc, v0, v12
	s_or_b64 s[2:3], vcc, s[2:3]
	s_waitcnt vmcnt(3)
	v_subrev_u32_e32 v1, s16, v1
	v_mul_lo_u32 v10, v1, 14
	v_add_u32_e32 v8, 2, v10
	v_lshl_add_u64 v[22:23], v[8:9], 2, s[10:11]
	v_add_u32_e32 v8, -11, v6
	v_lshl_add_u64 v[28:29], v[8:9], 2, s[8:9]
	v_add_u32_e32 v8, -10, v6
	v_lshl_add_u64 v[30:31], v[8:9], 2, s[8:9]
	v_subrev_u32_e32 v8, 23, v6
	v_lshl_add_u64 v[18:19], v[10:11], 2, s[10:11]
	global_load_dword v11, v[28:29], off
	v_lshl_add_u64 v[28:29], v[8:9], 2, s[8:9]
	v_add_u32_e32 v8, 4, v10
	global_load_dwordx2 v[18:19], v[18:19], off
	s_waitcnt vmcnt(4)
	v_mov_b32_e32 v24, v14
	global_load_dwordx2 v[22:23], v[22:23], off
	s_nop 0
	global_load_dword v33, v[30:31], off
	global_load_dword v34, v[28:29], off
	v_lshl_add_u64 v[28:29], v[8:9], 2, s[10:11]
	v_add_u32_e32 v8, -9, v6
	v_lshl_add_u64 v[30:31], v[8:9], 2, s[8:9]
	v_subrev_u32_e32 v8, 22, v6
	v_lshl_add_u64 v[36:37], v[8:9], 2, s[8:9]
	v_add_u32_e32 v8, -8, v6
	global_load_dword v35, v[30:31], off
	v_mov_b32_e32 v26, v15
	global_load_dword v36, v[36:37], off
	v_lshl_add_u64 v[30:31], v[8:9], 2, s[8:9]
	v_subrev_u32_e32 v8, 21, v6
	v_lshl_add_u64 v[38:39], v[8:9], 2, s[8:9]
	v_add_u32_e32 v8, 6, v10
	global_load_dwordx2 v[28:29], v[28:29], off
	s_nop 0
	global_load_dword v37, v[30:31], off
	global_load_dword v40, v[38:39], off
	v_lshl_add_u64 v[30:31], v[8:9], 2, s[10:11]
	v_add_u32_e32 v8, -7, v6
	v_lshl_add_u64 v[38:39], v[8:9], 2, s[8:9]
	v_subrev_u32_e32 v8, 20, v6
	v_lshl_add_u64 v[42:43], v[8:9], 2, s[8:9]
	v_add_u32_e32 v8, -6, v6
	global_load_dword v41, v[38:39], off
	v_mov_b32_e32 v32, v17
	global_load_dword v42, v[42:43], off
	v_lshl_add_u64 v[38:39], v[8:9], 2, s[8:9]
	v_subrev_u32_e32 v8, 19, v6
	v_lshl_add_u64 v[44:45], v[8:9], 2, s[8:9]
	v_add_u32_e32 v8, 8, v10
	global_load_dwordx2 v[30:31], v[30:31], off
	s_nop 0
	global_load_dword v43, v[38:39], off
	global_load_dword v46, v[44:45], off
	v_lshl_add_u64 v[38:39], v[8:9], 2, s[10:11]
	v_add_u32_e32 v8, -5, v6
	v_lshl_add_u64 v[44:45], v[8:9], 2, s[8:9]
	v_subrev_u32_e32 v8, 18, v6
	v_lshl_add_u64 v[48:49], v[8:9], 2, s[8:9]
	v_add_u32_e32 v8, -4, v6
	global_load_dword v47, v[44:45], off
	s_waitcnt vmcnt(14)
	v_pk_fma_f32 v[4:5], v[24:25], v[18:19], v[4:5] op_sel_hi:[1,0,1]
	global_load_dword v48, v[48:49], off
	v_lshl_add_u64 v[44:45], v[8:9], 2, s[8:9]
	v_subrev_u32_e32 v8, 17, v6
	v_lshl_add_u64 v[50:51], v[8:9], 2, s[8:9]
	v_add_u32_e32 v8, 10, v10
	global_load_dwordx2 v[38:39], v[38:39], off
	s_nop 0
	global_load_dword v49, v[44:45], off
	global_load_dword v52, v[50:51], off
	v_lshl_add_u64 v[44:45], v[8:9], 2, s[10:11]
	v_add_u32_e32 v8, -3, v6
	v_lshl_add_u64 v[50:51], v[8:9], 2, s[8:9]
	v_add_u32_e32 v8, -16, v6
	;; [unrolled: 2-line block ×3, first 2 shown]
	global_load_dword v53, v[50:51], off
	v_pk_fma_f32 v[4:5], v[26:27], v[18:19], v[4:5] op_sel:[0,1,0]
	global_load_dword v54, v[54:55], off
	v_lshl_add_u64 v[50:51], v[8:9], 2, s[8:9]
	v_add_u32_e32 v8, -15, v6
	global_load_dwordx2 v[44:45], v[44:45], off
	v_lshl_add_u64 v[56:57], v[8:9], 2, s[8:9]
	v_add_u32_e32 v8, 12, v10
	global_load_dword v55, v[50:51], off
	global_load_dword v58, v[56:57], off
	v_lshl_add_u64 v[50:51], v[8:9], 2, s[10:11]
	v_add_u32_e32 v8, -1, v6
	global_load_dwordx2 v[50:51], v[50:51], off
	v_lshl_add_u64 v[56:57], v[8:9], 2, s[8:9]
	v_add_u32_e32 v8, -14, v6
	v_lshl_add_u64 v[60:61], v[8:9], 2, s[8:9]
	global_load_dword v59, v[56:57], off
	global_load_dword v62, v[60:61], off
	;; [unrolled: 1-line block ×3, first 2 shown]
	v_mov_b32_e32 v10, v16
	s_waitcnt vmcnt(26)
	v_pk_fma_f32 v[4:5], v[10:11], v[22:23], v[4:5] op_sel_hi:[1,0,1]
	v_add_u32_e32 v6, 0x70, v6
	s_waitcnt vmcnt(25)
	v_pk_fma_f32 v[4:5], v[32:33], v[22:23], v[4:5] op_sel:[0,1,0]
	s_waitcnt vmcnt(21)
	v_pk_fma_f32 v[4:5], v[34:35], v[28:29], v[4:5] op_sel_hi:[1,0,1]
	s_waitcnt vmcnt(20)
	v_pk_fma_f32 v[4:5], v[36:37], v[28:29], v[4:5] op_sel:[0,1,0]
	s_waitcnt vmcnt(16)
	v_pk_fma_f32 v[4:5], v[40:41], v[30:31], v[4:5] op_sel_hi:[1,0,1]
	;; [unrolled: 4-line block ×5, first 2 shown]
	s_waitcnt vmcnt(0)
	v_pk_fma_f32 v[4:5], v[62:63], v[50:51], v[4:5] op_sel:[0,1,0]
	s_andn2_b64 exec, exec, s[2:3]
	s_cbranch_execnz .LBB60_15
; %bb.16:
	s_or_b64 exec, exec, s[2:3]
.LBB60_17:
	s_or_b64 exec, exec, s[4:5]
.LBB60_18:
	v_mov_b32_dpp v0, v4 row_shr:1 row_mask:0xf bank_mask:0xf
	v_mov_b32_dpp v1, v5 row_shr:1 row_mask:0xf bank_mask:0xf
	v_pk_add_f32 v[0:1], v[4:5], v[0:1]
	v_cmp_eq_u32_e32 vcc, 3, v3
	s_nop 0
	v_mov_b32_dpp v4, v0 row_shr:2 row_mask:0xf bank_mask:0xf
	v_mov_b32_dpp v5, v1 row_shr:2 row_mask:0xf bank_mask:0xf
	s_and_b64 exec, exec, vcc
	s_cbranch_execz .LBB60_22
; %bb.19:
	s_load_dwordx2 s[0:1], s[0:1], 0x38
	v_cmp_eq_f32_e64 s[2:3], s12, 0
	v_pk_add_f32 v[0:1], v[0:1], v[4:5]
	s_and_b64 vcc, exec, s[2:3]
	v_lshlrev_b32_e32 v2, 1, v2
	s_cbranch_vccz .LBB60_23
; %bb.20:
	v_ashrrev_i32_e32 v3, 31, v2
	s_waitcnt lgkmcnt(0)
	v_lshl_add_u64 v[4:5], v[2:3], 2, s[0:1]
	v_pk_mul_f32 v[6:7], s[14:15], v[0:1] op_sel_hi:[0,1]
	global_store_dwordx2 v[4:5], v[6:7], off
	s_cbranch_execnz .LBB60_22
.LBB60_21:
	v_ashrrev_i32_e32 v3, 31, v2
	s_waitcnt lgkmcnt(0)
	v_lshl_add_u64 v[2:3], v[2:3], 2, s[0:1]
	global_load_dwordx2 v[4:5], v[2:3], off
	v_pk_mul_f32 v[0:1], s[14:15], v[0:1] op_sel_hi:[0,1]
	s_waitcnt vmcnt(0)
	v_pk_fma_f32 v[0:1], s[12:13], v[4:5], v[0:1] op_sel_hi:[0,1,1]
	global_store_dwordx2 v[2:3], v[0:1], off
.LBB60_22:
	s_endpgm
.LBB60_23:
	s_branch .LBB60_21
	.section	.rodata,"a",@progbits
	.p2align	6, 0x0
	.amdhsa_kernel _ZN9rocsparseL19gebsrmvn_2xn_kernelILj128ELj14ELj4EfEEvi20rocsparse_direction_NS_24const_host_device_scalarIT2_EEPKiS6_PKS3_S8_S4_PS3_21rocsparse_index_base_b
		.amdhsa_group_segment_fixed_size 0
		.amdhsa_private_segment_fixed_size 0
		.amdhsa_kernarg_size 72
		.amdhsa_user_sgpr_count 2
		.amdhsa_user_sgpr_dispatch_ptr 0
		.amdhsa_user_sgpr_queue_ptr 0
		.amdhsa_user_sgpr_kernarg_segment_ptr 1
		.amdhsa_user_sgpr_dispatch_id 0
		.amdhsa_user_sgpr_kernarg_preload_length 0
		.amdhsa_user_sgpr_kernarg_preload_offset 0
		.amdhsa_user_sgpr_private_segment_size 0
		.amdhsa_uses_dynamic_stack 0
		.amdhsa_enable_private_segment 0
		.amdhsa_system_sgpr_workgroup_id_x 1
		.amdhsa_system_sgpr_workgroup_id_y 0
		.amdhsa_system_sgpr_workgroup_id_z 0
		.amdhsa_system_sgpr_workgroup_info 0
		.amdhsa_system_vgpr_workitem_id 0
		.amdhsa_next_free_vgpr 64
		.amdhsa_next_free_sgpr 20
		.amdhsa_accum_offset 64
		.amdhsa_reserve_vcc 1
		.amdhsa_float_round_mode_32 0
		.amdhsa_float_round_mode_16_64 0
		.amdhsa_float_denorm_mode_32 3
		.amdhsa_float_denorm_mode_16_64 3
		.amdhsa_dx10_clamp 1
		.amdhsa_ieee_mode 1
		.amdhsa_fp16_overflow 0
		.amdhsa_tg_split 0
		.amdhsa_exception_fp_ieee_invalid_op 0
		.amdhsa_exception_fp_denorm_src 0
		.amdhsa_exception_fp_ieee_div_zero 0
		.amdhsa_exception_fp_ieee_overflow 0
		.amdhsa_exception_fp_ieee_underflow 0
		.amdhsa_exception_fp_ieee_inexact 0
		.amdhsa_exception_int_div_zero 0
	.end_amdhsa_kernel
	.section	.text._ZN9rocsparseL19gebsrmvn_2xn_kernelILj128ELj14ELj4EfEEvi20rocsparse_direction_NS_24const_host_device_scalarIT2_EEPKiS6_PKS3_S8_S4_PS3_21rocsparse_index_base_b,"axG",@progbits,_ZN9rocsparseL19gebsrmvn_2xn_kernelILj128ELj14ELj4EfEEvi20rocsparse_direction_NS_24const_host_device_scalarIT2_EEPKiS6_PKS3_S8_S4_PS3_21rocsparse_index_base_b,comdat
.Lfunc_end60:
	.size	_ZN9rocsparseL19gebsrmvn_2xn_kernelILj128ELj14ELj4EfEEvi20rocsparse_direction_NS_24const_host_device_scalarIT2_EEPKiS6_PKS3_S8_S4_PS3_21rocsparse_index_base_b, .Lfunc_end60-_ZN9rocsparseL19gebsrmvn_2xn_kernelILj128ELj14ELj4EfEEvi20rocsparse_direction_NS_24const_host_device_scalarIT2_EEPKiS6_PKS3_S8_S4_PS3_21rocsparse_index_base_b
                                        ; -- End function
	.section	.AMDGPU.csdata,"",@progbits
; Kernel info:
; codeLenInByte = 2064
; NumSgprs: 26
; NumVgprs: 64
; NumAgprs: 0
; TotalNumVgprs: 64
; ScratchSize: 0
; MemoryBound: 0
; FloatMode: 240
; IeeeMode: 1
; LDSByteSize: 0 bytes/workgroup (compile time only)
; SGPRBlocks: 3
; VGPRBlocks: 7
; NumSGPRsForWavesPerEU: 26
; NumVGPRsForWavesPerEU: 64
; AccumOffset: 64
; Occupancy: 8
; WaveLimiterHint : 1
; COMPUTE_PGM_RSRC2:SCRATCH_EN: 0
; COMPUTE_PGM_RSRC2:USER_SGPR: 2
; COMPUTE_PGM_RSRC2:TRAP_HANDLER: 0
; COMPUTE_PGM_RSRC2:TGID_X_EN: 1
; COMPUTE_PGM_RSRC2:TGID_Y_EN: 0
; COMPUTE_PGM_RSRC2:TGID_Z_EN: 0
; COMPUTE_PGM_RSRC2:TIDIG_COMP_CNT: 0
; COMPUTE_PGM_RSRC3_GFX90A:ACCUM_OFFSET: 15
; COMPUTE_PGM_RSRC3_GFX90A:TG_SPLIT: 0
	.section	.text._ZN9rocsparseL19gebsrmvn_2xn_kernelILj128ELj14ELj8EfEEvi20rocsparse_direction_NS_24const_host_device_scalarIT2_EEPKiS6_PKS3_S8_S4_PS3_21rocsparse_index_base_b,"axG",@progbits,_ZN9rocsparseL19gebsrmvn_2xn_kernelILj128ELj14ELj8EfEEvi20rocsparse_direction_NS_24const_host_device_scalarIT2_EEPKiS6_PKS3_S8_S4_PS3_21rocsparse_index_base_b,comdat
	.globl	_ZN9rocsparseL19gebsrmvn_2xn_kernelILj128ELj14ELj8EfEEvi20rocsparse_direction_NS_24const_host_device_scalarIT2_EEPKiS6_PKS3_S8_S4_PS3_21rocsparse_index_base_b ; -- Begin function _ZN9rocsparseL19gebsrmvn_2xn_kernelILj128ELj14ELj8EfEEvi20rocsparse_direction_NS_24const_host_device_scalarIT2_EEPKiS6_PKS3_S8_S4_PS3_21rocsparse_index_base_b
	.p2align	8
	.type	_ZN9rocsparseL19gebsrmvn_2xn_kernelILj128ELj14ELj8EfEEvi20rocsparse_direction_NS_24const_host_device_scalarIT2_EEPKiS6_PKS3_S8_S4_PS3_21rocsparse_index_base_b,@function
_ZN9rocsparseL19gebsrmvn_2xn_kernelILj128ELj14ELj8EfEEvi20rocsparse_direction_NS_24const_host_device_scalarIT2_EEPKiS6_PKS3_S8_S4_PS3_21rocsparse_index_base_b: ; @_ZN9rocsparseL19gebsrmvn_2xn_kernelILj128ELj14ELj8EfEEvi20rocsparse_direction_NS_24const_host_device_scalarIT2_EEPKiS6_PKS3_S8_S4_PS3_21rocsparse_index_base_b
; %bb.0:
	s_load_dwordx2 s[16:17], s[0:1], 0x40
	s_load_dwordx2 s[14:15], s[0:1], 0x8
	;; [unrolled: 1-line block ×3, first 2 shown]
	s_waitcnt lgkmcnt(0)
	s_bitcmp1_b32 s17, 0
	s_cselect_b64 s[6:7], -1, 0
	s_xor_b64 s[4:5], s[6:7], -1
	s_and_b64 vcc, exec, s[6:7]
	s_cbranch_vccnz .LBB61_2
; %bb.1:
	s_load_dword s14, s[14:15], 0x0
.LBB61_2:
	s_andn2_b64 vcc, exec, s[4:5]
	s_cbranch_vccnz .LBB61_4
; %bb.3:
	s_load_dword s12, s[12:13], 0x0
.LBB61_4:
	s_waitcnt lgkmcnt(0)
	v_cmp_eq_f32_e64 s[4:5], s14, 0
	v_cmp_eq_f32_e64 s[6:7], s12, 1.0
	s_and_b64 s[4:5], s[4:5], s[6:7]
	s_and_b64 vcc, exec, s[4:5]
	s_cbranch_vccnz .LBB61_22
; %bb.5:
	s_load_dwordx2 s[18:19], s[0:1], 0x0
	v_lshrrev_b32_e32 v1, 3, v0
	v_lshl_or_b32 v2, s2, 4, v1
	s_waitcnt lgkmcnt(0)
	v_cmp_gt_i32_e32 vcc, s18, v2
	s_and_saveexec_b64 s[2:3], vcc
	s_cbranch_execz .LBB61_22
; %bb.6:
	s_load_dwordx8 s[4:11], s[0:1], 0x10
	v_ashrrev_i32_e32 v3, 31, v2
	s_cmp_lg_u32 s19, 0
	s_waitcnt lgkmcnt(0)
	v_lshl_add_u64 v[4:5], v[2:3], 2, s[4:5]
	global_load_dwordx2 v[4:5], v[4:5], off
	v_and_b32_e32 v3, 7, v0
	s_waitcnt vmcnt(0)
	v_subrev_u32_e32 v0, s16, v4
	v_subrev_u32_e32 v12, s16, v5
	v_add_u32_e32 v0, v0, v3
	v_cmp_lt_i32_e64 s[2:3], v0, v12
	s_cbranch_scc0 .LBB61_12
; %bb.7:
	v_mov_b32_e32 v5, 0
	v_mov_b32_e32 v4, v5
	s_and_saveexec_b64 s[4:5], s[2:3]
	s_cbranch_execz .LBB61_11
; %bb.8:
	v_mad_u64_u32 v[6:7], s[18:19], v0, 28, 26
	v_mov_b32_e32 v9, 0
	s_mov_b64 s[18:19], 0
	v_mov_b32_e32 v10, v0
	v_mov_b32_e32 v4, v9
	;; [unrolled: 1-line block ×3, first 2 shown]
.LBB61_9:                               ; =>This Inner Loop Header: Depth=1
	v_ashrrev_i32_e32 v11, 31, v10
	v_lshl_add_u64 v[14:15], v[10:11], 2, s[6:7]
	global_load_dword v1, v[14:15], off
	v_subrev_u32_e32 v8, 26, v6
	v_lshl_add_u64 v[14:15], v[8:9], 2, s[8:9]
	v_subrev_u32_e32 v8, 22, v6
	v_lshl_add_u64 v[22:23], v[8:9], 2, s[8:9]
	v_mov_b32_e32 v19, v9
	global_load_dwordx4 v[14:17], v[14:15], off
	v_mov_b32_e32 v7, v9
	global_load_dwordx2 v[22:23], v[22:23], off
	v_lshl_add_u64 v[20:21], v[6:7], 2, s[8:9]
	v_add_u32_e32 v10, 8, v10
	v_cmp_ge_i32_e32 vcc, v10, v12
	s_or_b64 s[18:19], vcc, s[18:19]
	s_waitcnt vmcnt(2)
	v_subrev_u32_e32 v1, s16, v1
	v_mul_lo_u32 v18, v1, 14
	v_add_u32_e32 v8, 2, v18
	v_lshl_add_u64 v[26:27], v[8:9], 2, s[10:11]
	v_subrev_u32_e32 v8, 20, v6
	v_lshl_add_u64 v[28:29], v[8:9], 2, s[8:9]
	v_subrev_u32_e32 v8, 18, v6
	v_lshl_add_u64 v[24:25], v[18:19], 2, s[10:11]
	v_lshl_add_u64 v[30:31], v[8:9], 2, s[8:9]
	v_add_u32_e32 v8, 4, v18
	global_load_dwordx2 v[24:25], v[24:25], off
	s_nop 0
	global_load_dwordx2 v[26:27], v[26:27], off
	s_nop 0
	global_load_dwordx2 v[32:33], v[28:29], off
	global_load_dwordx2 v[34:35], v[30:31], off
	v_lshl_add_u64 v[28:29], v[8:9], 2, s[10:11]
	v_add_u32_e32 v8, -16, v6
	v_lshl_add_u64 v[30:31], v[8:9], 2, s[8:9]
	v_add_u32_e32 v8, -14, v6
	v_lshl_add_u64 v[36:37], v[8:9], 2, s[8:9]
	v_add_u32_e32 v8, 6, v18
	global_load_dwordx2 v[28:29], v[28:29], off
	s_nop 0
	global_load_dwordx2 v[38:39], v[30:31], off
	global_load_dwordx2 v[40:41], v[36:37], off
	v_lshl_add_u64 v[30:31], v[8:9], 2, s[10:11]
	v_add_u32_e32 v8, -12, v6
	v_lshl_add_u64 v[36:37], v[8:9], 2, s[8:9]
	v_add_u32_e32 v8, -10, v6
	v_lshl_add_u64 v[42:43], v[8:9], 2, s[8:9]
	v_add_u32_e32 v8, 8, v18
	global_load_dwordx2 v[30:31], v[30:31], off
	s_nop 0
	global_load_dwordx2 v[44:45], v[36:37], off
	global_load_dwordx2 v[46:47], v[42:43], off
	v_lshl_add_u64 v[36:37], v[8:9], 2, s[10:11]
	v_add_u32_e32 v8, -8, v6
	v_lshl_add_u64 v[42:43], v[8:9], 2, s[8:9]
	v_add_u32_e32 v8, -6, v6
	global_load_dwordx2 v[36:37], v[36:37], off
	v_lshl_add_u64 v[48:49], v[8:9], 2, s[8:9]
	v_add_u32_e32 v8, 10, v18
	global_load_dwordx2 v[50:51], v[42:43], off
	global_load_dwordx2 v[52:53], v[48:49], off
	v_lshl_add_u64 v[42:43], v[8:9], 2, s[10:11]
	v_add_u32_e32 v8, -4, v6
	global_load_dwordx2 v[42:43], v[42:43], off
	v_lshl_add_u64 v[48:49], v[8:9], 2, s[8:9]
	v_add_u32_e32 v8, -2, v6
	v_lshl_add_u64 v[54:55], v[8:9], 2, s[8:9]
	v_add_u32_e32 v8, 12, v18
	global_load_dwordx2 v[18:19], v[48:49], off
	global_load_dwordx2 v[56:57], v[54:55], off
	v_lshl_add_u64 v[48:49], v[8:9], 2, s[10:11]
	global_load_dwordx2 v[54:55], v[48:49], off
	global_load_dwordx2 v[58:59], v[20:21], off
	v_add_u32_e32 v6, 0xe0, v6
	s_waitcnt vmcnt(17)
	v_pk_fma_f32 v[4:5], v[14:15], v[24:25], v[4:5] op_sel_hi:[1,0,1]
	s_nop 0
	v_pk_fma_f32 v[4:5], v[16:17], v[24:25], v[4:5] op_sel:[0,1,0]
	s_waitcnt vmcnt(16)
	v_pk_fma_f32 v[4:5], v[22:23], v[26:27], v[4:5] op_sel_hi:[1,0,1]
	s_waitcnt vmcnt(15)
	v_pk_fma_f32 v[4:5], v[32:33], v[26:27], v[4:5] op_sel:[0,1,0]
	s_waitcnt vmcnt(13)
	v_pk_fma_f32 v[4:5], v[34:35], v[28:29], v[4:5] op_sel_hi:[1,0,1]
	s_waitcnt vmcnt(12)
	;; [unrolled: 4-line block ×6, first 2 shown]
	v_pk_fma_f32 v[4:5], v[58:59], v[54:55], v[4:5] op_sel:[0,1,0]
	s_andn2_b64 exec, exec, s[18:19]
	s_cbranch_execnz .LBB61_9
; %bb.10:
	s_or_b64 exec, exec, s[18:19]
.LBB61_11:
	s_or_b64 exec, exec, s[4:5]
	s_cbranch_execz .LBB61_13
	s_branch .LBB61_18
.LBB61_12:
                                        ; implicit-def: $vgpr5
.LBB61_13:
	v_mov_b32_e32 v5, 0
	v_mov_b32_e32 v4, v5
	s_and_saveexec_b64 s[4:5], s[2:3]
	s_cbranch_execz .LBB61_17
; %bb.14:
	v_mad_u64_u32 v[6:7], s[2:3], v0, 28, 27
	v_mov_b32_e32 v9, 0
	s_mov_b64 s[2:3], 0
	v_mov_b32_e32 v4, v9
	v_mov_b32_e32 v5, v9
.LBB61_15:                              ; =>This Inner Loop Header: Depth=1
	v_ashrrev_i32_e32 v1, 31, v0
	v_lshl_add_u64 v[10:11], v[0:1], 2, s[6:7]
	global_load_dword v1, v[10:11], off
	v_subrev_u32_e32 v8, 27, v6
	v_add_u32_e32 v14, -13, v6
	v_mov_b32_e32 v15, v9
	v_lshl_add_u64 v[16:17], v[8:9], 2, s[8:9]
	v_add_u32_e32 v8, -12, v6
	v_lshl_add_u64 v[18:19], v[14:15], 2, s[8:9]
	v_lshl_add_u64 v[22:23], v[8:9], 2, s[8:9]
	global_load_dwordx4 v[14:17], v[16:17], off
	s_nop 0
	global_load_dword v25, v[18:19], off
	global_load_dword v27, v[22:23], off
	v_mov_b32_e32 v11, v9
	v_mov_b32_e32 v7, v9
	v_lshl_add_u64 v[20:21], v[6:7], 2, s[8:9]
	v_add_u32_e32 v0, 8, v0
	v_cmp_ge_i32_e32 vcc, v0, v12
	s_or_b64 s[2:3], vcc, s[2:3]
	s_waitcnt vmcnt(3)
	v_subrev_u32_e32 v1, s16, v1
	v_mul_lo_u32 v10, v1, 14
	v_add_u32_e32 v8, 2, v10
	v_lshl_add_u64 v[22:23], v[8:9], 2, s[10:11]
	v_add_u32_e32 v8, -11, v6
	v_lshl_add_u64 v[28:29], v[8:9], 2, s[8:9]
	v_add_u32_e32 v8, -10, v6
	v_lshl_add_u64 v[30:31], v[8:9], 2, s[8:9]
	v_subrev_u32_e32 v8, 23, v6
	v_lshl_add_u64 v[18:19], v[10:11], 2, s[10:11]
	global_load_dword v11, v[28:29], off
	v_lshl_add_u64 v[28:29], v[8:9], 2, s[8:9]
	v_add_u32_e32 v8, 4, v10
	global_load_dwordx2 v[18:19], v[18:19], off
	s_waitcnt vmcnt(4)
	v_mov_b32_e32 v24, v14
	global_load_dwordx2 v[22:23], v[22:23], off
	s_nop 0
	global_load_dword v33, v[30:31], off
	global_load_dword v34, v[28:29], off
	v_lshl_add_u64 v[28:29], v[8:9], 2, s[10:11]
	v_add_u32_e32 v8, -9, v6
	v_lshl_add_u64 v[30:31], v[8:9], 2, s[8:9]
	v_subrev_u32_e32 v8, 22, v6
	v_lshl_add_u64 v[36:37], v[8:9], 2, s[8:9]
	v_add_u32_e32 v8, -8, v6
	global_load_dword v35, v[30:31], off
	v_mov_b32_e32 v26, v15
	global_load_dword v36, v[36:37], off
	v_lshl_add_u64 v[30:31], v[8:9], 2, s[8:9]
	v_subrev_u32_e32 v8, 21, v6
	v_lshl_add_u64 v[38:39], v[8:9], 2, s[8:9]
	v_add_u32_e32 v8, 6, v10
	global_load_dwordx2 v[28:29], v[28:29], off
	s_nop 0
	global_load_dword v37, v[30:31], off
	global_load_dword v40, v[38:39], off
	v_lshl_add_u64 v[30:31], v[8:9], 2, s[10:11]
	v_add_u32_e32 v8, -7, v6
	v_lshl_add_u64 v[38:39], v[8:9], 2, s[8:9]
	v_subrev_u32_e32 v8, 20, v6
	v_lshl_add_u64 v[42:43], v[8:9], 2, s[8:9]
	v_add_u32_e32 v8, -6, v6
	global_load_dword v41, v[38:39], off
	v_mov_b32_e32 v32, v17
	global_load_dword v42, v[42:43], off
	v_lshl_add_u64 v[38:39], v[8:9], 2, s[8:9]
	v_subrev_u32_e32 v8, 19, v6
	v_lshl_add_u64 v[44:45], v[8:9], 2, s[8:9]
	v_add_u32_e32 v8, 8, v10
	global_load_dwordx2 v[30:31], v[30:31], off
	s_nop 0
	global_load_dword v43, v[38:39], off
	global_load_dword v46, v[44:45], off
	v_lshl_add_u64 v[38:39], v[8:9], 2, s[10:11]
	v_add_u32_e32 v8, -5, v6
	v_lshl_add_u64 v[44:45], v[8:9], 2, s[8:9]
	v_subrev_u32_e32 v8, 18, v6
	v_lshl_add_u64 v[48:49], v[8:9], 2, s[8:9]
	v_add_u32_e32 v8, -4, v6
	global_load_dword v47, v[44:45], off
	s_waitcnt vmcnt(14)
	v_pk_fma_f32 v[4:5], v[24:25], v[18:19], v[4:5] op_sel_hi:[1,0,1]
	global_load_dword v48, v[48:49], off
	v_lshl_add_u64 v[44:45], v[8:9], 2, s[8:9]
	v_subrev_u32_e32 v8, 17, v6
	v_lshl_add_u64 v[50:51], v[8:9], 2, s[8:9]
	v_add_u32_e32 v8, 10, v10
	global_load_dwordx2 v[38:39], v[38:39], off
	s_nop 0
	global_load_dword v49, v[44:45], off
	global_load_dword v52, v[50:51], off
	v_lshl_add_u64 v[44:45], v[8:9], 2, s[10:11]
	v_add_u32_e32 v8, -3, v6
	v_lshl_add_u64 v[50:51], v[8:9], 2, s[8:9]
	v_add_u32_e32 v8, -16, v6
	;; [unrolled: 2-line block ×3, first 2 shown]
	global_load_dword v53, v[50:51], off
	v_pk_fma_f32 v[4:5], v[26:27], v[18:19], v[4:5] op_sel:[0,1,0]
	global_load_dword v54, v[54:55], off
	v_lshl_add_u64 v[50:51], v[8:9], 2, s[8:9]
	v_add_u32_e32 v8, -15, v6
	global_load_dwordx2 v[44:45], v[44:45], off
	v_lshl_add_u64 v[56:57], v[8:9], 2, s[8:9]
	v_add_u32_e32 v8, 12, v10
	global_load_dword v55, v[50:51], off
	global_load_dword v58, v[56:57], off
	v_lshl_add_u64 v[50:51], v[8:9], 2, s[10:11]
	v_add_u32_e32 v8, -1, v6
	global_load_dwordx2 v[50:51], v[50:51], off
	v_lshl_add_u64 v[56:57], v[8:9], 2, s[8:9]
	v_add_u32_e32 v8, -14, v6
	v_lshl_add_u64 v[60:61], v[8:9], 2, s[8:9]
	global_load_dword v59, v[56:57], off
	global_load_dword v62, v[60:61], off
	;; [unrolled: 1-line block ×3, first 2 shown]
	v_mov_b32_e32 v10, v16
	s_waitcnt vmcnt(26)
	v_pk_fma_f32 v[4:5], v[10:11], v[22:23], v[4:5] op_sel_hi:[1,0,1]
	v_add_u32_e32 v6, 0xe0, v6
	s_waitcnt vmcnt(25)
	v_pk_fma_f32 v[4:5], v[32:33], v[22:23], v[4:5] op_sel:[0,1,0]
	s_waitcnt vmcnt(21)
	v_pk_fma_f32 v[4:5], v[34:35], v[28:29], v[4:5] op_sel_hi:[1,0,1]
	s_waitcnt vmcnt(20)
	v_pk_fma_f32 v[4:5], v[36:37], v[28:29], v[4:5] op_sel:[0,1,0]
	s_waitcnt vmcnt(16)
	v_pk_fma_f32 v[4:5], v[40:41], v[30:31], v[4:5] op_sel_hi:[1,0,1]
	;; [unrolled: 4-line block ×5, first 2 shown]
	s_waitcnt vmcnt(0)
	v_pk_fma_f32 v[4:5], v[62:63], v[50:51], v[4:5] op_sel:[0,1,0]
	s_andn2_b64 exec, exec, s[2:3]
	s_cbranch_execnz .LBB61_15
; %bb.16:
	s_or_b64 exec, exec, s[2:3]
.LBB61_17:
	s_or_b64 exec, exec, s[4:5]
.LBB61_18:
	v_mov_b32_dpp v0, v4 row_shr:1 row_mask:0xf bank_mask:0xf
	v_mov_b32_dpp v1, v5 row_shr:1 row_mask:0xf bank_mask:0xf
	v_pk_add_f32 v[0:1], v[4:5], v[0:1]
	v_cmp_eq_u32_e32 vcc, 7, v3
	s_nop 0
	v_mov_b32_dpp v4, v0 row_shr:2 row_mask:0xf bank_mask:0xf
	v_mov_b32_dpp v5, v1 row_shr:2 row_mask:0xf bank_mask:0xf
	v_pk_add_f32 v[0:1], v[0:1], v[4:5]
	s_nop 1
	v_mov_b32_dpp v4, v0 row_shr:4 row_mask:0xf bank_mask:0xe
	v_mov_b32_dpp v5, v1 row_shr:4 row_mask:0xf bank_mask:0xe
	s_and_b64 exec, exec, vcc
	s_cbranch_execz .LBB61_22
; %bb.19:
	s_load_dwordx2 s[0:1], s[0:1], 0x38
	v_cmp_eq_f32_e64 s[2:3], s12, 0
	v_pk_add_f32 v[0:1], v[0:1], v[4:5]
	s_and_b64 vcc, exec, s[2:3]
	v_lshlrev_b32_e32 v2, 1, v2
	s_cbranch_vccz .LBB61_23
; %bb.20:
	v_ashrrev_i32_e32 v3, 31, v2
	s_waitcnt lgkmcnt(0)
	v_lshl_add_u64 v[4:5], v[2:3], 2, s[0:1]
	v_pk_mul_f32 v[6:7], s[14:15], v[0:1] op_sel_hi:[0,1]
	global_store_dwordx2 v[4:5], v[6:7], off
	s_cbranch_execnz .LBB61_22
.LBB61_21:
	v_ashrrev_i32_e32 v3, 31, v2
	s_waitcnt lgkmcnt(0)
	v_lshl_add_u64 v[2:3], v[2:3], 2, s[0:1]
	global_load_dwordx2 v[4:5], v[2:3], off
	v_pk_mul_f32 v[0:1], s[14:15], v[0:1] op_sel_hi:[0,1]
	s_waitcnt vmcnt(0)
	v_pk_fma_f32 v[0:1], s[12:13], v[4:5], v[0:1] op_sel_hi:[0,1,1]
	global_store_dwordx2 v[2:3], v[0:1], off
.LBB61_22:
	s_endpgm
.LBB61_23:
	s_branch .LBB61_21
	.section	.rodata,"a",@progbits
	.p2align	6, 0x0
	.amdhsa_kernel _ZN9rocsparseL19gebsrmvn_2xn_kernelILj128ELj14ELj8EfEEvi20rocsparse_direction_NS_24const_host_device_scalarIT2_EEPKiS6_PKS3_S8_S4_PS3_21rocsparse_index_base_b
		.amdhsa_group_segment_fixed_size 0
		.amdhsa_private_segment_fixed_size 0
		.amdhsa_kernarg_size 72
		.amdhsa_user_sgpr_count 2
		.amdhsa_user_sgpr_dispatch_ptr 0
		.amdhsa_user_sgpr_queue_ptr 0
		.amdhsa_user_sgpr_kernarg_segment_ptr 1
		.amdhsa_user_sgpr_dispatch_id 0
		.amdhsa_user_sgpr_kernarg_preload_length 0
		.amdhsa_user_sgpr_kernarg_preload_offset 0
		.amdhsa_user_sgpr_private_segment_size 0
		.amdhsa_uses_dynamic_stack 0
		.amdhsa_enable_private_segment 0
		.amdhsa_system_sgpr_workgroup_id_x 1
		.amdhsa_system_sgpr_workgroup_id_y 0
		.amdhsa_system_sgpr_workgroup_id_z 0
		.amdhsa_system_sgpr_workgroup_info 0
		.amdhsa_system_vgpr_workitem_id 0
		.amdhsa_next_free_vgpr 64
		.amdhsa_next_free_sgpr 20
		.amdhsa_accum_offset 64
		.amdhsa_reserve_vcc 1
		.amdhsa_float_round_mode_32 0
		.amdhsa_float_round_mode_16_64 0
		.amdhsa_float_denorm_mode_32 3
		.amdhsa_float_denorm_mode_16_64 3
		.amdhsa_dx10_clamp 1
		.amdhsa_ieee_mode 1
		.amdhsa_fp16_overflow 0
		.amdhsa_tg_split 0
		.amdhsa_exception_fp_ieee_invalid_op 0
		.amdhsa_exception_fp_denorm_src 0
		.amdhsa_exception_fp_ieee_div_zero 0
		.amdhsa_exception_fp_ieee_overflow 0
		.amdhsa_exception_fp_ieee_underflow 0
		.amdhsa_exception_fp_ieee_inexact 0
		.amdhsa_exception_int_div_zero 0
	.end_amdhsa_kernel
	.section	.text._ZN9rocsparseL19gebsrmvn_2xn_kernelILj128ELj14ELj8EfEEvi20rocsparse_direction_NS_24const_host_device_scalarIT2_EEPKiS6_PKS3_S8_S4_PS3_21rocsparse_index_base_b,"axG",@progbits,_ZN9rocsparseL19gebsrmvn_2xn_kernelILj128ELj14ELj8EfEEvi20rocsparse_direction_NS_24const_host_device_scalarIT2_EEPKiS6_PKS3_S8_S4_PS3_21rocsparse_index_base_b,comdat
.Lfunc_end61:
	.size	_ZN9rocsparseL19gebsrmvn_2xn_kernelILj128ELj14ELj8EfEEvi20rocsparse_direction_NS_24const_host_device_scalarIT2_EEPKiS6_PKS3_S8_S4_PS3_21rocsparse_index_base_b, .Lfunc_end61-_ZN9rocsparseL19gebsrmvn_2xn_kernelILj128ELj14ELj8EfEEvi20rocsparse_direction_NS_24const_host_device_scalarIT2_EEPKiS6_PKS3_S8_S4_PS3_21rocsparse_index_base_b
                                        ; -- End function
	.section	.AMDGPU.csdata,"",@progbits
; Kernel info:
; codeLenInByte = 2092
; NumSgprs: 26
; NumVgprs: 64
; NumAgprs: 0
; TotalNumVgprs: 64
; ScratchSize: 0
; MemoryBound: 0
; FloatMode: 240
; IeeeMode: 1
; LDSByteSize: 0 bytes/workgroup (compile time only)
; SGPRBlocks: 3
; VGPRBlocks: 7
; NumSGPRsForWavesPerEU: 26
; NumVGPRsForWavesPerEU: 64
; AccumOffset: 64
; Occupancy: 8
; WaveLimiterHint : 1
; COMPUTE_PGM_RSRC2:SCRATCH_EN: 0
; COMPUTE_PGM_RSRC2:USER_SGPR: 2
; COMPUTE_PGM_RSRC2:TRAP_HANDLER: 0
; COMPUTE_PGM_RSRC2:TGID_X_EN: 1
; COMPUTE_PGM_RSRC2:TGID_Y_EN: 0
; COMPUTE_PGM_RSRC2:TGID_Z_EN: 0
; COMPUTE_PGM_RSRC2:TIDIG_COMP_CNT: 0
; COMPUTE_PGM_RSRC3_GFX90A:ACCUM_OFFSET: 15
; COMPUTE_PGM_RSRC3_GFX90A:TG_SPLIT: 0
	.section	.text._ZN9rocsparseL19gebsrmvn_2xn_kernelILj128ELj14ELj16EfEEvi20rocsparse_direction_NS_24const_host_device_scalarIT2_EEPKiS6_PKS3_S8_S4_PS3_21rocsparse_index_base_b,"axG",@progbits,_ZN9rocsparseL19gebsrmvn_2xn_kernelILj128ELj14ELj16EfEEvi20rocsparse_direction_NS_24const_host_device_scalarIT2_EEPKiS6_PKS3_S8_S4_PS3_21rocsparse_index_base_b,comdat
	.globl	_ZN9rocsparseL19gebsrmvn_2xn_kernelILj128ELj14ELj16EfEEvi20rocsparse_direction_NS_24const_host_device_scalarIT2_EEPKiS6_PKS3_S8_S4_PS3_21rocsparse_index_base_b ; -- Begin function _ZN9rocsparseL19gebsrmvn_2xn_kernelILj128ELj14ELj16EfEEvi20rocsparse_direction_NS_24const_host_device_scalarIT2_EEPKiS6_PKS3_S8_S4_PS3_21rocsparse_index_base_b
	.p2align	8
	.type	_ZN9rocsparseL19gebsrmvn_2xn_kernelILj128ELj14ELj16EfEEvi20rocsparse_direction_NS_24const_host_device_scalarIT2_EEPKiS6_PKS3_S8_S4_PS3_21rocsparse_index_base_b,@function
_ZN9rocsparseL19gebsrmvn_2xn_kernelILj128ELj14ELj16EfEEvi20rocsparse_direction_NS_24const_host_device_scalarIT2_EEPKiS6_PKS3_S8_S4_PS3_21rocsparse_index_base_b: ; @_ZN9rocsparseL19gebsrmvn_2xn_kernelILj128ELj14ELj16EfEEvi20rocsparse_direction_NS_24const_host_device_scalarIT2_EEPKiS6_PKS3_S8_S4_PS3_21rocsparse_index_base_b
; %bb.0:
	s_load_dwordx2 s[16:17], s[0:1], 0x40
	s_load_dwordx2 s[14:15], s[0:1], 0x8
	s_load_dwordx2 s[12:13], s[0:1], 0x30
	s_waitcnt lgkmcnt(0)
	s_bitcmp1_b32 s17, 0
	s_cselect_b64 s[6:7], -1, 0
	s_xor_b64 s[4:5], s[6:7], -1
	s_and_b64 vcc, exec, s[6:7]
	s_cbranch_vccnz .LBB62_2
; %bb.1:
	s_load_dword s14, s[14:15], 0x0
.LBB62_2:
	s_andn2_b64 vcc, exec, s[4:5]
	s_cbranch_vccnz .LBB62_4
; %bb.3:
	s_load_dword s12, s[12:13], 0x0
.LBB62_4:
	s_waitcnt lgkmcnt(0)
	v_cmp_eq_f32_e64 s[4:5], s14, 0
	v_cmp_eq_f32_e64 s[6:7], s12, 1.0
	s_and_b64 s[4:5], s[4:5], s[6:7]
	s_and_b64 vcc, exec, s[4:5]
	s_cbranch_vccnz .LBB62_22
; %bb.5:
	s_load_dwordx2 s[18:19], s[0:1], 0x0
	v_lshrrev_b32_e32 v1, 4, v0
	v_lshl_or_b32 v2, s2, 3, v1
	s_waitcnt lgkmcnt(0)
	v_cmp_gt_i32_e32 vcc, s18, v2
	s_and_saveexec_b64 s[2:3], vcc
	s_cbranch_execz .LBB62_22
; %bb.6:
	s_load_dwordx8 s[4:11], s[0:1], 0x10
	v_ashrrev_i32_e32 v3, 31, v2
	s_cmp_lg_u32 s19, 0
	s_waitcnt lgkmcnt(0)
	v_lshl_add_u64 v[4:5], v[2:3], 2, s[4:5]
	global_load_dwordx2 v[4:5], v[4:5], off
	v_and_b32_e32 v3, 15, v0
	s_waitcnt vmcnt(0)
	v_subrev_u32_e32 v0, s16, v4
	v_subrev_u32_e32 v12, s16, v5
	v_add_u32_e32 v0, v0, v3
	v_cmp_lt_i32_e64 s[2:3], v0, v12
	s_cbranch_scc0 .LBB62_12
; %bb.7:
	v_mov_b32_e32 v5, 0
	v_mov_b32_e32 v4, v5
	s_and_saveexec_b64 s[4:5], s[2:3]
	s_cbranch_execz .LBB62_11
; %bb.8:
	v_mad_u64_u32 v[6:7], s[18:19], v0, 28, 26
	v_mov_b32_e32 v9, 0
	s_mov_b64 s[18:19], 0
	v_mov_b32_e32 v10, v0
	v_mov_b32_e32 v4, v9
	;; [unrolled: 1-line block ×3, first 2 shown]
.LBB62_9:                               ; =>This Inner Loop Header: Depth=1
	v_ashrrev_i32_e32 v11, 31, v10
	v_lshl_add_u64 v[14:15], v[10:11], 2, s[6:7]
	global_load_dword v1, v[14:15], off
	v_subrev_u32_e32 v8, 26, v6
	v_lshl_add_u64 v[14:15], v[8:9], 2, s[8:9]
	v_subrev_u32_e32 v8, 22, v6
	v_lshl_add_u64 v[22:23], v[8:9], 2, s[8:9]
	v_mov_b32_e32 v19, v9
	global_load_dwordx4 v[14:17], v[14:15], off
	v_mov_b32_e32 v7, v9
	global_load_dwordx2 v[22:23], v[22:23], off
	v_lshl_add_u64 v[20:21], v[6:7], 2, s[8:9]
	v_add_u32_e32 v10, 16, v10
	v_cmp_ge_i32_e32 vcc, v10, v12
	s_or_b64 s[18:19], vcc, s[18:19]
	s_waitcnt vmcnt(2)
	v_subrev_u32_e32 v1, s16, v1
	v_mul_lo_u32 v18, v1, 14
	v_add_u32_e32 v8, 2, v18
	v_lshl_add_u64 v[26:27], v[8:9], 2, s[10:11]
	v_subrev_u32_e32 v8, 20, v6
	v_lshl_add_u64 v[28:29], v[8:9], 2, s[8:9]
	v_subrev_u32_e32 v8, 18, v6
	v_lshl_add_u64 v[24:25], v[18:19], 2, s[10:11]
	v_lshl_add_u64 v[30:31], v[8:9], 2, s[8:9]
	v_add_u32_e32 v8, 4, v18
	global_load_dwordx2 v[24:25], v[24:25], off
	s_nop 0
	global_load_dwordx2 v[26:27], v[26:27], off
	s_nop 0
	global_load_dwordx2 v[32:33], v[28:29], off
	global_load_dwordx2 v[34:35], v[30:31], off
	v_lshl_add_u64 v[28:29], v[8:9], 2, s[10:11]
	v_add_u32_e32 v8, -16, v6
	v_lshl_add_u64 v[30:31], v[8:9], 2, s[8:9]
	v_add_u32_e32 v8, -14, v6
	v_lshl_add_u64 v[36:37], v[8:9], 2, s[8:9]
	v_add_u32_e32 v8, 6, v18
	global_load_dwordx2 v[28:29], v[28:29], off
	s_nop 0
	global_load_dwordx2 v[38:39], v[30:31], off
	global_load_dwordx2 v[40:41], v[36:37], off
	v_lshl_add_u64 v[30:31], v[8:9], 2, s[10:11]
	v_add_u32_e32 v8, -12, v6
	v_lshl_add_u64 v[36:37], v[8:9], 2, s[8:9]
	v_add_u32_e32 v8, -10, v6
	v_lshl_add_u64 v[42:43], v[8:9], 2, s[8:9]
	v_add_u32_e32 v8, 8, v18
	global_load_dwordx2 v[30:31], v[30:31], off
	s_nop 0
	global_load_dwordx2 v[44:45], v[36:37], off
	global_load_dwordx2 v[46:47], v[42:43], off
	v_lshl_add_u64 v[36:37], v[8:9], 2, s[10:11]
	v_add_u32_e32 v8, -8, v6
	v_lshl_add_u64 v[42:43], v[8:9], 2, s[8:9]
	v_add_u32_e32 v8, -6, v6
	global_load_dwordx2 v[36:37], v[36:37], off
	v_lshl_add_u64 v[48:49], v[8:9], 2, s[8:9]
	v_add_u32_e32 v8, 10, v18
	global_load_dwordx2 v[50:51], v[42:43], off
	global_load_dwordx2 v[52:53], v[48:49], off
	v_lshl_add_u64 v[42:43], v[8:9], 2, s[10:11]
	v_add_u32_e32 v8, -4, v6
	global_load_dwordx2 v[42:43], v[42:43], off
	v_lshl_add_u64 v[48:49], v[8:9], 2, s[8:9]
	v_add_u32_e32 v8, -2, v6
	v_lshl_add_u64 v[54:55], v[8:9], 2, s[8:9]
	v_add_u32_e32 v8, 12, v18
	global_load_dwordx2 v[18:19], v[48:49], off
	global_load_dwordx2 v[56:57], v[54:55], off
	v_lshl_add_u64 v[48:49], v[8:9], 2, s[10:11]
	global_load_dwordx2 v[54:55], v[48:49], off
	global_load_dwordx2 v[58:59], v[20:21], off
	v_add_u32_e32 v6, 0x1c0, v6
	s_waitcnt vmcnt(17)
	v_pk_fma_f32 v[4:5], v[14:15], v[24:25], v[4:5] op_sel_hi:[1,0,1]
	s_nop 0
	v_pk_fma_f32 v[4:5], v[16:17], v[24:25], v[4:5] op_sel:[0,1,0]
	s_waitcnt vmcnt(16)
	v_pk_fma_f32 v[4:5], v[22:23], v[26:27], v[4:5] op_sel_hi:[1,0,1]
	s_waitcnt vmcnt(15)
	v_pk_fma_f32 v[4:5], v[32:33], v[26:27], v[4:5] op_sel:[0,1,0]
	s_waitcnt vmcnt(13)
	v_pk_fma_f32 v[4:5], v[34:35], v[28:29], v[4:5] op_sel_hi:[1,0,1]
	s_waitcnt vmcnt(12)
	;; [unrolled: 4-line block ×6, first 2 shown]
	v_pk_fma_f32 v[4:5], v[58:59], v[54:55], v[4:5] op_sel:[0,1,0]
	s_andn2_b64 exec, exec, s[18:19]
	s_cbranch_execnz .LBB62_9
; %bb.10:
	s_or_b64 exec, exec, s[18:19]
.LBB62_11:
	s_or_b64 exec, exec, s[4:5]
	s_cbranch_execz .LBB62_13
	s_branch .LBB62_18
.LBB62_12:
                                        ; implicit-def: $vgpr5
.LBB62_13:
	v_mov_b32_e32 v5, 0
	v_mov_b32_e32 v4, v5
	s_and_saveexec_b64 s[4:5], s[2:3]
	s_cbranch_execz .LBB62_17
; %bb.14:
	v_mad_u64_u32 v[6:7], s[2:3], v0, 28, 27
	v_mov_b32_e32 v9, 0
	s_mov_b64 s[2:3], 0
	v_mov_b32_e32 v4, v9
	v_mov_b32_e32 v5, v9
.LBB62_15:                              ; =>This Inner Loop Header: Depth=1
	v_ashrrev_i32_e32 v1, 31, v0
	v_lshl_add_u64 v[10:11], v[0:1], 2, s[6:7]
	global_load_dword v1, v[10:11], off
	v_subrev_u32_e32 v8, 27, v6
	v_add_u32_e32 v14, -13, v6
	v_mov_b32_e32 v15, v9
	v_lshl_add_u64 v[16:17], v[8:9], 2, s[8:9]
	v_add_u32_e32 v8, -12, v6
	v_lshl_add_u64 v[18:19], v[14:15], 2, s[8:9]
	v_lshl_add_u64 v[22:23], v[8:9], 2, s[8:9]
	global_load_dwordx4 v[14:17], v[16:17], off
	s_nop 0
	global_load_dword v25, v[18:19], off
	global_load_dword v27, v[22:23], off
	v_mov_b32_e32 v11, v9
	v_mov_b32_e32 v7, v9
	v_lshl_add_u64 v[20:21], v[6:7], 2, s[8:9]
	v_add_u32_e32 v0, 16, v0
	v_cmp_ge_i32_e32 vcc, v0, v12
	s_or_b64 s[2:3], vcc, s[2:3]
	s_waitcnt vmcnt(3)
	v_subrev_u32_e32 v1, s16, v1
	v_mul_lo_u32 v10, v1, 14
	v_add_u32_e32 v8, 2, v10
	v_lshl_add_u64 v[22:23], v[8:9], 2, s[10:11]
	v_add_u32_e32 v8, -11, v6
	v_lshl_add_u64 v[28:29], v[8:9], 2, s[8:9]
	v_add_u32_e32 v8, -10, v6
	v_lshl_add_u64 v[30:31], v[8:9], 2, s[8:9]
	v_subrev_u32_e32 v8, 23, v6
	v_lshl_add_u64 v[18:19], v[10:11], 2, s[10:11]
	global_load_dword v11, v[28:29], off
	v_lshl_add_u64 v[28:29], v[8:9], 2, s[8:9]
	v_add_u32_e32 v8, 4, v10
	global_load_dwordx2 v[18:19], v[18:19], off
	s_waitcnt vmcnt(4)
	v_mov_b32_e32 v24, v14
	global_load_dwordx2 v[22:23], v[22:23], off
	s_nop 0
	global_load_dword v33, v[30:31], off
	global_load_dword v34, v[28:29], off
	v_lshl_add_u64 v[28:29], v[8:9], 2, s[10:11]
	v_add_u32_e32 v8, -9, v6
	v_lshl_add_u64 v[30:31], v[8:9], 2, s[8:9]
	v_subrev_u32_e32 v8, 22, v6
	v_lshl_add_u64 v[36:37], v[8:9], 2, s[8:9]
	v_add_u32_e32 v8, -8, v6
	global_load_dword v35, v[30:31], off
	v_mov_b32_e32 v26, v15
	global_load_dword v36, v[36:37], off
	v_lshl_add_u64 v[30:31], v[8:9], 2, s[8:9]
	v_subrev_u32_e32 v8, 21, v6
	v_lshl_add_u64 v[38:39], v[8:9], 2, s[8:9]
	v_add_u32_e32 v8, 6, v10
	global_load_dwordx2 v[28:29], v[28:29], off
	s_nop 0
	global_load_dword v37, v[30:31], off
	global_load_dword v40, v[38:39], off
	v_lshl_add_u64 v[30:31], v[8:9], 2, s[10:11]
	v_add_u32_e32 v8, -7, v6
	v_lshl_add_u64 v[38:39], v[8:9], 2, s[8:9]
	v_subrev_u32_e32 v8, 20, v6
	v_lshl_add_u64 v[42:43], v[8:9], 2, s[8:9]
	v_add_u32_e32 v8, -6, v6
	global_load_dword v41, v[38:39], off
	v_mov_b32_e32 v32, v17
	global_load_dword v42, v[42:43], off
	v_lshl_add_u64 v[38:39], v[8:9], 2, s[8:9]
	v_subrev_u32_e32 v8, 19, v6
	v_lshl_add_u64 v[44:45], v[8:9], 2, s[8:9]
	v_add_u32_e32 v8, 8, v10
	global_load_dwordx2 v[30:31], v[30:31], off
	s_nop 0
	global_load_dword v43, v[38:39], off
	global_load_dword v46, v[44:45], off
	v_lshl_add_u64 v[38:39], v[8:9], 2, s[10:11]
	v_add_u32_e32 v8, -5, v6
	v_lshl_add_u64 v[44:45], v[8:9], 2, s[8:9]
	v_subrev_u32_e32 v8, 18, v6
	v_lshl_add_u64 v[48:49], v[8:9], 2, s[8:9]
	v_add_u32_e32 v8, -4, v6
	global_load_dword v47, v[44:45], off
	s_waitcnt vmcnt(14)
	v_pk_fma_f32 v[4:5], v[24:25], v[18:19], v[4:5] op_sel_hi:[1,0,1]
	global_load_dword v48, v[48:49], off
	v_lshl_add_u64 v[44:45], v[8:9], 2, s[8:9]
	v_subrev_u32_e32 v8, 17, v6
	v_lshl_add_u64 v[50:51], v[8:9], 2, s[8:9]
	v_add_u32_e32 v8, 10, v10
	global_load_dwordx2 v[38:39], v[38:39], off
	s_nop 0
	global_load_dword v49, v[44:45], off
	global_load_dword v52, v[50:51], off
	v_lshl_add_u64 v[44:45], v[8:9], 2, s[10:11]
	v_add_u32_e32 v8, -3, v6
	v_lshl_add_u64 v[50:51], v[8:9], 2, s[8:9]
	v_add_u32_e32 v8, -16, v6
	;; [unrolled: 2-line block ×3, first 2 shown]
	global_load_dword v53, v[50:51], off
	v_pk_fma_f32 v[4:5], v[26:27], v[18:19], v[4:5] op_sel:[0,1,0]
	global_load_dword v54, v[54:55], off
	v_lshl_add_u64 v[50:51], v[8:9], 2, s[8:9]
	v_add_u32_e32 v8, -15, v6
	global_load_dwordx2 v[44:45], v[44:45], off
	v_lshl_add_u64 v[56:57], v[8:9], 2, s[8:9]
	v_add_u32_e32 v8, 12, v10
	global_load_dword v55, v[50:51], off
	global_load_dword v58, v[56:57], off
	v_lshl_add_u64 v[50:51], v[8:9], 2, s[10:11]
	v_add_u32_e32 v8, -1, v6
	global_load_dwordx2 v[50:51], v[50:51], off
	v_lshl_add_u64 v[56:57], v[8:9], 2, s[8:9]
	v_add_u32_e32 v8, -14, v6
	v_lshl_add_u64 v[60:61], v[8:9], 2, s[8:9]
	global_load_dword v59, v[56:57], off
	global_load_dword v62, v[60:61], off
	;; [unrolled: 1-line block ×3, first 2 shown]
	v_mov_b32_e32 v10, v16
	s_waitcnt vmcnt(26)
	v_pk_fma_f32 v[4:5], v[10:11], v[22:23], v[4:5] op_sel_hi:[1,0,1]
	v_add_u32_e32 v6, 0x1c0, v6
	s_waitcnt vmcnt(25)
	v_pk_fma_f32 v[4:5], v[32:33], v[22:23], v[4:5] op_sel:[0,1,0]
	s_waitcnt vmcnt(21)
	v_pk_fma_f32 v[4:5], v[34:35], v[28:29], v[4:5] op_sel_hi:[1,0,1]
	s_waitcnt vmcnt(20)
	v_pk_fma_f32 v[4:5], v[36:37], v[28:29], v[4:5] op_sel:[0,1,0]
	s_waitcnt vmcnt(16)
	v_pk_fma_f32 v[4:5], v[40:41], v[30:31], v[4:5] op_sel_hi:[1,0,1]
	;; [unrolled: 4-line block ×5, first 2 shown]
	s_waitcnt vmcnt(0)
	v_pk_fma_f32 v[4:5], v[62:63], v[50:51], v[4:5] op_sel:[0,1,0]
	s_andn2_b64 exec, exec, s[2:3]
	s_cbranch_execnz .LBB62_15
; %bb.16:
	s_or_b64 exec, exec, s[2:3]
.LBB62_17:
	s_or_b64 exec, exec, s[4:5]
.LBB62_18:
	v_mov_b32_dpp v0, v4 row_shr:1 row_mask:0xf bank_mask:0xf
	v_mov_b32_dpp v1, v5 row_shr:1 row_mask:0xf bank_mask:0xf
	v_pk_add_f32 v[0:1], v[4:5], v[0:1]
	v_cmp_eq_u32_e32 vcc, 15, v3
	s_nop 0
	v_mov_b32_dpp v4, v0 row_shr:2 row_mask:0xf bank_mask:0xf
	v_mov_b32_dpp v5, v1 row_shr:2 row_mask:0xf bank_mask:0xf
	v_pk_add_f32 v[0:1], v[0:1], v[4:5]
	s_nop 1
	v_mov_b32_dpp v4, v0 row_shr:4 row_mask:0xf bank_mask:0xe
	v_mov_b32_dpp v5, v1 row_shr:4 row_mask:0xf bank_mask:0xe
	v_pk_add_f32 v[0:1], v[0:1], v[4:5]
	s_nop 1
	v_mov_b32_dpp v4, v0 row_shr:8 row_mask:0xf bank_mask:0xc
	v_mov_b32_dpp v5, v1 row_shr:8 row_mask:0xf bank_mask:0xc
	s_and_b64 exec, exec, vcc
	s_cbranch_execz .LBB62_22
; %bb.19:
	s_load_dwordx2 s[0:1], s[0:1], 0x38
	v_cmp_eq_f32_e64 s[2:3], s12, 0
	v_pk_add_f32 v[0:1], v[0:1], v[4:5]
	s_and_b64 vcc, exec, s[2:3]
	v_lshlrev_b32_e32 v2, 1, v2
	s_cbranch_vccz .LBB62_23
; %bb.20:
	v_ashrrev_i32_e32 v3, 31, v2
	s_waitcnt lgkmcnt(0)
	v_lshl_add_u64 v[4:5], v[2:3], 2, s[0:1]
	v_pk_mul_f32 v[6:7], s[14:15], v[0:1] op_sel_hi:[0,1]
	global_store_dwordx2 v[4:5], v[6:7], off
	s_cbranch_execnz .LBB62_22
.LBB62_21:
	v_ashrrev_i32_e32 v3, 31, v2
	s_waitcnt lgkmcnt(0)
	v_lshl_add_u64 v[2:3], v[2:3], 2, s[0:1]
	global_load_dwordx2 v[4:5], v[2:3], off
	v_pk_mul_f32 v[0:1], s[14:15], v[0:1] op_sel_hi:[0,1]
	s_waitcnt vmcnt(0)
	v_pk_fma_f32 v[0:1], s[12:13], v[4:5], v[0:1] op_sel_hi:[0,1,1]
	global_store_dwordx2 v[2:3], v[0:1], off
.LBB62_22:
	s_endpgm
.LBB62_23:
	s_branch .LBB62_21
	.section	.rodata,"a",@progbits
	.p2align	6, 0x0
	.amdhsa_kernel _ZN9rocsparseL19gebsrmvn_2xn_kernelILj128ELj14ELj16EfEEvi20rocsparse_direction_NS_24const_host_device_scalarIT2_EEPKiS6_PKS3_S8_S4_PS3_21rocsparse_index_base_b
		.amdhsa_group_segment_fixed_size 0
		.amdhsa_private_segment_fixed_size 0
		.amdhsa_kernarg_size 72
		.amdhsa_user_sgpr_count 2
		.amdhsa_user_sgpr_dispatch_ptr 0
		.amdhsa_user_sgpr_queue_ptr 0
		.amdhsa_user_sgpr_kernarg_segment_ptr 1
		.amdhsa_user_sgpr_dispatch_id 0
		.amdhsa_user_sgpr_kernarg_preload_length 0
		.amdhsa_user_sgpr_kernarg_preload_offset 0
		.amdhsa_user_sgpr_private_segment_size 0
		.amdhsa_uses_dynamic_stack 0
		.amdhsa_enable_private_segment 0
		.amdhsa_system_sgpr_workgroup_id_x 1
		.amdhsa_system_sgpr_workgroup_id_y 0
		.amdhsa_system_sgpr_workgroup_id_z 0
		.amdhsa_system_sgpr_workgroup_info 0
		.amdhsa_system_vgpr_workitem_id 0
		.amdhsa_next_free_vgpr 64
		.amdhsa_next_free_sgpr 20
		.amdhsa_accum_offset 64
		.amdhsa_reserve_vcc 1
		.amdhsa_float_round_mode_32 0
		.amdhsa_float_round_mode_16_64 0
		.amdhsa_float_denorm_mode_32 3
		.amdhsa_float_denorm_mode_16_64 3
		.amdhsa_dx10_clamp 1
		.amdhsa_ieee_mode 1
		.amdhsa_fp16_overflow 0
		.amdhsa_tg_split 0
		.amdhsa_exception_fp_ieee_invalid_op 0
		.amdhsa_exception_fp_denorm_src 0
		.amdhsa_exception_fp_ieee_div_zero 0
		.amdhsa_exception_fp_ieee_overflow 0
		.amdhsa_exception_fp_ieee_underflow 0
		.amdhsa_exception_fp_ieee_inexact 0
		.amdhsa_exception_int_div_zero 0
	.end_amdhsa_kernel
	.section	.text._ZN9rocsparseL19gebsrmvn_2xn_kernelILj128ELj14ELj16EfEEvi20rocsparse_direction_NS_24const_host_device_scalarIT2_EEPKiS6_PKS3_S8_S4_PS3_21rocsparse_index_base_b,"axG",@progbits,_ZN9rocsparseL19gebsrmvn_2xn_kernelILj128ELj14ELj16EfEEvi20rocsparse_direction_NS_24const_host_device_scalarIT2_EEPKiS6_PKS3_S8_S4_PS3_21rocsparse_index_base_b,comdat
.Lfunc_end62:
	.size	_ZN9rocsparseL19gebsrmvn_2xn_kernelILj128ELj14ELj16EfEEvi20rocsparse_direction_NS_24const_host_device_scalarIT2_EEPKiS6_PKS3_S8_S4_PS3_21rocsparse_index_base_b, .Lfunc_end62-_ZN9rocsparseL19gebsrmvn_2xn_kernelILj128ELj14ELj16EfEEvi20rocsparse_direction_NS_24const_host_device_scalarIT2_EEPKiS6_PKS3_S8_S4_PS3_21rocsparse_index_base_b
                                        ; -- End function
	.section	.AMDGPU.csdata,"",@progbits
; Kernel info:
; codeLenInByte = 2120
; NumSgprs: 26
; NumVgprs: 64
; NumAgprs: 0
; TotalNumVgprs: 64
; ScratchSize: 0
; MemoryBound: 0
; FloatMode: 240
; IeeeMode: 1
; LDSByteSize: 0 bytes/workgroup (compile time only)
; SGPRBlocks: 3
; VGPRBlocks: 7
; NumSGPRsForWavesPerEU: 26
; NumVGPRsForWavesPerEU: 64
; AccumOffset: 64
; Occupancy: 8
; WaveLimiterHint : 1
; COMPUTE_PGM_RSRC2:SCRATCH_EN: 0
; COMPUTE_PGM_RSRC2:USER_SGPR: 2
; COMPUTE_PGM_RSRC2:TRAP_HANDLER: 0
; COMPUTE_PGM_RSRC2:TGID_X_EN: 1
; COMPUTE_PGM_RSRC2:TGID_Y_EN: 0
; COMPUTE_PGM_RSRC2:TGID_Z_EN: 0
; COMPUTE_PGM_RSRC2:TIDIG_COMP_CNT: 0
; COMPUTE_PGM_RSRC3_GFX90A:ACCUM_OFFSET: 15
; COMPUTE_PGM_RSRC3_GFX90A:TG_SPLIT: 0
	.section	.text._ZN9rocsparseL19gebsrmvn_2xn_kernelILj128ELj14ELj32EfEEvi20rocsparse_direction_NS_24const_host_device_scalarIT2_EEPKiS6_PKS3_S8_S4_PS3_21rocsparse_index_base_b,"axG",@progbits,_ZN9rocsparseL19gebsrmvn_2xn_kernelILj128ELj14ELj32EfEEvi20rocsparse_direction_NS_24const_host_device_scalarIT2_EEPKiS6_PKS3_S8_S4_PS3_21rocsparse_index_base_b,comdat
	.globl	_ZN9rocsparseL19gebsrmvn_2xn_kernelILj128ELj14ELj32EfEEvi20rocsparse_direction_NS_24const_host_device_scalarIT2_EEPKiS6_PKS3_S8_S4_PS3_21rocsparse_index_base_b ; -- Begin function _ZN9rocsparseL19gebsrmvn_2xn_kernelILj128ELj14ELj32EfEEvi20rocsparse_direction_NS_24const_host_device_scalarIT2_EEPKiS6_PKS3_S8_S4_PS3_21rocsparse_index_base_b
	.p2align	8
	.type	_ZN9rocsparseL19gebsrmvn_2xn_kernelILj128ELj14ELj32EfEEvi20rocsparse_direction_NS_24const_host_device_scalarIT2_EEPKiS6_PKS3_S8_S4_PS3_21rocsparse_index_base_b,@function
_ZN9rocsparseL19gebsrmvn_2xn_kernelILj128ELj14ELj32EfEEvi20rocsparse_direction_NS_24const_host_device_scalarIT2_EEPKiS6_PKS3_S8_S4_PS3_21rocsparse_index_base_b: ; @_ZN9rocsparseL19gebsrmvn_2xn_kernelILj128ELj14ELj32EfEEvi20rocsparse_direction_NS_24const_host_device_scalarIT2_EEPKiS6_PKS3_S8_S4_PS3_21rocsparse_index_base_b
; %bb.0:
	s_load_dwordx2 s[16:17], s[0:1], 0x40
	s_load_dwordx2 s[14:15], s[0:1], 0x8
	;; [unrolled: 1-line block ×3, first 2 shown]
	s_waitcnt lgkmcnt(0)
	s_bitcmp1_b32 s17, 0
	s_cselect_b64 s[6:7], -1, 0
	s_xor_b64 s[4:5], s[6:7], -1
	s_and_b64 vcc, exec, s[6:7]
	s_cbranch_vccnz .LBB63_2
; %bb.1:
	s_load_dword s14, s[14:15], 0x0
.LBB63_2:
	s_andn2_b64 vcc, exec, s[4:5]
	s_cbranch_vccnz .LBB63_4
; %bb.3:
	s_load_dword s12, s[12:13], 0x0
.LBB63_4:
	s_waitcnt lgkmcnt(0)
	v_cmp_eq_f32_e64 s[4:5], s14, 0
	v_cmp_eq_f32_e64 s[6:7], s12, 1.0
	s_and_b64 s[4:5], s[4:5], s[6:7]
	s_and_b64 vcc, exec, s[4:5]
	s_cbranch_vccnz .LBB63_22
; %bb.5:
	s_load_dwordx2 s[18:19], s[0:1], 0x0
	v_lshrrev_b32_e32 v1, 5, v0
	v_lshl_or_b32 v2, s2, 2, v1
	s_waitcnt lgkmcnt(0)
	v_cmp_gt_i32_e32 vcc, s18, v2
	s_and_saveexec_b64 s[2:3], vcc
	s_cbranch_execz .LBB63_22
; %bb.6:
	s_load_dwordx8 s[4:11], s[0:1], 0x10
	v_ashrrev_i32_e32 v3, 31, v2
	s_cmp_lg_u32 s19, 0
	s_waitcnt lgkmcnt(0)
	v_lshl_add_u64 v[4:5], v[2:3], 2, s[4:5]
	global_load_dwordx2 v[4:5], v[4:5], off
	v_and_b32_e32 v3, 31, v0
	s_waitcnt vmcnt(0)
	v_subrev_u32_e32 v0, s16, v4
	v_subrev_u32_e32 v12, s16, v5
	v_add_u32_e32 v0, v0, v3
	v_cmp_lt_i32_e64 s[2:3], v0, v12
	s_cbranch_scc0 .LBB63_12
; %bb.7:
	v_mov_b32_e32 v5, 0
	v_mov_b32_e32 v4, v5
	s_and_saveexec_b64 s[4:5], s[2:3]
	s_cbranch_execz .LBB63_11
; %bb.8:
	v_mad_u64_u32 v[6:7], s[18:19], v0, 28, 26
	v_mov_b32_e32 v9, 0
	s_mov_b64 s[18:19], 0
	v_mov_b32_e32 v10, v0
	v_mov_b32_e32 v4, v9
	;; [unrolled: 1-line block ×3, first 2 shown]
.LBB63_9:                               ; =>This Inner Loop Header: Depth=1
	v_ashrrev_i32_e32 v11, 31, v10
	v_lshl_add_u64 v[14:15], v[10:11], 2, s[6:7]
	global_load_dword v1, v[14:15], off
	v_subrev_u32_e32 v8, 26, v6
	v_lshl_add_u64 v[14:15], v[8:9], 2, s[8:9]
	v_subrev_u32_e32 v8, 22, v6
	v_lshl_add_u64 v[22:23], v[8:9], 2, s[8:9]
	v_mov_b32_e32 v19, v9
	global_load_dwordx4 v[14:17], v[14:15], off
	v_mov_b32_e32 v7, v9
	global_load_dwordx2 v[22:23], v[22:23], off
	v_lshl_add_u64 v[20:21], v[6:7], 2, s[8:9]
	v_add_u32_e32 v10, 32, v10
	v_cmp_ge_i32_e32 vcc, v10, v12
	s_or_b64 s[18:19], vcc, s[18:19]
	s_waitcnt vmcnt(2)
	v_subrev_u32_e32 v1, s16, v1
	v_mul_lo_u32 v18, v1, 14
	v_add_u32_e32 v8, 2, v18
	v_lshl_add_u64 v[26:27], v[8:9], 2, s[10:11]
	v_subrev_u32_e32 v8, 20, v6
	v_lshl_add_u64 v[28:29], v[8:9], 2, s[8:9]
	v_subrev_u32_e32 v8, 18, v6
	v_lshl_add_u64 v[24:25], v[18:19], 2, s[10:11]
	v_lshl_add_u64 v[30:31], v[8:9], 2, s[8:9]
	v_add_u32_e32 v8, 4, v18
	global_load_dwordx2 v[24:25], v[24:25], off
	s_nop 0
	global_load_dwordx2 v[26:27], v[26:27], off
	s_nop 0
	global_load_dwordx2 v[32:33], v[28:29], off
	global_load_dwordx2 v[34:35], v[30:31], off
	v_lshl_add_u64 v[28:29], v[8:9], 2, s[10:11]
	v_add_u32_e32 v8, -16, v6
	v_lshl_add_u64 v[30:31], v[8:9], 2, s[8:9]
	v_add_u32_e32 v8, -14, v6
	v_lshl_add_u64 v[36:37], v[8:9], 2, s[8:9]
	v_add_u32_e32 v8, 6, v18
	global_load_dwordx2 v[28:29], v[28:29], off
	s_nop 0
	global_load_dwordx2 v[38:39], v[30:31], off
	global_load_dwordx2 v[40:41], v[36:37], off
	v_lshl_add_u64 v[30:31], v[8:9], 2, s[10:11]
	v_add_u32_e32 v8, -12, v6
	v_lshl_add_u64 v[36:37], v[8:9], 2, s[8:9]
	v_add_u32_e32 v8, -10, v6
	v_lshl_add_u64 v[42:43], v[8:9], 2, s[8:9]
	v_add_u32_e32 v8, 8, v18
	global_load_dwordx2 v[30:31], v[30:31], off
	s_nop 0
	global_load_dwordx2 v[44:45], v[36:37], off
	global_load_dwordx2 v[46:47], v[42:43], off
	v_lshl_add_u64 v[36:37], v[8:9], 2, s[10:11]
	v_add_u32_e32 v8, -8, v6
	v_lshl_add_u64 v[42:43], v[8:9], 2, s[8:9]
	v_add_u32_e32 v8, -6, v6
	global_load_dwordx2 v[36:37], v[36:37], off
	v_lshl_add_u64 v[48:49], v[8:9], 2, s[8:9]
	v_add_u32_e32 v8, 10, v18
	global_load_dwordx2 v[50:51], v[42:43], off
	global_load_dwordx2 v[52:53], v[48:49], off
	v_lshl_add_u64 v[42:43], v[8:9], 2, s[10:11]
	v_add_u32_e32 v8, -4, v6
	global_load_dwordx2 v[42:43], v[42:43], off
	v_lshl_add_u64 v[48:49], v[8:9], 2, s[8:9]
	v_add_u32_e32 v8, -2, v6
	v_lshl_add_u64 v[54:55], v[8:9], 2, s[8:9]
	v_add_u32_e32 v8, 12, v18
	global_load_dwordx2 v[18:19], v[48:49], off
	global_load_dwordx2 v[56:57], v[54:55], off
	v_lshl_add_u64 v[48:49], v[8:9], 2, s[10:11]
	global_load_dwordx2 v[54:55], v[48:49], off
	global_load_dwordx2 v[58:59], v[20:21], off
	v_add_u32_e32 v6, 0x380, v6
	s_waitcnt vmcnt(17)
	v_pk_fma_f32 v[4:5], v[14:15], v[24:25], v[4:5] op_sel_hi:[1,0,1]
	s_nop 0
	v_pk_fma_f32 v[4:5], v[16:17], v[24:25], v[4:5] op_sel:[0,1,0]
	s_waitcnt vmcnt(16)
	v_pk_fma_f32 v[4:5], v[22:23], v[26:27], v[4:5] op_sel_hi:[1,0,1]
	s_waitcnt vmcnt(15)
	v_pk_fma_f32 v[4:5], v[32:33], v[26:27], v[4:5] op_sel:[0,1,0]
	s_waitcnt vmcnt(13)
	v_pk_fma_f32 v[4:5], v[34:35], v[28:29], v[4:5] op_sel_hi:[1,0,1]
	s_waitcnt vmcnt(12)
	v_pk_fma_f32 v[4:5], v[38:39], v[28:29], v[4:5] op_sel:[0,1,0]
	s_waitcnt vmcnt(10)
	v_pk_fma_f32 v[4:5], v[40:41], v[30:31], v[4:5] op_sel_hi:[1,0,1]
	s_waitcnt vmcnt(9)
	v_pk_fma_f32 v[4:5], v[44:45], v[30:31], v[4:5] op_sel:[0,1,0]
	s_waitcnt vmcnt(7)
	v_pk_fma_f32 v[4:5], v[46:47], v[36:37], v[4:5] op_sel_hi:[1,0,1]
	s_waitcnt vmcnt(6)
	v_pk_fma_f32 v[4:5], v[50:51], v[36:37], v[4:5] op_sel:[0,1,0]
	s_waitcnt vmcnt(4)
	v_pk_fma_f32 v[4:5], v[52:53], v[42:43], v[4:5] op_sel_hi:[1,0,1]
	s_waitcnt vmcnt(3)
	v_pk_fma_f32 v[4:5], v[18:19], v[42:43], v[4:5] op_sel:[0,1,0]
	s_waitcnt vmcnt(1)
	v_pk_fma_f32 v[4:5], v[56:57], v[54:55], v[4:5] op_sel_hi:[1,0,1]
	s_waitcnt vmcnt(0)
	v_pk_fma_f32 v[4:5], v[58:59], v[54:55], v[4:5] op_sel:[0,1,0]
	s_andn2_b64 exec, exec, s[18:19]
	s_cbranch_execnz .LBB63_9
; %bb.10:
	s_or_b64 exec, exec, s[18:19]
.LBB63_11:
	s_or_b64 exec, exec, s[4:5]
	s_cbranch_execz .LBB63_13
	s_branch .LBB63_18
.LBB63_12:
                                        ; implicit-def: $vgpr5
.LBB63_13:
	v_mov_b32_e32 v5, 0
	v_mov_b32_e32 v4, v5
	s_and_saveexec_b64 s[4:5], s[2:3]
	s_cbranch_execz .LBB63_17
; %bb.14:
	v_mad_u64_u32 v[6:7], s[2:3], v0, 28, 27
	v_mov_b32_e32 v9, 0
	s_mov_b64 s[2:3], 0
	v_mov_b32_e32 v4, v9
	v_mov_b32_e32 v5, v9
.LBB63_15:                              ; =>This Inner Loop Header: Depth=1
	v_ashrrev_i32_e32 v1, 31, v0
	v_lshl_add_u64 v[10:11], v[0:1], 2, s[6:7]
	global_load_dword v1, v[10:11], off
	v_subrev_u32_e32 v8, 27, v6
	v_add_u32_e32 v14, -13, v6
	v_mov_b32_e32 v15, v9
	v_lshl_add_u64 v[16:17], v[8:9], 2, s[8:9]
	v_add_u32_e32 v8, -12, v6
	v_lshl_add_u64 v[18:19], v[14:15], 2, s[8:9]
	v_lshl_add_u64 v[22:23], v[8:9], 2, s[8:9]
	global_load_dwordx4 v[14:17], v[16:17], off
	s_nop 0
	global_load_dword v25, v[18:19], off
	global_load_dword v27, v[22:23], off
	v_mov_b32_e32 v11, v9
	v_mov_b32_e32 v7, v9
	v_lshl_add_u64 v[20:21], v[6:7], 2, s[8:9]
	v_add_u32_e32 v0, 32, v0
	v_cmp_ge_i32_e32 vcc, v0, v12
	s_or_b64 s[2:3], vcc, s[2:3]
	s_waitcnt vmcnt(3)
	v_subrev_u32_e32 v1, s16, v1
	v_mul_lo_u32 v10, v1, 14
	v_add_u32_e32 v8, 2, v10
	v_lshl_add_u64 v[22:23], v[8:9], 2, s[10:11]
	v_add_u32_e32 v8, -11, v6
	v_lshl_add_u64 v[28:29], v[8:9], 2, s[8:9]
	v_add_u32_e32 v8, -10, v6
	v_lshl_add_u64 v[30:31], v[8:9], 2, s[8:9]
	v_subrev_u32_e32 v8, 23, v6
	v_lshl_add_u64 v[18:19], v[10:11], 2, s[10:11]
	global_load_dword v11, v[28:29], off
	v_lshl_add_u64 v[28:29], v[8:9], 2, s[8:9]
	v_add_u32_e32 v8, 4, v10
	global_load_dwordx2 v[18:19], v[18:19], off
	s_waitcnt vmcnt(4)
	v_mov_b32_e32 v24, v14
	global_load_dwordx2 v[22:23], v[22:23], off
	s_nop 0
	global_load_dword v33, v[30:31], off
	global_load_dword v34, v[28:29], off
	v_lshl_add_u64 v[28:29], v[8:9], 2, s[10:11]
	v_add_u32_e32 v8, -9, v6
	v_lshl_add_u64 v[30:31], v[8:9], 2, s[8:9]
	v_subrev_u32_e32 v8, 22, v6
	v_lshl_add_u64 v[36:37], v[8:9], 2, s[8:9]
	v_add_u32_e32 v8, -8, v6
	global_load_dword v35, v[30:31], off
	v_mov_b32_e32 v26, v15
	global_load_dword v36, v[36:37], off
	v_lshl_add_u64 v[30:31], v[8:9], 2, s[8:9]
	v_subrev_u32_e32 v8, 21, v6
	v_lshl_add_u64 v[38:39], v[8:9], 2, s[8:9]
	v_add_u32_e32 v8, 6, v10
	global_load_dwordx2 v[28:29], v[28:29], off
	s_nop 0
	global_load_dword v37, v[30:31], off
	global_load_dword v40, v[38:39], off
	v_lshl_add_u64 v[30:31], v[8:9], 2, s[10:11]
	v_add_u32_e32 v8, -7, v6
	v_lshl_add_u64 v[38:39], v[8:9], 2, s[8:9]
	v_subrev_u32_e32 v8, 20, v6
	v_lshl_add_u64 v[42:43], v[8:9], 2, s[8:9]
	v_add_u32_e32 v8, -6, v6
	global_load_dword v41, v[38:39], off
	v_mov_b32_e32 v32, v17
	global_load_dword v42, v[42:43], off
	v_lshl_add_u64 v[38:39], v[8:9], 2, s[8:9]
	v_subrev_u32_e32 v8, 19, v6
	v_lshl_add_u64 v[44:45], v[8:9], 2, s[8:9]
	v_add_u32_e32 v8, 8, v10
	global_load_dwordx2 v[30:31], v[30:31], off
	s_nop 0
	global_load_dword v43, v[38:39], off
	global_load_dword v46, v[44:45], off
	v_lshl_add_u64 v[38:39], v[8:9], 2, s[10:11]
	v_add_u32_e32 v8, -5, v6
	v_lshl_add_u64 v[44:45], v[8:9], 2, s[8:9]
	v_subrev_u32_e32 v8, 18, v6
	v_lshl_add_u64 v[48:49], v[8:9], 2, s[8:9]
	v_add_u32_e32 v8, -4, v6
	global_load_dword v47, v[44:45], off
	s_waitcnt vmcnt(14)
	v_pk_fma_f32 v[4:5], v[24:25], v[18:19], v[4:5] op_sel_hi:[1,0,1]
	global_load_dword v48, v[48:49], off
	v_lshl_add_u64 v[44:45], v[8:9], 2, s[8:9]
	v_subrev_u32_e32 v8, 17, v6
	v_lshl_add_u64 v[50:51], v[8:9], 2, s[8:9]
	v_add_u32_e32 v8, 10, v10
	global_load_dwordx2 v[38:39], v[38:39], off
	s_nop 0
	global_load_dword v49, v[44:45], off
	global_load_dword v52, v[50:51], off
	v_lshl_add_u64 v[44:45], v[8:9], 2, s[10:11]
	v_add_u32_e32 v8, -3, v6
	v_lshl_add_u64 v[50:51], v[8:9], 2, s[8:9]
	v_add_u32_e32 v8, -16, v6
	;; [unrolled: 2-line block ×3, first 2 shown]
	global_load_dword v53, v[50:51], off
	v_pk_fma_f32 v[4:5], v[26:27], v[18:19], v[4:5] op_sel:[0,1,0]
	global_load_dword v54, v[54:55], off
	v_lshl_add_u64 v[50:51], v[8:9], 2, s[8:9]
	v_add_u32_e32 v8, -15, v6
	global_load_dwordx2 v[44:45], v[44:45], off
	v_lshl_add_u64 v[56:57], v[8:9], 2, s[8:9]
	v_add_u32_e32 v8, 12, v10
	global_load_dword v55, v[50:51], off
	global_load_dword v58, v[56:57], off
	v_lshl_add_u64 v[50:51], v[8:9], 2, s[10:11]
	v_add_u32_e32 v8, -1, v6
	global_load_dwordx2 v[50:51], v[50:51], off
	v_lshl_add_u64 v[56:57], v[8:9], 2, s[8:9]
	v_add_u32_e32 v8, -14, v6
	v_lshl_add_u64 v[60:61], v[8:9], 2, s[8:9]
	global_load_dword v59, v[56:57], off
	global_load_dword v62, v[60:61], off
	;; [unrolled: 1-line block ×3, first 2 shown]
	v_mov_b32_e32 v10, v16
	s_waitcnt vmcnt(26)
	v_pk_fma_f32 v[4:5], v[10:11], v[22:23], v[4:5] op_sel_hi:[1,0,1]
	v_add_u32_e32 v6, 0x380, v6
	s_waitcnt vmcnt(25)
	v_pk_fma_f32 v[4:5], v[32:33], v[22:23], v[4:5] op_sel:[0,1,0]
	s_waitcnt vmcnt(21)
	v_pk_fma_f32 v[4:5], v[34:35], v[28:29], v[4:5] op_sel_hi:[1,0,1]
	s_waitcnt vmcnt(20)
	v_pk_fma_f32 v[4:5], v[36:37], v[28:29], v[4:5] op_sel:[0,1,0]
	s_waitcnt vmcnt(16)
	v_pk_fma_f32 v[4:5], v[40:41], v[30:31], v[4:5] op_sel_hi:[1,0,1]
	;; [unrolled: 4-line block ×5, first 2 shown]
	s_waitcnt vmcnt(0)
	v_pk_fma_f32 v[4:5], v[62:63], v[50:51], v[4:5] op_sel:[0,1,0]
	s_andn2_b64 exec, exec, s[2:3]
	s_cbranch_execnz .LBB63_15
; %bb.16:
	s_or_b64 exec, exec, s[2:3]
.LBB63_17:
	s_or_b64 exec, exec, s[4:5]
.LBB63_18:
	v_mov_b32_dpp v0, v4 row_shr:1 row_mask:0xf bank_mask:0xf
	v_mov_b32_dpp v1, v5 row_shr:1 row_mask:0xf bank_mask:0xf
	v_pk_add_f32 v[0:1], v[4:5], v[0:1]
	v_cmp_eq_u32_e32 vcc, 31, v3
	s_nop 0
	v_mov_b32_dpp v4, v0 row_shr:2 row_mask:0xf bank_mask:0xf
	v_mov_b32_dpp v5, v1 row_shr:2 row_mask:0xf bank_mask:0xf
	v_pk_add_f32 v[0:1], v[0:1], v[4:5]
	s_nop 1
	v_mov_b32_dpp v4, v0 row_shr:4 row_mask:0xf bank_mask:0xe
	v_mov_b32_dpp v5, v1 row_shr:4 row_mask:0xf bank_mask:0xe
	v_pk_add_f32 v[0:1], v[0:1], v[4:5]
	;; [unrolled: 4-line block ×3, first 2 shown]
	s_nop 1
	v_mov_b32_dpp v4, v0 row_bcast:15 row_mask:0xa bank_mask:0xf
	v_mov_b32_dpp v5, v1 row_bcast:15 row_mask:0xa bank_mask:0xf
	s_and_b64 exec, exec, vcc
	s_cbranch_execz .LBB63_22
; %bb.19:
	s_load_dwordx2 s[0:1], s[0:1], 0x38
	v_cmp_eq_f32_e64 s[2:3], s12, 0
	v_pk_add_f32 v[0:1], v[0:1], v[4:5]
	s_and_b64 vcc, exec, s[2:3]
	v_lshlrev_b32_e32 v2, 1, v2
	s_cbranch_vccz .LBB63_23
; %bb.20:
	v_ashrrev_i32_e32 v3, 31, v2
	s_waitcnt lgkmcnt(0)
	v_lshl_add_u64 v[4:5], v[2:3], 2, s[0:1]
	v_pk_mul_f32 v[6:7], s[14:15], v[0:1] op_sel_hi:[0,1]
	global_store_dwordx2 v[4:5], v[6:7], off
	s_cbranch_execnz .LBB63_22
.LBB63_21:
	v_ashrrev_i32_e32 v3, 31, v2
	s_waitcnt lgkmcnt(0)
	v_lshl_add_u64 v[2:3], v[2:3], 2, s[0:1]
	global_load_dwordx2 v[4:5], v[2:3], off
	v_pk_mul_f32 v[0:1], s[14:15], v[0:1] op_sel_hi:[0,1]
	s_waitcnt vmcnt(0)
	v_pk_fma_f32 v[0:1], s[12:13], v[4:5], v[0:1] op_sel_hi:[0,1,1]
	global_store_dwordx2 v[2:3], v[0:1], off
.LBB63_22:
	s_endpgm
.LBB63_23:
	s_branch .LBB63_21
	.section	.rodata,"a",@progbits
	.p2align	6, 0x0
	.amdhsa_kernel _ZN9rocsparseL19gebsrmvn_2xn_kernelILj128ELj14ELj32EfEEvi20rocsparse_direction_NS_24const_host_device_scalarIT2_EEPKiS6_PKS3_S8_S4_PS3_21rocsparse_index_base_b
		.amdhsa_group_segment_fixed_size 0
		.amdhsa_private_segment_fixed_size 0
		.amdhsa_kernarg_size 72
		.amdhsa_user_sgpr_count 2
		.amdhsa_user_sgpr_dispatch_ptr 0
		.amdhsa_user_sgpr_queue_ptr 0
		.amdhsa_user_sgpr_kernarg_segment_ptr 1
		.amdhsa_user_sgpr_dispatch_id 0
		.amdhsa_user_sgpr_kernarg_preload_length 0
		.amdhsa_user_sgpr_kernarg_preload_offset 0
		.amdhsa_user_sgpr_private_segment_size 0
		.amdhsa_uses_dynamic_stack 0
		.amdhsa_enable_private_segment 0
		.amdhsa_system_sgpr_workgroup_id_x 1
		.amdhsa_system_sgpr_workgroup_id_y 0
		.amdhsa_system_sgpr_workgroup_id_z 0
		.amdhsa_system_sgpr_workgroup_info 0
		.amdhsa_system_vgpr_workitem_id 0
		.amdhsa_next_free_vgpr 64
		.amdhsa_next_free_sgpr 20
		.amdhsa_accum_offset 64
		.amdhsa_reserve_vcc 1
		.amdhsa_float_round_mode_32 0
		.amdhsa_float_round_mode_16_64 0
		.amdhsa_float_denorm_mode_32 3
		.amdhsa_float_denorm_mode_16_64 3
		.amdhsa_dx10_clamp 1
		.amdhsa_ieee_mode 1
		.amdhsa_fp16_overflow 0
		.amdhsa_tg_split 0
		.amdhsa_exception_fp_ieee_invalid_op 0
		.amdhsa_exception_fp_denorm_src 0
		.amdhsa_exception_fp_ieee_div_zero 0
		.amdhsa_exception_fp_ieee_overflow 0
		.amdhsa_exception_fp_ieee_underflow 0
		.amdhsa_exception_fp_ieee_inexact 0
		.amdhsa_exception_int_div_zero 0
	.end_amdhsa_kernel
	.section	.text._ZN9rocsparseL19gebsrmvn_2xn_kernelILj128ELj14ELj32EfEEvi20rocsparse_direction_NS_24const_host_device_scalarIT2_EEPKiS6_PKS3_S8_S4_PS3_21rocsparse_index_base_b,"axG",@progbits,_ZN9rocsparseL19gebsrmvn_2xn_kernelILj128ELj14ELj32EfEEvi20rocsparse_direction_NS_24const_host_device_scalarIT2_EEPKiS6_PKS3_S8_S4_PS3_21rocsparse_index_base_b,comdat
.Lfunc_end63:
	.size	_ZN9rocsparseL19gebsrmvn_2xn_kernelILj128ELj14ELj32EfEEvi20rocsparse_direction_NS_24const_host_device_scalarIT2_EEPKiS6_PKS3_S8_S4_PS3_21rocsparse_index_base_b, .Lfunc_end63-_ZN9rocsparseL19gebsrmvn_2xn_kernelILj128ELj14ELj32EfEEvi20rocsparse_direction_NS_24const_host_device_scalarIT2_EEPKiS6_PKS3_S8_S4_PS3_21rocsparse_index_base_b
                                        ; -- End function
	.section	.AMDGPU.csdata,"",@progbits
; Kernel info:
; codeLenInByte = 2148
; NumSgprs: 26
; NumVgprs: 64
; NumAgprs: 0
; TotalNumVgprs: 64
; ScratchSize: 0
; MemoryBound: 0
; FloatMode: 240
; IeeeMode: 1
; LDSByteSize: 0 bytes/workgroup (compile time only)
; SGPRBlocks: 3
; VGPRBlocks: 7
; NumSGPRsForWavesPerEU: 26
; NumVGPRsForWavesPerEU: 64
; AccumOffset: 64
; Occupancy: 8
; WaveLimiterHint : 1
; COMPUTE_PGM_RSRC2:SCRATCH_EN: 0
; COMPUTE_PGM_RSRC2:USER_SGPR: 2
; COMPUTE_PGM_RSRC2:TRAP_HANDLER: 0
; COMPUTE_PGM_RSRC2:TGID_X_EN: 1
; COMPUTE_PGM_RSRC2:TGID_Y_EN: 0
; COMPUTE_PGM_RSRC2:TGID_Z_EN: 0
; COMPUTE_PGM_RSRC2:TIDIG_COMP_CNT: 0
; COMPUTE_PGM_RSRC3_GFX90A:ACCUM_OFFSET: 15
; COMPUTE_PGM_RSRC3_GFX90A:TG_SPLIT: 0
	.section	.text._ZN9rocsparseL19gebsrmvn_2xn_kernelILj128ELj14ELj64EfEEvi20rocsparse_direction_NS_24const_host_device_scalarIT2_EEPKiS6_PKS3_S8_S4_PS3_21rocsparse_index_base_b,"axG",@progbits,_ZN9rocsparseL19gebsrmvn_2xn_kernelILj128ELj14ELj64EfEEvi20rocsparse_direction_NS_24const_host_device_scalarIT2_EEPKiS6_PKS3_S8_S4_PS3_21rocsparse_index_base_b,comdat
	.globl	_ZN9rocsparseL19gebsrmvn_2xn_kernelILj128ELj14ELj64EfEEvi20rocsparse_direction_NS_24const_host_device_scalarIT2_EEPKiS6_PKS3_S8_S4_PS3_21rocsparse_index_base_b ; -- Begin function _ZN9rocsparseL19gebsrmvn_2xn_kernelILj128ELj14ELj64EfEEvi20rocsparse_direction_NS_24const_host_device_scalarIT2_EEPKiS6_PKS3_S8_S4_PS3_21rocsparse_index_base_b
	.p2align	8
	.type	_ZN9rocsparseL19gebsrmvn_2xn_kernelILj128ELj14ELj64EfEEvi20rocsparse_direction_NS_24const_host_device_scalarIT2_EEPKiS6_PKS3_S8_S4_PS3_21rocsparse_index_base_b,@function
_ZN9rocsparseL19gebsrmvn_2xn_kernelILj128ELj14ELj64EfEEvi20rocsparse_direction_NS_24const_host_device_scalarIT2_EEPKiS6_PKS3_S8_S4_PS3_21rocsparse_index_base_b: ; @_ZN9rocsparseL19gebsrmvn_2xn_kernelILj128ELj14ELj64EfEEvi20rocsparse_direction_NS_24const_host_device_scalarIT2_EEPKiS6_PKS3_S8_S4_PS3_21rocsparse_index_base_b
; %bb.0:
	s_load_dwordx2 s[16:17], s[0:1], 0x40
	s_load_dwordx2 s[14:15], s[0:1], 0x8
	s_load_dwordx2 s[12:13], s[0:1], 0x30
	s_waitcnt lgkmcnt(0)
	s_bitcmp1_b32 s17, 0
	s_cselect_b64 s[6:7], -1, 0
	s_xor_b64 s[4:5], s[6:7], -1
	s_and_b64 vcc, exec, s[6:7]
	s_cbranch_vccnz .LBB64_2
; %bb.1:
	s_load_dword s14, s[14:15], 0x0
.LBB64_2:
	s_andn2_b64 vcc, exec, s[4:5]
	s_cbranch_vccnz .LBB64_4
; %bb.3:
	s_load_dword s12, s[12:13], 0x0
.LBB64_4:
	s_waitcnt lgkmcnt(0)
	v_cmp_eq_f32_e64 s[4:5], s14, 0
	v_cmp_eq_f32_e64 s[6:7], s12, 1.0
	s_and_b64 s[4:5], s[4:5], s[6:7]
	s_and_b64 vcc, exec, s[4:5]
	s_cbranch_vccnz .LBB64_22
; %bb.5:
	s_load_dwordx2 s[18:19], s[0:1], 0x0
	v_lshrrev_b32_e32 v1, 6, v0
	v_lshl_or_b32 v2, s2, 1, v1
	s_waitcnt lgkmcnt(0)
	v_cmp_gt_i32_e32 vcc, s18, v2
	s_and_saveexec_b64 s[2:3], vcc
	s_cbranch_execz .LBB64_22
; %bb.6:
	s_load_dwordx8 s[4:11], s[0:1], 0x10
	v_ashrrev_i32_e32 v3, 31, v2
	s_cmp_lg_u32 s19, 0
	s_waitcnt lgkmcnt(0)
	v_lshl_add_u64 v[4:5], v[2:3], 2, s[4:5]
	global_load_dwordx2 v[4:5], v[4:5], off
	v_and_b32_e32 v3, 63, v0
	s_waitcnt vmcnt(0)
	v_subrev_u32_e32 v0, s16, v4
	v_subrev_u32_e32 v12, s16, v5
	v_add_u32_e32 v0, v0, v3
	v_cmp_lt_i32_e64 s[2:3], v0, v12
	s_cbranch_scc0 .LBB64_12
; %bb.7:
	v_mov_b32_e32 v5, 0
	v_mov_b32_e32 v4, v5
	s_and_saveexec_b64 s[4:5], s[2:3]
	s_cbranch_execz .LBB64_11
; %bb.8:
	v_mad_u64_u32 v[6:7], s[18:19], v0, 28, 26
	v_mov_b32_e32 v9, 0
	s_mov_b64 s[18:19], 0
	v_mov_b32_e32 v10, v0
	v_mov_b32_e32 v4, v9
	;; [unrolled: 1-line block ×3, first 2 shown]
.LBB64_9:                               ; =>This Inner Loop Header: Depth=1
	v_ashrrev_i32_e32 v11, 31, v10
	v_lshl_add_u64 v[14:15], v[10:11], 2, s[6:7]
	global_load_dword v1, v[14:15], off
	v_subrev_u32_e32 v8, 26, v6
	v_lshl_add_u64 v[14:15], v[8:9], 2, s[8:9]
	v_subrev_u32_e32 v8, 22, v6
	v_lshl_add_u64 v[22:23], v[8:9], 2, s[8:9]
	v_mov_b32_e32 v19, v9
	global_load_dwordx4 v[14:17], v[14:15], off
	v_mov_b32_e32 v7, v9
	global_load_dwordx2 v[22:23], v[22:23], off
	v_lshl_add_u64 v[20:21], v[6:7], 2, s[8:9]
	v_add_u32_e32 v10, 64, v10
	v_cmp_ge_i32_e32 vcc, v10, v12
	s_or_b64 s[18:19], vcc, s[18:19]
	s_waitcnt vmcnt(2)
	v_subrev_u32_e32 v1, s16, v1
	v_mul_lo_u32 v18, v1, 14
	v_add_u32_e32 v8, 2, v18
	v_lshl_add_u64 v[26:27], v[8:9], 2, s[10:11]
	v_subrev_u32_e32 v8, 20, v6
	v_lshl_add_u64 v[28:29], v[8:9], 2, s[8:9]
	v_subrev_u32_e32 v8, 18, v6
	v_lshl_add_u64 v[24:25], v[18:19], 2, s[10:11]
	v_lshl_add_u64 v[30:31], v[8:9], 2, s[8:9]
	v_add_u32_e32 v8, 4, v18
	global_load_dwordx2 v[24:25], v[24:25], off
	s_nop 0
	global_load_dwordx2 v[26:27], v[26:27], off
	s_nop 0
	global_load_dwordx2 v[32:33], v[28:29], off
	global_load_dwordx2 v[34:35], v[30:31], off
	v_lshl_add_u64 v[28:29], v[8:9], 2, s[10:11]
	v_add_u32_e32 v8, -16, v6
	v_lshl_add_u64 v[30:31], v[8:9], 2, s[8:9]
	v_add_u32_e32 v8, -14, v6
	v_lshl_add_u64 v[36:37], v[8:9], 2, s[8:9]
	v_add_u32_e32 v8, 6, v18
	global_load_dwordx2 v[28:29], v[28:29], off
	s_nop 0
	global_load_dwordx2 v[38:39], v[30:31], off
	global_load_dwordx2 v[40:41], v[36:37], off
	v_lshl_add_u64 v[30:31], v[8:9], 2, s[10:11]
	v_add_u32_e32 v8, -12, v6
	v_lshl_add_u64 v[36:37], v[8:9], 2, s[8:9]
	v_add_u32_e32 v8, -10, v6
	v_lshl_add_u64 v[42:43], v[8:9], 2, s[8:9]
	v_add_u32_e32 v8, 8, v18
	global_load_dwordx2 v[30:31], v[30:31], off
	s_nop 0
	global_load_dwordx2 v[44:45], v[36:37], off
	global_load_dwordx2 v[46:47], v[42:43], off
	v_lshl_add_u64 v[36:37], v[8:9], 2, s[10:11]
	v_add_u32_e32 v8, -8, v6
	v_lshl_add_u64 v[42:43], v[8:9], 2, s[8:9]
	v_add_u32_e32 v8, -6, v6
	global_load_dwordx2 v[36:37], v[36:37], off
	v_lshl_add_u64 v[48:49], v[8:9], 2, s[8:9]
	v_add_u32_e32 v8, 10, v18
	global_load_dwordx2 v[50:51], v[42:43], off
	global_load_dwordx2 v[52:53], v[48:49], off
	v_lshl_add_u64 v[42:43], v[8:9], 2, s[10:11]
	v_add_u32_e32 v8, -4, v6
	global_load_dwordx2 v[42:43], v[42:43], off
	v_lshl_add_u64 v[48:49], v[8:9], 2, s[8:9]
	v_add_u32_e32 v8, -2, v6
	v_lshl_add_u64 v[54:55], v[8:9], 2, s[8:9]
	v_add_u32_e32 v8, 12, v18
	global_load_dwordx2 v[18:19], v[48:49], off
	global_load_dwordx2 v[56:57], v[54:55], off
	v_lshl_add_u64 v[48:49], v[8:9], 2, s[10:11]
	global_load_dwordx2 v[54:55], v[48:49], off
	global_load_dwordx2 v[58:59], v[20:21], off
	v_add_u32_e32 v6, 0x700, v6
	s_waitcnt vmcnt(17)
	v_pk_fma_f32 v[4:5], v[14:15], v[24:25], v[4:5] op_sel_hi:[1,0,1]
	s_nop 0
	v_pk_fma_f32 v[4:5], v[16:17], v[24:25], v[4:5] op_sel:[0,1,0]
	s_waitcnt vmcnt(16)
	v_pk_fma_f32 v[4:5], v[22:23], v[26:27], v[4:5] op_sel_hi:[1,0,1]
	s_waitcnt vmcnt(15)
	v_pk_fma_f32 v[4:5], v[32:33], v[26:27], v[4:5] op_sel:[0,1,0]
	s_waitcnt vmcnt(13)
	v_pk_fma_f32 v[4:5], v[34:35], v[28:29], v[4:5] op_sel_hi:[1,0,1]
	s_waitcnt vmcnt(12)
	;; [unrolled: 4-line block ×6, first 2 shown]
	v_pk_fma_f32 v[4:5], v[58:59], v[54:55], v[4:5] op_sel:[0,1,0]
	s_andn2_b64 exec, exec, s[18:19]
	s_cbranch_execnz .LBB64_9
; %bb.10:
	s_or_b64 exec, exec, s[18:19]
.LBB64_11:
	s_or_b64 exec, exec, s[4:5]
	s_cbranch_execz .LBB64_13
	s_branch .LBB64_18
.LBB64_12:
                                        ; implicit-def: $vgpr5
.LBB64_13:
	v_mov_b32_e32 v5, 0
	v_mov_b32_e32 v4, v5
	s_and_saveexec_b64 s[4:5], s[2:3]
	s_cbranch_execz .LBB64_17
; %bb.14:
	v_mad_u64_u32 v[6:7], s[2:3], v0, 28, 27
	v_mov_b32_e32 v9, 0
	s_mov_b64 s[2:3], 0
	v_mov_b32_e32 v4, v9
	v_mov_b32_e32 v5, v9
.LBB64_15:                              ; =>This Inner Loop Header: Depth=1
	v_ashrrev_i32_e32 v1, 31, v0
	v_lshl_add_u64 v[10:11], v[0:1], 2, s[6:7]
	global_load_dword v1, v[10:11], off
	v_subrev_u32_e32 v8, 27, v6
	v_add_u32_e32 v14, -13, v6
	v_mov_b32_e32 v15, v9
	v_lshl_add_u64 v[16:17], v[8:9], 2, s[8:9]
	v_add_u32_e32 v8, -12, v6
	v_lshl_add_u64 v[18:19], v[14:15], 2, s[8:9]
	v_lshl_add_u64 v[22:23], v[8:9], 2, s[8:9]
	global_load_dwordx4 v[14:17], v[16:17], off
	s_nop 0
	global_load_dword v25, v[18:19], off
	global_load_dword v27, v[22:23], off
	v_mov_b32_e32 v11, v9
	v_mov_b32_e32 v7, v9
	v_lshl_add_u64 v[20:21], v[6:7], 2, s[8:9]
	v_add_u32_e32 v0, 64, v0
	v_cmp_ge_i32_e32 vcc, v0, v12
	s_or_b64 s[2:3], vcc, s[2:3]
	s_waitcnt vmcnt(3)
	v_subrev_u32_e32 v1, s16, v1
	v_mul_lo_u32 v10, v1, 14
	v_add_u32_e32 v8, 2, v10
	v_lshl_add_u64 v[22:23], v[8:9], 2, s[10:11]
	v_add_u32_e32 v8, -11, v6
	v_lshl_add_u64 v[28:29], v[8:9], 2, s[8:9]
	v_add_u32_e32 v8, -10, v6
	v_lshl_add_u64 v[30:31], v[8:9], 2, s[8:9]
	v_subrev_u32_e32 v8, 23, v6
	v_lshl_add_u64 v[18:19], v[10:11], 2, s[10:11]
	global_load_dword v11, v[28:29], off
	v_lshl_add_u64 v[28:29], v[8:9], 2, s[8:9]
	v_add_u32_e32 v8, 4, v10
	global_load_dwordx2 v[18:19], v[18:19], off
	s_waitcnt vmcnt(4)
	v_mov_b32_e32 v24, v14
	global_load_dwordx2 v[22:23], v[22:23], off
	s_nop 0
	global_load_dword v33, v[30:31], off
	global_load_dword v34, v[28:29], off
	v_lshl_add_u64 v[28:29], v[8:9], 2, s[10:11]
	v_add_u32_e32 v8, -9, v6
	v_lshl_add_u64 v[30:31], v[8:9], 2, s[8:9]
	v_subrev_u32_e32 v8, 22, v6
	v_lshl_add_u64 v[36:37], v[8:9], 2, s[8:9]
	v_add_u32_e32 v8, -8, v6
	global_load_dword v35, v[30:31], off
	v_mov_b32_e32 v26, v15
	global_load_dword v36, v[36:37], off
	v_lshl_add_u64 v[30:31], v[8:9], 2, s[8:9]
	v_subrev_u32_e32 v8, 21, v6
	v_lshl_add_u64 v[38:39], v[8:9], 2, s[8:9]
	v_add_u32_e32 v8, 6, v10
	global_load_dwordx2 v[28:29], v[28:29], off
	s_nop 0
	global_load_dword v37, v[30:31], off
	global_load_dword v40, v[38:39], off
	v_lshl_add_u64 v[30:31], v[8:9], 2, s[10:11]
	v_add_u32_e32 v8, -7, v6
	v_lshl_add_u64 v[38:39], v[8:9], 2, s[8:9]
	v_subrev_u32_e32 v8, 20, v6
	v_lshl_add_u64 v[42:43], v[8:9], 2, s[8:9]
	v_add_u32_e32 v8, -6, v6
	global_load_dword v41, v[38:39], off
	v_mov_b32_e32 v32, v17
	global_load_dword v42, v[42:43], off
	v_lshl_add_u64 v[38:39], v[8:9], 2, s[8:9]
	v_subrev_u32_e32 v8, 19, v6
	v_lshl_add_u64 v[44:45], v[8:9], 2, s[8:9]
	v_add_u32_e32 v8, 8, v10
	global_load_dwordx2 v[30:31], v[30:31], off
	s_nop 0
	global_load_dword v43, v[38:39], off
	global_load_dword v46, v[44:45], off
	v_lshl_add_u64 v[38:39], v[8:9], 2, s[10:11]
	v_add_u32_e32 v8, -5, v6
	v_lshl_add_u64 v[44:45], v[8:9], 2, s[8:9]
	v_subrev_u32_e32 v8, 18, v6
	v_lshl_add_u64 v[48:49], v[8:9], 2, s[8:9]
	v_add_u32_e32 v8, -4, v6
	global_load_dword v47, v[44:45], off
	s_waitcnt vmcnt(14)
	v_pk_fma_f32 v[4:5], v[24:25], v[18:19], v[4:5] op_sel_hi:[1,0,1]
	global_load_dword v48, v[48:49], off
	v_lshl_add_u64 v[44:45], v[8:9], 2, s[8:9]
	v_subrev_u32_e32 v8, 17, v6
	v_lshl_add_u64 v[50:51], v[8:9], 2, s[8:9]
	v_add_u32_e32 v8, 10, v10
	global_load_dwordx2 v[38:39], v[38:39], off
	s_nop 0
	global_load_dword v49, v[44:45], off
	global_load_dword v52, v[50:51], off
	v_lshl_add_u64 v[44:45], v[8:9], 2, s[10:11]
	v_add_u32_e32 v8, -3, v6
	v_lshl_add_u64 v[50:51], v[8:9], 2, s[8:9]
	v_add_u32_e32 v8, -16, v6
	;; [unrolled: 2-line block ×3, first 2 shown]
	global_load_dword v53, v[50:51], off
	v_pk_fma_f32 v[4:5], v[26:27], v[18:19], v[4:5] op_sel:[0,1,0]
	global_load_dword v54, v[54:55], off
	v_lshl_add_u64 v[50:51], v[8:9], 2, s[8:9]
	v_add_u32_e32 v8, -15, v6
	global_load_dwordx2 v[44:45], v[44:45], off
	v_lshl_add_u64 v[56:57], v[8:9], 2, s[8:9]
	v_add_u32_e32 v8, 12, v10
	global_load_dword v55, v[50:51], off
	global_load_dword v58, v[56:57], off
	v_lshl_add_u64 v[50:51], v[8:9], 2, s[10:11]
	v_add_u32_e32 v8, -1, v6
	global_load_dwordx2 v[50:51], v[50:51], off
	v_lshl_add_u64 v[56:57], v[8:9], 2, s[8:9]
	v_add_u32_e32 v8, -14, v6
	v_lshl_add_u64 v[60:61], v[8:9], 2, s[8:9]
	global_load_dword v59, v[56:57], off
	global_load_dword v62, v[60:61], off
	;; [unrolled: 1-line block ×3, first 2 shown]
	v_mov_b32_e32 v10, v16
	s_waitcnt vmcnt(26)
	v_pk_fma_f32 v[4:5], v[10:11], v[22:23], v[4:5] op_sel_hi:[1,0,1]
	v_add_u32_e32 v6, 0x700, v6
	s_waitcnt vmcnt(25)
	v_pk_fma_f32 v[4:5], v[32:33], v[22:23], v[4:5] op_sel:[0,1,0]
	s_waitcnt vmcnt(21)
	v_pk_fma_f32 v[4:5], v[34:35], v[28:29], v[4:5] op_sel_hi:[1,0,1]
	s_waitcnt vmcnt(20)
	v_pk_fma_f32 v[4:5], v[36:37], v[28:29], v[4:5] op_sel:[0,1,0]
	s_waitcnt vmcnt(16)
	v_pk_fma_f32 v[4:5], v[40:41], v[30:31], v[4:5] op_sel_hi:[1,0,1]
	;; [unrolled: 4-line block ×5, first 2 shown]
	s_waitcnt vmcnt(0)
	v_pk_fma_f32 v[4:5], v[62:63], v[50:51], v[4:5] op_sel:[0,1,0]
	s_andn2_b64 exec, exec, s[2:3]
	s_cbranch_execnz .LBB64_15
; %bb.16:
	s_or_b64 exec, exec, s[2:3]
.LBB64_17:
	s_or_b64 exec, exec, s[4:5]
.LBB64_18:
	v_mov_b32_dpp v0, v4 row_shr:1 row_mask:0xf bank_mask:0xf
	v_mov_b32_dpp v1, v5 row_shr:1 row_mask:0xf bank_mask:0xf
	v_pk_add_f32 v[0:1], v[4:5], v[0:1]
	v_cmp_eq_u32_e32 vcc, 63, v3
	s_nop 0
	v_mov_b32_dpp v4, v0 row_shr:2 row_mask:0xf bank_mask:0xf
	v_mov_b32_dpp v5, v1 row_shr:2 row_mask:0xf bank_mask:0xf
	v_pk_add_f32 v[0:1], v[0:1], v[4:5]
	s_nop 1
	v_mov_b32_dpp v4, v0 row_shr:4 row_mask:0xf bank_mask:0xe
	v_mov_b32_dpp v5, v1 row_shr:4 row_mask:0xf bank_mask:0xe
	v_pk_add_f32 v[0:1], v[0:1], v[4:5]
	s_nop 1
	v_mov_b32_dpp v4, v0 row_shr:8 row_mask:0xf bank_mask:0xc
	v_mov_b32_dpp v5, v1 row_shr:8 row_mask:0xf bank_mask:0xc
	v_pk_add_f32 v[0:1], v[0:1], v[4:5]
	s_nop 1
	v_mov_b32_dpp v4, v0 row_bcast:15 row_mask:0xa bank_mask:0xf
	v_mov_b32_dpp v5, v1 row_bcast:15 row_mask:0xa bank_mask:0xf
	v_pk_add_f32 v[0:1], v[0:1], v[4:5]
	s_nop 1
	v_mov_b32_dpp v4, v0 row_bcast:31 row_mask:0xc bank_mask:0xf
	v_mov_b32_dpp v5, v1 row_bcast:31 row_mask:0xc bank_mask:0xf
	s_and_b64 exec, exec, vcc
	s_cbranch_execz .LBB64_22
; %bb.19:
	s_load_dwordx2 s[0:1], s[0:1], 0x38
	v_cmp_eq_f32_e64 s[2:3], s12, 0
	v_pk_add_f32 v[0:1], v[0:1], v[4:5]
	s_and_b64 vcc, exec, s[2:3]
	v_lshlrev_b32_e32 v2, 1, v2
	s_cbranch_vccz .LBB64_23
; %bb.20:
	v_ashrrev_i32_e32 v3, 31, v2
	s_waitcnt lgkmcnt(0)
	v_lshl_add_u64 v[4:5], v[2:3], 2, s[0:1]
	v_pk_mul_f32 v[6:7], s[14:15], v[0:1] op_sel_hi:[0,1]
	global_store_dwordx2 v[4:5], v[6:7], off
	s_cbranch_execnz .LBB64_22
.LBB64_21:
	v_ashrrev_i32_e32 v3, 31, v2
	s_waitcnt lgkmcnt(0)
	v_lshl_add_u64 v[2:3], v[2:3], 2, s[0:1]
	global_load_dwordx2 v[4:5], v[2:3], off
	v_pk_mul_f32 v[0:1], s[14:15], v[0:1] op_sel_hi:[0,1]
	s_waitcnt vmcnt(0)
	v_pk_fma_f32 v[0:1], s[12:13], v[4:5], v[0:1] op_sel_hi:[0,1,1]
	global_store_dwordx2 v[2:3], v[0:1], off
.LBB64_22:
	s_endpgm
.LBB64_23:
	s_branch .LBB64_21
	.section	.rodata,"a",@progbits
	.p2align	6, 0x0
	.amdhsa_kernel _ZN9rocsparseL19gebsrmvn_2xn_kernelILj128ELj14ELj64EfEEvi20rocsparse_direction_NS_24const_host_device_scalarIT2_EEPKiS6_PKS3_S8_S4_PS3_21rocsparse_index_base_b
		.amdhsa_group_segment_fixed_size 0
		.amdhsa_private_segment_fixed_size 0
		.amdhsa_kernarg_size 72
		.amdhsa_user_sgpr_count 2
		.amdhsa_user_sgpr_dispatch_ptr 0
		.amdhsa_user_sgpr_queue_ptr 0
		.amdhsa_user_sgpr_kernarg_segment_ptr 1
		.amdhsa_user_sgpr_dispatch_id 0
		.amdhsa_user_sgpr_kernarg_preload_length 0
		.amdhsa_user_sgpr_kernarg_preload_offset 0
		.amdhsa_user_sgpr_private_segment_size 0
		.amdhsa_uses_dynamic_stack 0
		.amdhsa_enable_private_segment 0
		.amdhsa_system_sgpr_workgroup_id_x 1
		.amdhsa_system_sgpr_workgroup_id_y 0
		.amdhsa_system_sgpr_workgroup_id_z 0
		.amdhsa_system_sgpr_workgroup_info 0
		.amdhsa_system_vgpr_workitem_id 0
		.amdhsa_next_free_vgpr 64
		.amdhsa_next_free_sgpr 20
		.amdhsa_accum_offset 64
		.amdhsa_reserve_vcc 1
		.amdhsa_float_round_mode_32 0
		.amdhsa_float_round_mode_16_64 0
		.amdhsa_float_denorm_mode_32 3
		.amdhsa_float_denorm_mode_16_64 3
		.amdhsa_dx10_clamp 1
		.amdhsa_ieee_mode 1
		.amdhsa_fp16_overflow 0
		.amdhsa_tg_split 0
		.amdhsa_exception_fp_ieee_invalid_op 0
		.amdhsa_exception_fp_denorm_src 0
		.amdhsa_exception_fp_ieee_div_zero 0
		.amdhsa_exception_fp_ieee_overflow 0
		.amdhsa_exception_fp_ieee_underflow 0
		.amdhsa_exception_fp_ieee_inexact 0
		.amdhsa_exception_int_div_zero 0
	.end_amdhsa_kernel
	.section	.text._ZN9rocsparseL19gebsrmvn_2xn_kernelILj128ELj14ELj64EfEEvi20rocsparse_direction_NS_24const_host_device_scalarIT2_EEPKiS6_PKS3_S8_S4_PS3_21rocsparse_index_base_b,"axG",@progbits,_ZN9rocsparseL19gebsrmvn_2xn_kernelILj128ELj14ELj64EfEEvi20rocsparse_direction_NS_24const_host_device_scalarIT2_EEPKiS6_PKS3_S8_S4_PS3_21rocsparse_index_base_b,comdat
.Lfunc_end64:
	.size	_ZN9rocsparseL19gebsrmvn_2xn_kernelILj128ELj14ELj64EfEEvi20rocsparse_direction_NS_24const_host_device_scalarIT2_EEPKiS6_PKS3_S8_S4_PS3_21rocsparse_index_base_b, .Lfunc_end64-_ZN9rocsparseL19gebsrmvn_2xn_kernelILj128ELj14ELj64EfEEvi20rocsparse_direction_NS_24const_host_device_scalarIT2_EEPKiS6_PKS3_S8_S4_PS3_21rocsparse_index_base_b
                                        ; -- End function
	.section	.AMDGPU.csdata,"",@progbits
; Kernel info:
; codeLenInByte = 2176
; NumSgprs: 26
; NumVgprs: 64
; NumAgprs: 0
; TotalNumVgprs: 64
; ScratchSize: 0
; MemoryBound: 0
; FloatMode: 240
; IeeeMode: 1
; LDSByteSize: 0 bytes/workgroup (compile time only)
; SGPRBlocks: 3
; VGPRBlocks: 7
; NumSGPRsForWavesPerEU: 26
; NumVGPRsForWavesPerEU: 64
; AccumOffset: 64
; Occupancy: 8
; WaveLimiterHint : 1
; COMPUTE_PGM_RSRC2:SCRATCH_EN: 0
; COMPUTE_PGM_RSRC2:USER_SGPR: 2
; COMPUTE_PGM_RSRC2:TRAP_HANDLER: 0
; COMPUTE_PGM_RSRC2:TGID_X_EN: 1
; COMPUTE_PGM_RSRC2:TGID_Y_EN: 0
; COMPUTE_PGM_RSRC2:TGID_Z_EN: 0
; COMPUTE_PGM_RSRC2:TIDIG_COMP_CNT: 0
; COMPUTE_PGM_RSRC3_GFX90A:ACCUM_OFFSET: 15
; COMPUTE_PGM_RSRC3_GFX90A:TG_SPLIT: 0
	.section	.text._ZN9rocsparseL19gebsrmvn_2xn_kernelILj128ELj15ELj4EfEEvi20rocsparse_direction_NS_24const_host_device_scalarIT2_EEPKiS6_PKS3_S8_S4_PS3_21rocsparse_index_base_b,"axG",@progbits,_ZN9rocsparseL19gebsrmvn_2xn_kernelILj128ELj15ELj4EfEEvi20rocsparse_direction_NS_24const_host_device_scalarIT2_EEPKiS6_PKS3_S8_S4_PS3_21rocsparse_index_base_b,comdat
	.globl	_ZN9rocsparseL19gebsrmvn_2xn_kernelILj128ELj15ELj4EfEEvi20rocsparse_direction_NS_24const_host_device_scalarIT2_EEPKiS6_PKS3_S8_S4_PS3_21rocsparse_index_base_b ; -- Begin function _ZN9rocsparseL19gebsrmvn_2xn_kernelILj128ELj15ELj4EfEEvi20rocsparse_direction_NS_24const_host_device_scalarIT2_EEPKiS6_PKS3_S8_S4_PS3_21rocsparse_index_base_b
	.p2align	8
	.type	_ZN9rocsparseL19gebsrmvn_2xn_kernelILj128ELj15ELj4EfEEvi20rocsparse_direction_NS_24const_host_device_scalarIT2_EEPKiS6_PKS3_S8_S4_PS3_21rocsparse_index_base_b,@function
_ZN9rocsparseL19gebsrmvn_2xn_kernelILj128ELj15ELj4EfEEvi20rocsparse_direction_NS_24const_host_device_scalarIT2_EEPKiS6_PKS3_S8_S4_PS3_21rocsparse_index_base_b: ; @_ZN9rocsparseL19gebsrmvn_2xn_kernelILj128ELj15ELj4EfEEvi20rocsparse_direction_NS_24const_host_device_scalarIT2_EEPKiS6_PKS3_S8_S4_PS3_21rocsparse_index_base_b
; %bb.0:
	s_load_dwordx2 s[16:17], s[0:1], 0x40
	s_load_dwordx2 s[14:15], s[0:1], 0x8
	;; [unrolled: 1-line block ×3, first 2 shown]
	s_waitcnt lgkmcnt(0)
	s_bitcmp1_b32 s17, 0
	s_cselect_b64 s[6:7], -1, 0
	s_xor_b64 s[4:5], s[6:7], -1
	s_and_b64 vcc, exec, s[6:7]
	s_cbranch_vccnz .LBB65_2
; %bb.1:
	s_load_dword s14, s[14:15], 0x0
.LBB65_2:
	s_andn2_b64 vcc, exec, s[4:5]
	s_cbranch_vccnz .LBB65_4
; %bb.3:
	s_load_dword s12, s[12:13], 0x0
.LBB65_4:
	s_waitcnt lgkmcnt(0)
	v_cmp_eq_f32_e64 s[4:5], s14, 0
	v_cmp_eq_f32_e64 s[6:7], s12, 1.0
	s_and_b64 s[4:5], s[4:5], s[6:7]
	s_and_b64 vcc, exec, s[4:5]
	s_cbranch_vccnz .LBB65_22
; %bb.5:
	s_load_dwordx2 s[18:19], s[0:1], 0x0
	v_lshrrev_b32_e32 v1, 2, v0
	v_lshl_or_b32 v2, s2, 5, v1
	s_waitcnt lgkmcnt(0)
	v_cmp_gt_i32_e32 vcc, s18, v2
	s_and_saveexec_b64 s[2:3], vcc
	s_cbranch_execz .LBB65_22
; %bb.6:
	s_load_dwordx8 s[4:11], s[0:1], 0x10
	v_ashrrev_i32_e32 v3, 31, v2
	s_cmp_lg_u32 s19, 0
	s_waitcnt lgkmcnt(0)
	v_lshl_add_u64 v[4:5], v[2:3], 2, s[4:5]
	global_load_dwordx2 v[4:5], v[4:5], off
	v_and_b32_e32 v3, 3, v0
	s_waitcnt vmcnt(0)
	v_subrev_u32_e32 v0, s16, v4
	v_subrev_u32_e32 v16, s16, v5
	v_add_u32_e32 v0, v0, v3
	v_cmp_lt_i32_e64 s[2:3], v0, v16
	s_cbranch_scc0 .LBB65_12
; %bb.7:
	v_mov_b32_e32 v5, 0
	v_mov_b32_e32 v4, v5
	s_and_saveexec_b64 s[4:5], s[2:3]
	s_cbranch_execz .LBB65_11
; %bb.8:
	v_mad_u64_u32 v[6:7], s[18:19], v0, 30, 28
	v_mov_b32_e32 v9, 0
	s_mov_b64 s[18:19], 0
	v_mov_b32_e32 v10, v0
	v_mov_b32_e32 v4, v9
	;; [unrolled: 1-line block ×3, first 2 shown]
.LBB65_9:                               ; =>This Inner Loop Header: Depth=1
	v_ashrrev_i32_e32 v11, 31, v10
	v_subrev_u32_e32 v8, 28, v6
	v_lshl_add_u64 v[14:15], v[10:11], 2, s[6:7]
	v_lshl_add_u64 v[18:19], v[8:9], 2, s[8:9]
	global_load_dword v1, v[14:15], off
	global_load_dwordx2 v[20:21], v[18:19], off
	v_mov_b32_e32 v13, v9
	v_subrev_u32_e32 v8, 26, v6
	v_lshl_add_u64 v[14:15], v[8:9], 2, s[8:9]
	global_load_dwordx2 v[14:15], v[14:15], off
	v_mov_b32_e32 v7, v9
	v_add_u32_e32 v10, 4, v10
	v_cmp_ge_i32_e32 vcc, v10, v16
	s_or_b64 s[18:19], vcc, s[18:19]
	s_waitcnt vmcnt(2)
	v_subrev_u32_e32 v1, s16, v1
	v_mul_lo_u32 v12, v1, 15
	v_lshl_add_u64 v[18:19], v[12:13], 2, s[10:11]
	v_add_u32_e32 v8, 1, v12
	global_load_dword v18, v[18:19], off
	v_lshl_add_u64 v[22:23], v[8:9], 2, s[10:11]
	global_load_dword v22, v[22:23], off
	v_subrev_u32_e32 v8, 24, v6
	v_lshl_add_u64 v[24:25], v[8:9], 2, s[8:9]
	v_add_u32_e32 v8, 2, v12
	v_lshl_add_u64 v[26:27], v[8:9], 2, s[10:11]
	v_subrev_u32_e32 v8, 22, v6
	v_lshl_add_u64 v[28:29], v[8:9], 2, s[8:9]
	v_add_u32_e32 v8, 3, v12
	v_lshl_add_u64 v[30:31], v[8:9], 2, s[10:11]
	;; [unrolled: 4-line block ×4, first 2 shown]
	v_add_u32_e32 v8, -16, v6
	v_lshl_add_u64 v[40:41], v[8:9], 2, s[8:9]
	v_add_u32_e32 v8, 6, v12
	v_lshl_add_u64 v[42:43], v[8:9], 2, s[10:11]
	v_add_u32_e32 v8, -14, v6
	v_lshl_add_u64 v[44:45], v[8:9], 2, s[8:9]
	v_add_u32_e32 v8, 7, v12
	v_lshl_add_u64 v[46:47], v[8:9], 2, s[10:11]
	;; [unrolled: 4-line block ×6, first 2 shown]
	v_add_u32_e32 v8, -4, v6
	s_waitcnt vmcnt(1)
	v_pk_fma_f32 v[4:5], v[20:21], v[18:19], v[4:5] op_sel_hi:[1,0,1]
	v_lshl_add_u64 v[18:19], v[8:9], 2, s[8:9]
	v_add_u32_e32 v8, 12, v12
	v_lshl_add_u64 v[20:21], v[8:9], 2, s[10:11]
	v_add_u32_e32 v8, -2, v6
	s_waitcnt vmcnt(0)
	v_pk_fma_f32 v[4:5], v[14:15], v[22:23], v[4:5] op_sel_hi:[1,0,1]
	v_lshl_add_u64 v[14:15], v[8:9], 2, s[8:9]
	v_add_u32_e32 v8, 13, v12
	v_lshl_add_u64 v[22:23], v[8:9], 2, s[10:11]
	v_add_u32_e32 v8, 14, v12
	v_lshl_add_u64 v[12:13], v[6:7], 2, s[8:9]
	global_load_dwordx2 v[64:65], v[12:13], off
	global_load_dwordx2 v[66:67], v[24:25], off
	global_load_dword v68, v[26:27], off
	global_load_dwordx2 v[70:71], v[28:29], off
	global_load_dword v72, v[30:31], off
	;; [unrolled: 2-line block ×7, first 2 shown]
                                        ; kill: killed $vgpr50_vgpr51
                                        ; kill: killed $vgpr48_vgpr49
                                        ; kill: killed $vgpr46_vgpr47
                                        ; kill: killed $vgpr44_vgpr45
                                        ; kill: killed $vgpr42_vgpr43
                                        ; kill: killed $vgpr40_vgpr41
                                        ; kill: killed $vgpr12_vgpr13
                                        ; kill: killed $vgpr38_vgpr39
                                        ; kill: killed $vgpr24_vgpr25
                                        ; kill: killed $vgpr30_vgpr31
                                        ; kill: killed $vgpr36_vgpr37
                                        ; kill: killed $vgpr28_vgpr29
                                        ; kill: killed $vgpr34_vgpr35
                                        ; kill: killed $vgpr26_vgpr27
                                        ; kill: killed $vgpr32_vgpr33
	global_load_dwordx2 v[12:13], v[52:53], off
	global_load_dword v24, v[54:55], off
	global_load_dwordx2 v[26:27], v[56:57], off
	global_load_dword v28, v[58:59], off
	;; [unrolled: 2-line block ×5, first 2 shown]
	v_lshl_add_u64 v[14:15], v[8:9], 2, s[10:11]
	global_load_dword v8, v[14:15], off
	v_add_u32_e32 v6, 0x78, v6
	s_waitcnt vmcnt(23)
	v_pk_fma_f32 v[4:5], v[66:67], v[68:69], v[4:5] op_sel_hi:[1,0,1]
	s_waitcnt vmcnt(21)
	v_pk_fma_f32 v[4:5], v[70:71], v[72:73], v[4:5] op_sel_hi:[1,0,1]
	;; [unrolled: 2-line block ×13, first 2 shown]
	s_andn2_b64 exec, exec, s[18:19]
	s_cbranch_execnz .LBB65_9
; %bb.10:
	s_or_b64 exec, exec, s[18:19]
.LBB65_11:
	s_or_b64 exec, exec, s[4:5]
	s_cbranch_execz .LBB65_13
	s_branch .LBB65_18
.LBB65_12:
                                        ; implicit-def: $vgpr5
.LBB65_13:
	v_mov_b32_e32 v5, 0
	v_mov_b32_e32 v4, v5
	s_and_saveexec_b64 s[4:5], s[2:3]
	s_cbranch_execz .LBB65_17
; %bb.14:
	v_mad_u64_u32 v[6:7], s[2:3], v0, 30, 29
	v_mov_b32_e32 v9, 0
	s_mov_b64 s[2:3], 0
	v_mov_b32_e32 v4, v9
	v_mov_b32_e32 v5, v9
.LBB65_15:                              ; =>This Inner Loop Header: Depth=1
	v_ashrrev_i32_e32 v1, 31, v0
	v_subrev_u32_e32 v8, 29, v6
	v_add_u32_e32 v12, -14, v6
	v_mov_b32_e32 v13, v9
	v_lshl_add_u64 v[14:15], v[0:1], 2, s[6:7]
	v_lshl_add_u64 v[18:19], v[8:9], 2, s[8:9]
	;; [unrolled: 1-line block ×3, first 2 shown]
	global_load_dword v1, v[14:15], off
	global_load_dwordx2 v[22:23], v[18:19], off
	global_load_dword v13, v[20:21], off
	v_mov_b32_e32 v11, v9
	v_mov_b32_e32 v7, v9
	v_add_u32_e32 v0, 4, v0
	v_cmp_ge_i32_e32 vcc, v0, v16
	s_or_b64 s[2:3], vcc, s[2:3]
	s_waitcnt vmcnt(2)
	v_subrev_u32_e32 v1, s16, v1
	v_mul_lo_u32 v10, v1, 15
	v_lshl_add_u64 v[14:15], v[10:11], 2, s[10:11]
	global_load_dword v20, v[14:15], off
	v_add_u32_e32 v8, 1, v10
	v_lshl_add_u64 v[14:15], v[8:9], 2, s[10:11]
	v_add_u32_e32 v8, -13, v6
	s_waitcnt vmcnt(2)
	v_mov_b32_e32 v12, v22
	global_load_dword v22, v[14:15], off
	v_lshl_add_u64 v[14:15], v[8:9], 2, s[8:9]
	v_subrev_u32_e32 v8, 27, v6
	v_lshl_add_u64 v[24:25], v[8:9], 2, s[8:9]
	global_load_dword v19, v[14:15], off
	global_load_dword v26, v[24:25], off
	v_add_u32_e32 v8, 2, v10
	v_lshl_add_u64 v[24:25], v[8:9], 2, s[10:11]
	v_add_u32_e32 v8, -12, v6
	v_lshl_add_u64 v[28:29], v[8:9], 2, s[8:9]
	v_subrev_u32_e32 v8, 26, v6
	v_lshl_add_u64 v[30:31], v[8:9], 2, s[8:9]
	v_add_u32_e32 v8, 3, v10
	global_load_dword v27, v[28:29], off
	global_load_dword v14, v[30:31], off
	v_lshl_add_u64 v[28:29], v[8:9], 2, s[10:11]
	v_add_u32_e32 v8, -11, v6
	v_lshl_add_u64 v[30:31], v[8:9], 2, s[8:9]
	v_subrev_u32_e32 v8, 25, v6
	v_lshl_add_u64 v[32:33], v[8:9], 2, s[8:9]
	v_add_u32_e32 v8, 4, v10
	global_load_dword v15, v[30:31], off
	global_load_dword v34, v[32:33], off
	;; [unrolled: 8-line block ×9, first 2 shown]
	v_lshl_add_u64 v[56:57], v[8:9], 2, s[10:11]
	v_add_u32_e32 v8, -3, v6
	v_mov_b32_e32 v18, v23
	s_waitcnt vmcnt(21)
	v_pk_fma_f32 v[4:5], v[12:13], v[20:21], v[4:5] op_sel_hi:[1,0,1]
	v_lshl_add_u64 v[12:13], v[8:9], 2, s[8:9]
	v_subrev_u32_e32 v8, 17, v6
	v_lshl_add_u64 v[20:21], v[8:9], 2, s[8:9]
	v_add_u32_e32 v8, 12, v10
	global_load_dword v63, v[12:13], off
	global_load_dword v60, v[20:21], off
	v_lshl_add_u64 v[12:13], v[8:9], 2, s[10:11]
	v_add_u32_e32 v8, -2, v6
	s_waitcnt vmcnt(21)
	v_pk_fma_f32 v[4:5], v[18:19], v[22:23], v[4:5] op_sel_hi:[1,0,1]
	v_lshl_add_u64 v[18:19], v[8:9], 2, s[8:9]
	v_add_u32_e32 v8, -16, v6
	v_lshl_add_u64 v[20:21], v[8:9], 2, s[8:9]
	v_add_u32_e32 v8, 13, v10
	global_load_dword v61, v[18:19], off
	v_lshl_add_u64 v[18:19], v[8:9], 2, s[10:11]
	v_add_u32_e32 v8, -1, v6
	v_lshl_add_u64 v[22:23], v[8:9], 2, s[8:9]
	v_add_u32_e32 v8, -15, v6
	v_lshl_add_u64 v[64:65], v[8:9], 2, s[8:9]
	v_add_u32_e32 v8, 14, v10
	global_load_dword v10, v[20:21], off
	global_load_dword v11, v[22:23], off
	v_lshl_add_u64 v[20:21], v[6:7], 2, s[8:9]
	global_load_dword v23, v[20:21], off
	global_load_dword v22, v[64:65], off
	;; [unrolled: 1-line block ×14, first 2 shown]
	v_lshl_add_u64 v[12:13], v[8:9], 2, s[10:11]
	global_load_dword v8, v[12:13], off
	v_add_u32_e32 v6, 0x78, v6
	s_waitcnt vmcnt(12)
	v_pk_fma_f32 v[4:5], v[26:27], v[66:67], v[4:5] op_sel_hi:[1,0,1]
	s_waitcnt vmcnt(11)
	v_pk_fma_f32 v[4:5], v[14:15], v[68:69], v[4:5] op_sel_hi:[1,0,1]
	;; [unrolled: 2-line block ×13, first 2 shown]
	s_andn2_b64 exec, exec, s[2:3]
	s_cbranch_execnz .LBB65_15
; %bb.16:
	s_or_b64 exec, exec, s[2:3]
.LBB65_17:
	s_or_b64 exec, exec, s[4:5]
.LBB65_18:
	v_mov_b32_dpp v0, v4 row_shr:1 row_mask:0xf bank_mask:0xf
	v_mov_b32_dpp v1, v5 row_shr:1 row_mask:0xf bank_mask:0xf
	v_pk_add_f32 v[0:1], v[4:5], v[0:1]
	v_cmp_eq_u32_e32 vcc, 3, v3
	s_nop 0
	v_mov_b32_dpp v4, v0 row_shr:2 row_mask:0xf bank_mask:0xf
	v_mov_b32_dpp v5, v1 row_shr:2 row_mask:0xf bank_mask:0xf
	s_and_b64 exec, exec, vcc
	s_cbranch_execz .LBB65_22
; %bb.19:
	s_load_dwordx2 s[0:1], s[0:1], 0x38
	v_cmp_eq_f32_e64 s[2:3], s12, 0
	v_pk_add_f32 v[0:1], v[0:1], v[4:5]
	s_and_b64 vcc, exec, s[2:3]
	v_lshlrev_b32_e32 v2, 1, v2
	s_cbranch_vccz .LBB65_23
; %bb.20:
	v_ashrrev_i32_e32 v3, 31, v2
	s_waitcnt lgkmcnt(0)
	v_lshl_add_u64 v[4:5], v[2:3], 2, s[0:1]
	v_pk_mul_f32 v[6:7], s[14:15], v[0:1] op_sel_hi:[0,1]
	global_store_dwordx2 v[4:5], v[6:7], off
	s_cbranch_execnz .LBB65_22
.LBB65_21:
	v_ashrrev_i32_e32 v3, 31, v2
	s_waitcnt lgkmcnt(0)
	v_lshl_add_u64 v[2:3], v[2:3], 2, s[0:1]
	global_load_dwordx2 v[4:5], v[2:3], off
	v_pk_mul_f32 v[0:1], s[14:15], v[0:1] op_sel_hi:[0,1]
	s_waitcnt vmcnt(0)
	v_pk_fma_f32 v[0:1], s[12:13], v[4:5], v[0:1] op_sel_hi:[0,1,1]
	global_store_dwordx2 v[2:3], v[0:1], off
.LBB65_22:
	s_endpgm
.LBB65_23:
	s_branch .LBB65_21
	.section	.rodata,"a",@progbits
	.p2align	6, 0x0
	.amdhsa_kernel _ZN9rocsparseL19gebsrmvn_2xn_kernelILj128ELj15ELj4EfEEvi20rocsparse_direction_NS_24const_host_device_scalarIT2_EEPKiS6_PKS3_S8_S4_PS3_21rocsparse_index_base_b
		.amdhsa_group_segment_fixed_size 0
		.amdhsa_private_segment_fixed_size 0
		.amdhsa_kernarg_size 72
		.amdhsa_user_sgpr_count 2
		.amdhsa_user_sgpr_dispatch_ptr 0
		.amdhsa_user_sgpr_queue_ptr 0
		.amdhsa_user_sgpr_kernarg_segment_ptr 1
		.amdhsa_user_sgpr_dispatch_id 0
		.amdhsa_user_sgpr_kernarg_preload_length 0
		.amdhsa_user_sgpr_kernarg_preload_offset 0
		.amdhsa_user_sgpr_private_segment_size 0
		.amdhsa_uses_dynamic_stack 0
		.amdhsa_enable_private_segment 0
		.amdhsa_system_sgpr_workgroup_id_x 1
		.amdhsa_system_sgpr_workgroup_id_y 0
		.amdhsa_system_sgpr_workgroup_id_z 0
		.amdhsa_system_sgpr_workgroup_info 0
		.amdhsa_system_vgpr_workitem_id 0
		.amdhsa_next_free_vgpr 94
		.amdhsa_next_free_sgpr 20
		.amdhsa_accum_offset 96
		.amdhsa_reserve_vcc 1
		.amdhsa_float_round_mode_32 0
		.amdhsa_float_round_mode_16_64 0
		.amdhsa_float_denorm_mode_32 3
		.amdhsa_float_denorm_mode_16_64 3
		.amdhsa_dx10_clamp 1
		.amdhsa_ieee_mode 1
		.amdhsa_fp16_overflow 0
		.amdhsa_tg_split 0
		.amdhsa_exception_fp_ieee_invalid_op 0
		.amdhsa_exception_fp_denorm_src 0
		.amdhsa_exception_fp_ieee_div_zero 0
		.amdhsa_exception_fp_ieee_overflow 0
		.amdhsa_exception_fp_ieee_underflow 0
		.amdhsa_exception_fp_ieee_inexact 0
		.amdhsa_exception_int_div_zero 0
	.end_amdhsa_kernel
	.section	.text._ZN9rocsparseL19gebsrmvn_2xn_kernelILj128ELj15ELj4EfEEvi20rocsparse_direction_NS_24const_host_device_scalarIT2_EEPKiS6_PKS3_S8_S4_PS3_21rocsparse_index_base_b,"axG",@progbits,_ZN9rocsparseL19gebsrmvn_2xn_kernelILj128ELj15ELj4EfEEvi20rocsparse_direction_NS_24const_host_device_scalarIT2_EEPKiS6_PKS3_S8_S4_PS3_21rocsparse_index_base_b,comdat
.Lfunc_end65:
	.size	_ZN9rocsparseL19gebsrmvn_2xn_kernelILj128ELj15ELj4EfEEvi20rocsparse_direction_NS_24const_host_device_scalarIT2_EEPKiS6_PKS3_S8_S4_PS3_21rocsparse_index_base_b, .Lfunc_end65-_ZN9rocsparseL19gebsrmvn_2xn_kernelILj128ELj15ELj4EfEEvi20rocsparse_direction_NS_24const_host_device_scalarIT2_EEPKiS6_PKS3_S8_S4_PS3_21rocsparse_index_base_b
                                        ; -- End function
	.section	.AMDGPU.csdata,"",@progbits
; Kernel info:
; codeLenInByte = 2488
; NumSgprs: 26
; NumVgprs: 94
; NumAgprs: 0
; TotalNumVgprs: 94
; ScratchSize: 0
; MemoryBound: 0
; FloatMode: 240
; IeeeMode: 1
; LDSByteSize: 0 bytes/workgroup (compile time only)
; SGPRBlocks: 3
; VGPRBlocks: 11
; NumSGPRsForWavesPerEU: 26
; NumVGPRsForWavesPerEU: 94
; AccumOffset: 96
; Occupancy: 5
; WaveLimiterHint : 1
; COMPUTE_PGM_RSRC2:SCRATCH_EN: 0
; COMPUTE_PGM_RSRC2:USER_SGPR: 2
; COMPUTE_PGM_RSRC2:TRAP_HANDLER: 0
; COMPUTE_PGM_RSRC2:TGID_X_EN: 1
; COMPUTE_PGM_RSRC2:TGID_Y_EN: 0
; COMPUTE_PGM_RSRC2:TGID_Z_EN: 0
; COMPUTE_PGM_RSRC2:TIDIG_COMP_CNT: 0
; COMPUTE_PGM_RSRC3_GFX90A:ACCUM_OFFSET: 23
; COMPUTE_PGM_RSRC3_GFX90A:TG_SPLIT: 0
	.section	.text._ZN9rocsparseL19gebsrmvn_2xn_kernelILj128ELj15ELj8EfEEvi20rocsparse_direction_NS_24const_host_device_scalarIT2_EEPKiS6_PKS3_S8_S4_PS3_21rocsparse_index_base_b,"axG",@progbits,_ZN9rocsparseL19gebsrmvn_2xn_kernelILj128ELj15ELj8EfEEvi20rocsparse_direction_NS_24const_host_device_scalarIT2_EEPKiS6_PKS3_S8_S4_PS3_21rocsparse_index_base_b,comdat
	.globl	_ZN9rocsparseL19gebsrmvn_2xn_kernelILj128ELj15ELj8EfEEvi20rocsparse_direction_NS_24const_host_device_scalarIT2_EEPKiS6_PKS3_S8_S4_PS3_21rocsparse_index_base_b ; -- Begin function _ZN9rocsparseL19gebsrmvn_2xn_kernelILj128ELj15ELj8EfEEvi20rocsparse_direction_NS_24const_host_device_scalarIT2_EEPKiS6_PKS3_S8_S4_PS3_21rocsparse_index_base_b
	.p2align	8
	.type	_ZN9rocsparseL19gebsrmvn_2xn_kernelILj128ELj15ELj8EfEEvi20rocsparse_direction_NS_24const_host_device_scalarIT2_EEPKiS6_PKS3_S8_S4_PS3_21rocsparse_index_base_b,@function
_ZN9rocsparseL19gebsrmvn_2xn_kernelILj128ELj15ELj8EfEEvi20rocsparse_direction_NS_24const_host_device_scalarIT2_EEPKiS6_PKS3_S8_S4_PS3_21rocsparse_index_base_b: ; @_ZN9rocsparseL19gebsrmvn_2xn_kernelILj128ELj15ELj8EfEEvi20rocsparse_direction_NS_24const_host_device_scalarIT2_EEPKiS6_PKS3_S8_S4_PS3_21rocsparse_index_base_b
; %bb.0:
	s_load_dwordx2 s[16:17], s[0:1], 0x40
	s_load_dwordx2 s[14:15], s[0:1], 0x8
	;; [unrolled: 1-line block ×3, first 2 shown]
	s_waitcnt lgkmcnt(0)
	s_bitcmp1_b32 s17, 0
	s_cselect_b64 s[6:7], -1, 0
	s_xor_b64 s[4:5], s[6:7], -1
	s_and_b64 vcc, exec, s[6:7]
	s_cbranch_vccnz .LBB66_2
; %bb.1:
	s_load_dword s14, s[14:15], 0x0
.LBB66_2:
	s_andn2_b64 vcc, exec, s[4:5]
	s_cbranch_vccnz .LBB66_4
; %bb.3:
	s_load_dword s12, s[12:13], 0x0
.LBB66_4:
	s_waitcnt lgkmcnt(0)
	v_cmp_eq_f32_e64 s[4:5], s14, 0
	v_cmp_eq_f32_e64 s[6:7], s12, 1.0
	s_and_b64 s[4:5], s[4:5], s[6:7]
	s_and_b64 vcc, exec, s[4:5]
	s_cbranch_vccnz .LBB66_22
; %bb.5:
	s_load_dwordx2 s[18:19], s[0:1], 0x0
	v_lshrrev_b32_e32 v1, 3, v0
	v_lshl_or_b32 v2, s2, 4, v1
	s_waitcnt lgkmcnt(0)
	v_cmp_gt_i32_e32 vcc, s18, v2
	s_and_saveexec_b64 s[2:3], vcc
	s_cbranch_execz .LBB66_22
; %bb.6:
	s_load_dwordx8 s[4:11], s[0:1], 0x10
	v_ashrrev_i32_e32 v3, 31, v2
	s_cmp_lg_u32 s19, 0
	s_waitcnt lgkmcnt(0)
	v_lshl_add_u64 v[4:5], v[2:3], 2, s[4:5]
	global_load_dwordx2 v[4:5], v[4:5], off
	v_and_b32_e32 v3, 7, v0
	s_waitcnt vmcnt(0)
	v_subrev_u32_e32 v0, s16, v4
	v_subrev_u32_e32 v14, s16, v5
	v_add_u32_e32 v0, v0, v3
	v_cmp_lt_i32_e64 s[2:3], v0, v14
	s_cbranch_scc0 .LBB66_12
; %bb.7:
	v_mov_b32_e32 v5, 0
	v_mov_b32_e32 v4, v5
	s_and_saveexec_b64 s[4:5], s[2:3]
	s_cbranch_execz .LBB66_11
; %bb.8:
	v_mad_u64_u32 v[6:7], s[18:19], v0, 30, 28
	v_mov_b32_e32 v9, 0
	s_mov_b64 s[18:19], 0
	v_mov_b32_e32 v10, v0
	v_mov_b32_e32 v4, v9
	;; [unrolled: 1-line block ×3, first 2 shown]
.LBB66_9:                               ; =>This Inner Loop Header: Depth=1
	v_ashrrev_i32_e32 v11, 31, v10
	v_subrev_u32_e32 v8, 28, v6
	v_lshl_add_u64 v[16:17], v[10:11], 2, s[6:7]
	v_lshl_add_u64 v[18:19], v[8:9], 2, s[8:9]
	global_load_dword v1, v[16:17], off
	global_load_dwordx2 v[20:21], v[18:19], off
	v_mov_b32_e32 v13, v9
	v_subrev_u32_e32 v8, 26, v6
	v_lshl_add_u64 v[16:17], v[8:9], 2, s[8:9]
	global_load_dwordx2 v[16:17], v[16:17], off
	v_mov_b32_e32 v7, v9
	v_add_u32_e32 v10, 8, v10
	v_cmp_ge_i32_e32 vcc, v10, v14
	s_or_b64 s[18:19], vcc, s[18:19]
	s_waitcnt vmcnt(2)
	v_subrev_u32_e32 v1, s16, v1
	v_mul_lo_u32 v12, v1, 15
	v_lshl_add_u64 v[18:19], v[12:13], 2, s[10:11]
	v_add_u32_e32 v8, 1, v12
	global_load_dword v18, v[18:19], off
	v_lshl_add_u64 v[22:23], v[8:9], 2, s[10:11]
	global_load_dword v22, v[22:23], off
	v_subrev_u32_e32 v8, 24, v6
	v_lshl_add_u64 v[24:25], v[8:9], 2, s[8:9]
	v_add_u32_e32 v8, 2, v12
	v_lshl_add_u64 v[26:27], v[8:9], 2, s[10:11]
	v_subrev_u32_e32 v8, 22, v6
	v_lshl_add_u64 v[28:29], v[8:9], 2, s[8:9]
	v_add_u32_e32 v8, 3, v12
	v_lshl_add_u64 v[30:31], v[8:9], 2, s[10:11]
	;; [unrolled: 4-line block ×4, first 2 shown]
	v_add_u32_e32 v8, -16, v6
	v_lshl_add_u64 v[40:41], v[8:9], 2, s[8:9]
	v_add_u32_e32 v8, 6, v12
	v_lshl_add_u64 v[42:43], v[8:9], 2, s[10:11]
	v_add_u32_e32 v8, -14, v6
	v_lshl_add_u64 v[44:45], v[8:9], 2, s[8:9]
	v_add_u32_e32 v8, 7, v12
	v_lshl_add_u64 v[46:47], v[8:9], 2, s[10:11]
	;; [unrolled: 4-line block ×6, first 2 shown]
	v_add_u32_e32 v8, -4, v6
	s_waitcnt vmcnt(1)
	v_pk_fma_f32 v[4:5], v[20:21], v[18:19], v[4:5] op_sel_hi:[1,0,1]
	v_lshl_add_u64 v[18:19], v[8:9], 2, s[8:9]
	v_add_u32_e32 v8, 12, v12
	v_lshl_add_u64 v[20:21], v[8:9], 2, s[10:11]
	v_add_u32_e32 v8, -2, v6
	s_waitcnt vmcnt(0)
	v_pk_fma_f32 v[4:5], v[16:17], v[22:23], v[4:5] op_sel_hi:[1,0,1]
	v_lshl_add_u64 v[16:17], v[8:9], 2, s[8:9]
	v_add_u32_e32 v8, 13, v12
	v_lshl_add_u64 v[22:23], v[8:9], 2, s[10:11]
	v_add_u32_e32 v8, 14, v12
	v_lshl_add_u64 v[12:13], v[6:7], 2, s[8:9]
	global_load_dwordx2 v[64:65], v[12:13], off
	global_load_dwordx2 v[66:67], v[24:25], off
	global_load_dword v68, v[26:27], off
	global_load_dwordx2 v[70:71], v[28:29], off
	global_load_dword v72, v[30:31], off
	;; [unrolled: 2-line block ×7, first 2 shown]
                                        ; kill: killed $vgpr50_vgpr51
                                        ; kill: killed $vgpr48_vgpr49
                                        ; kill: killed $vgpr46_vgpr47
                                        ; kill: killed $vgpr44_vgpr45
                                        ; kill: killed $vgpr42_vgpr43
                                        ; kill: killed $vgpr40_vgpr41
                                        ; kill: killed $vgpr12_vgpr13
                                        ; kill: killed $vgpr38_vgpr39
                                        ; kill: killed $vgpr24_vgpr25
                                        ; kill: killed $vgpr30_vgpr31
                                        ; kill: killed $vgpr36_vgpr37
                                        ; kill: killed $vgpr28_vgpr29
                                        ; kill: killed $vgpr34_vgpr35
                                        ; kill: killed $vgpr26_vgpr27
                                        ; kill: killed $vgpr32_vgpr33
	global_load_dwordx2 v[12:13], v[52:53], off
	global_load_dword v24, v[54:55], off
	global_load_dwordx2 v[26:27], v[56:57], off
	global_load_dword v28, v[58:59], off
	;; [unrolled: 2-line block ×5, first 2 shown]
	v_lshl_add_u64 v[16:17], v[8:9], 2, s[10:11]
	global_load_dword v8, v[16:17], off
	v_add_u32_e32 v6, 0xf0, v6
	s_waitcnt vmcnt(23)
	v_pk_fma_f32 v[4:5], v[66:67], v[68:69], v[4:5] op_sel_hi:[1,0,1]
	s_waitcnt vmcnt(21)
	v_pk_fma_f32 v[4:5], v[70:71], v[72:73], v[4:5] op_sel_hi:[1,0,1]
	;; [unrolled: 2-line block ×13, first 2 shown]
	s_andn2_b64 exec, exec, s[18:19]
	s_cbranch_execnz .LBB66_9
; %bb.10:
	s_or_b64 exec, exec, s[18:19]
.LBB66_11:
	s_or_b64 exec, exec, s[4:5]
	s_cbranch_execz .LBB66_13
	s_branch .LBB66_18
.LBB66_12:
                                        ; implicit-def: $vgpr5
.LBB66_13:
	v_mov_b32_e32 v5, 0
	v_mov_b32_e32 v4, v5
	s_and_saveexec_b64 s[4:5], s[2:3]
	s_cbranch_execz .LBB66_17
; %bb.14:
	v_mad_u64_u32 v[6:7], s[2:3], v0, 30, 29
	v_mov_b32_e32 v9, 0
	s_mov_b64 s[2:3], 0
	v_mov_b32_e32 v4, v9
	v_mov_b32_e32 v5, v9
.LBB66_15:                              ; =>This Inner Loop Header: Depth=1
	v_ashrrev_i32_e32 v1, 31, v0
	v_subrev_u32_e32 v8, 29, v6
	v_add_u32_e32 v12, -14, v6
	v_mov_b32_e32 v13, v9
	v_lshl_add_u64 v[16:17], v[0:1], 2, s[6:7]
	v_lshl_add_u64 v[18:19], v[8:9], 2, s[8:9]
	;; [unrolled: 1-line block ×3, first 2 shown]
	global_load_dword v1, v[16:17], off
	global_load_dwordx2 v[22:23], v[18:19], off
	global_load_dword v13, v[20:21], off
	v_mov_b32_e32 v11, v9
	v_mov_b32_e32 v7, v9
	v_add_u32_e32 v0, 8, v0
	v_cmp_ge_i32_e32 vcc, v0, v14
	s_or_b64 s[2:3], vcc, s[2:3]
	s_waitcnt vmcnt(2)
	v_subrev_u32_e32 v1, s16, v1
	v_mul_lo_u32 v10, v1, 15
	v_lshl_add_u64 v[18:19], v[10:11], 2, s[10:11]
	global_load_dword v18, v[18:19], off
	v_add_u32_e32 v8, 1, v10
	v_lshl_add_u64 v[20:21], v[8:9], 2, s[10:11]
	global_load_dword v20, v[20:21], off
	v_add_u32_e32 v8, -13, v6
	s_waitcnt vmcnt(3)
	v_mov_b32_e32 v12, v22
	v_mov_b32_e32 v16, v23
	v_lshl_add_u64 v[22:23], v[8:9], 2, s[8:9]
	v_subrev_u32_e32 v8, 27, v6
	v_lshl_add_u64 v[24:25], v[8:9], 2, s[8:9]
	global_load_dword v17, v[22:23], off
	global_load_dword v26, v[24:25], off
	v_add_u32_e32 v8, 2, v10
	v_lshl_add_u64 v[22:23], v[8:9], 2, s[10:11]
	v_add_u32_e32 v8, -12, v6
	v_lshl_add_u64 v[24:25], v[8:9], 2, s[8:9]
	v_subrev_u32_e32 v8, 26, v6
	v_lshl_add_u64 v[28:29], v[8:9], 2, s[8:9]
	v_add_u32_e32 v8, 3, v10
	global_load_dword v27, v[24:25], off
	global_load_dword v30, v[28:29], off
	v_lshl_add_u64 v[24:25], v[8:9], 2, s[10:11]
	v_add_u32_e32 v8, -11, v6
	v_lshl_add_u64 v[28:29], v[8:9], 2, s[8:9]
	v_subrev_u32_e32 v8, 25, v6
	v_lshl_add_u64 v[32:33], v[8:9], 2, s[8:9]
	v_add_u32_e32 v8, 4, v10
	global_load_dword v31, v[28:29], off
	global_load_dword v34, v[32:33], off
	;; [unrolled: 8-line block ×9, first 2 shown]
	v_lshl_add_u64 v[56:57], v[8:9], 2, s[10:11]
	v_add_u32_e32 v8, -3, v6
	s_waitcnt vmcnt(21)
	v_pk_fma_f32 v[4:5], v[12:13], v[18:19], v[4:5] op_sel_hi:[1,0,1]
	v_lshl_add_u64 v[12:13], v[8:9], 2, s[8:9]
	v_subrev_u32_e32 v8, 17, v6
	v_lshl_add_u64 v[18:19], v[8:9], 2, s[8:9]
	v_add_u32_e32 v8, 12, v10
	global_load_dword v63, v[12:13], off
	global_load_dword v60, v[18:19], off
	v_lshl_add_u64 v[12:13], v[8:9], 2, s[10:11]
	v_add_u32_e32 v8, -2, v6
	s_waitcnt vmcnt(21)
	v_pk_fma_f32 v[4:5], v[16:17], v[20:21], v[4:5] op_sel_hi:[1,0,1]
	v_lshl_add_u64 v[16:17], v[8:9], 2, s[8:9]
	v_add_u32_e32 v8, -16, v6
	v_lshl_add_u64 v[18:19], v[8:9], 2, s[8:9]
	v_add_u32_e32 v8, 13, v10
	global_load_dword v61, v[16:17], off
	v_lshl_add_u64 v[16:17], v[8:9], 2, s[10:11]
	v_add_u32_e32 v8, -1, v6
	v_lshl_add_u64 v[20:21], v[8:9], 2, s[8:9]
	v_add_u32_e32 v8, -15, v6
	v_lshl_add_u64 v[64:65], v[8:9], 2, s[8:9]
	v_add_u32_e32 v8, 14, v10
	global_load_dword v10, v[18:19], off
	global_load_dword v11, v[20:21], off
	v_lshl_add_u64 v[18:19], v[6:7], 2, s[8:9]
	global_load_dword v21, v[18:19], off
	global_load_dword v20, v[64:65], off
	global_load_dword v66, v[22:23], off
	global_load_dword v68, v[24:25], off
	global_load_dword v70, v[28:29], off
	global_load_dword v72, v[32:33], off
	global_load_dword v74, v[36:37], off
	global_load_dword v76, v[40:41], off
	global_load_dword v78, v[44:45], off
	global_load_dword v80, v[48:49], off
	global_load_dword v82, v[52:53], off
	global_load_dword v84, v[56:57], off
	global_load_dword v86, v[12:13], off
	global_load_dword v88, v[16:17], off
	v_lshl_add_u64 v[12:13], v[8:9], 2, s[10:11]
	global_load_dword v8, v[12:13], off
	v_add_u32_e32 v6, 0xf0, v6
	s_waitcnt vmcnt(12)
	v_pk_fma_f32 v[4:5], v[26:27], v[66:67], v[4:5] op_sel_hi:[1,0,1]
	s_waitcnt vmcnt(11)
	v_pk_fma_f32 v[4:5], v[30:31], v[68:69], v[4:5] op_sel_hi:[1,0,1]
	;; [unrolled: 2-line block ×13, first 2 shown]
	s_andn2_b64 exec, exec, s[2:3]
	s_cbranch_execnz .LBB66_15
; %bb.16:
	s_or_b64 exec, exec, s[2:3]
.LBB66_17:
	s_or_b64 exec, exec, s[4:5]
.LBB66_18:
	v_mov_b32_dpp v0, v4 row_shr:1 row_mask:0xf bank_mask:0xf
	v_mov_b32_dpp v1, v5 row_shr:1 row_mask:0xf bank_mask:0xf
	v_pk_add_f32 v[0:1], v[4:5], v[0:1]
	v_cmp_eq_u32_e32 vcc, 7, v3
	s_nop 0
	v_mov_b32_dpp v4, v0 row_shr:2 row_mask:0xf bank_mask:0xf
	v_mov_b32_dpp v5, v1 row_shr:2 row_mask:0xf bank_mask:0xf
	v_pk_add_f32 v[0:1], v[0:1], v[4:5]
	s_nop 1
	v_mov_b32_dpp v4, v0 row_shr:4 row_mask:0xf bank_mask:0xe
	v_mov_b32_dpp v5, v1 row_shr:4 row_mask:0xf bank_mask:0xe
	s_and_b64 exec, exec, vcc
	s_cbranch_execz .LBB66_22
; %bb.19:
	s_load_dwordx2 s[0:1], s[0:1], 0x38
	v_cmp_eq_f32_e64 s[2:3], s12, 0
	v_pk_add_f32 v[0:1], v[0:1], v[4:5]
	s_and_b64 vcc, exec, s[2:3]
	v_lshlrev_b32_e32 v2, 1, v2
	s_cbranch_vccz .LBB66_23
; %bb.20:
	v_ashrrev_i32_e32 v3, 31, v2
	s_waitcnt lgkmcnt(0)
	v_lshl_add_u64 v[4:5], v[2:3], 2, s[0:1]
	v_pk_mul_f32 v[6:7], s[14:15], v[0:1] op_sel_hi:[0,1]
	global_store_dwordx2 v[4:5], v[6:7], off
	s_cbranch_execnz .LBB66_22
.LBB66_21:
	v_ashrrev_i32_e32 v3, 31, v2
	s_waitcnt lgkmcnt(0)
	v_lshl_add_u64 v[2:3], v[2:3], 2, s[0:1]
	global_load_dwordx2 v[4:5], v[2:3], off
	v_pk_mul_f32 v[0:1], s[14:15], v[0:1] op_sel_hi:[0,1]
	s_waitcnt vmcnt(0)
	v_pk_fma_f32 v[0:1], s[12:13], v[4:5], v[0:1] op_sel_hi:[0,1,1]
	global_store_dwordx2 v[2:3], v[0:1], off
.LBB66_22:
	s_endpgm
.LBB66_23:
	s_branch .LBB66_21
	.section	.rodata,"a",@progbits
	.p2align	6, 0x0
	.amdhsa_kernel _ZN9rocsparseL19gebsrmvn_2xn_kernelILj128ELj15ELj8EfEEvi20rocsparse_direction_NS_24const_host_device_scalarIT2_EEPKiS6_PKS3_S8_S4_PS3_21rocsparse_index_base_b
		.amdhsa_group_segment_fixed_size 0
		.amdhsa_private_segment_fixed_size 0
		.amdhsa_kernarg_size 72
		.amdhsa_user_sgpr_count 2
		.amdhsa_user_sgpr_dispatch_ptr 0
		.amdhsa_user_sgpr_queue_ptr 0
		.amdhsa_user_sgpr_kernarg_segment_ptr 1
		.amdhsa_user_sgpr_dispatch_id 0
		.amdhsa_user_sgpr_kernarg_preload_length 0
		.amdhsa_user_sgpr_kernarg_preload_offset 0
		.amdhsa_user_sgpr_private_segment_size 0
		.amdhsa_uses_dynamic_stack 0
		.amdhsa_enable_private_segment 0
		.amdhsa_system_sgpr_workgroup_id_x 1
		.amdhsa_system_sgpr_workgroup_id_y 0
		.amdhsa_system_sgpr_workgroup_id_z 0
		.amdhsa_system_sgpr_workgroup_info 0
		.amdhsa_system_vgpr_workitem_id 0
		.amdhsa_next_free_vgpr 94
		.amdhsa_next_free_sgpr 20
		.amdhsa_accum_offset 96
		.amdhsa_reserve_vcc 1
		.amdhsa_float_round_mode_32 0
		.amdhsa_float_round_mode_16_64 0
		.amdhsa_float_denorm_mode_32 3
		.amdhsa_float_denorm_mode_16_64 3
		.amdhsa_dx10_clamp 1
		.amdhsa_ieee_mode 1
		.amdhsa_fp16_overflow 0
		.amdhsa_tg_split 0
		.amdhsa_exception_fp_ieee_invalid_op 0
		.amdhsa_exception_fp_denorm_src 0
		.amdhsa_exception_fp_ieee_div_zero 0
		.amdhsa_exception_fp_ieee_overflow 0
		.amdhsa_exception_fp_ieee_underflow 0
		.amdhsa_exception_fp_ieee_inexact 0
		.amdhsa_exception_int_div_zero 0
	.end_amdhsa_kernel
	.section	.text._ZN9rocsparseL19gebsrmvn_2xn_kernelILj128ELj15ELj8EfEEvi20rocsparse_direction_NS_24const_host_device_scalarIT2_EEPKiS6_PKS3_S8_S4_PS3_21rocsparse_index_base_b,"axG",@progbits,_ZN9rocsparseL19gebsrmvn_2xn_kernelILj128ELj15ELj8EfEEvi20rocsparse_direction_NS_24const_host_device_scalarIT2_EEPKiS6_PKS3_S8_S4_PS3_21rocsparse_index_base_b,comdat
.Lfunc_end66:
	.size	_ZN9rocsparseL19gebsrmvn_2xn_kernelILj128ELj15ELj8EfEEvi20rocsparse_direction_NS_24const_host_device_scalarIT2_EEPKiS6_PKS3_S8_S4_PS3_21rocsparse_index_base_b, .Lfunc_end66-_ZN9rocsparseL19gebsrmvn_2xn_kernelILj128ELj15ELj8EfEEvi20rocsparse_direction_NS_24const_host_device_scalarIT2_EEPKiS6_PKS3_S8_S4_PS3_21rocsparse_index_base_b
                                        ; -- End function
	.section	.AMDGPU.csdata,"",@progbits
; Kernel info:
; codeLenInByte = 2516
; NumSgprs: 26
; NumVgprs: 94
; NumAgprs: 0
; TotalNumVgprs: 94
; ScratchSize: 0
; MemoryBound: 0
; FloatMode: 240
; IeeeMode: 1
; LDSByteSize: 0 bytes/workgroup (compile time only)
; SGPRBlocks: 3
; VGPRBlocks: 11
; NumSGPRsForWavesPerEU: 26
; NumVGPRsForWavesPerEU: 94
; AccumOffset: 96
; Occupancy: 5
; WaveLimiterHint : 1
; COMPUTE_PGM_RSRC2:SCRATCH_EN: 0
; COMPUTE_PGM_RSRC2:USER_SGPR: 2
; COMPUTE_PGM_RSRC2:TRAP_HANDLER: 0
; COMPUTE_PGM_RSRC2:TGID_X_EN: 1
; COMPUTE_PGM_RSRC2:TGID_Y_EN: 0
; COMPUTE_PGM_RSRC2:TGID_Z_EN: 0
; COMPUTE_PGM_RSRC2:TIDIG_COMP_CNT: 0
; COMPUTE_PGM_RSRC3_GFX90A:ACCUM_OFFSET: 23
; COMPUTE_PGM_RSRC3_GFX90A:TG_SPLIT: 0
	.section	.text._ZN9rocsparseL19gebsrmvn_2xn_kernelILj128ELj15ELj16EfEEvi20rocsparse_direction_NS_24const_host_device_scalarIT2_EEPKiS6_PKS3_S8_S4_PS3_21rocsparse_index_base_b,"axG",@progbits,_ZN9rocsparseL19gebsrmvn_2xn_kernelILj128ELj15ELj16EfEEvi20rocsparse_direction_NS_24const_host_device_scalarIT2_EEPKiS6_PKS3_S8_S4_PS3_21rocsparse_index_base_b,comdat
	.globl	_ZN9rocsparseL19gebsrmvn_2xn_kernelILj128ELj15ELj16EfEEvi20rocsparse_direction_NS_24const_host_device_scalarIT2_EEPKiS6_PKS3_S8_S4_PS3_21rocsparse_index_base_b ; -- Begin function _ZN9rocsparseL19gebsrmvn_2xn_kernelILj128ELj15ELj16EfEEvi20rocsparse_direction_NS_24const_host_device_scalarIT2_EEPKiS6_PKS3_S8_S4_PS3_21rocsparse_index_base_b
	.p2align	8
	.type	_ZN9rocsparseL19gebsrmvn_2xn_kernelILj128ELj15ELj16EfEEvi20rocsparse_direction_NS_24const_host_device_scalarIT2_EEPKiS6_PKS3_S8_S4_PS3_21rocsparse_index_base_b,@function
_ZN9rocsparseL19gebsrmvn_2xn_kernelILj128ELj15ELj16EfEEvi20rocsparse_direction_NS_24const_host_device_scalarIT2_EEPKiS6_PKS3_S8_S4_PS3_21rocsparse_index_base_b: ; @_ZN9rocsparseL19gebsrmvn_2xn_kernelILj128ELj15ELj16EfEEvi20rocsparse_direction_NS_24const_host_device_scalarIT2_EEPKiS6_PKS3_S8_S4_PS3_21rocsparse_index_base_b
; %bb.0:
	s_load_dwordx2 s[16:17], s[0:1], 0x40
	s_load_dwordx2 s[14:15], s[0:1], 0x8
	;; [unrolled: 1-line block ×3, first 2 shown]
	s_waitcnt lgkmcnt(0)
	s_bitcmp1_b32 s17, 0
	s_cselect_b64 s[6:7], -1, 0
	s_xor_b64 s[4:5], s[6:7], -1
	s_and_b64 vcc, exec, s[6:7]
	s_cbranch_vccnz .LBB67_2
; %bb.1:
	s_load_dword s14, s[14:15], 0x0
.LBB67_2:
	s_andn2_b64 vcc, exec, s[4:5]
	s_cbranch_vccnz .LBB67_4
; %bb.3:
	s_load_dword s12, s[12:13], 0x0
.LBB67_4:
	s_waitcnt lgkmcnt(0)
	v_cmp_eq_f32_e64 s[4:5], s14, 0
	v_cmp_eq_f32_e64 s[6:7], s12, 1.0
	s_and_b64 s[4:5], s[4:5], s[6:7]
	s_and_b64 vcc, exec, s[4:5]
	s_cbranch_vccnz .LBB67_22
; %bb.5:
	s_load_dwordx2 s[18:19], s[0:1], 0x0
	v_lshrrev_b32_e32 v1, 4, v0
	v_lshl_or_b32 v2, s2, 3, v1
	s_waitcnt lgkmcnt(0)
	v_cmp_gt_i32_e32 vcc, s18, v2
	s_and_saveexec_b64 s[2:3], vcc
	s_cbranch_execz .LBB67_22
; %bb.6:
	s_load_dwordx8 s[4:11], s[0:1], 0x10
	v_ashrrev_i32_e32 v3, 31, v2
	s_cmp_lg_u32 s19, 0
	s_waitcnt lgkmcnt(0)
	v_lshl_add_u64 v[4:5], v[2:3], 2, s[4:5]
	global_load_dwordx2 v[4:5], v[4:5], off
	v_and_b32_e32 v3, 15, v0
	s_waitcnt vmcnt(0)
	v_subrev_u32_e32 v0, s16, v4
	v_subrev_u32_e32 v14, s16, v5
	v_add_u32_e32 v0, v0, v3
	v_cmp_lt_i32_e64 s[2:3], v0, v14
	s_cbranch_scc0 .LBB67_12
; %bb.7:
	v_mov_b32_e32 v5, 0
	v_mov_b32_e32 v4, v5
	s_and_saveexec_b64 s[4:5], s[2:3]
	s_cbranch_execz .LBB67_11
; %bb.8:
	v_mad_u64_u32 v[6:7], s[18:19], v0, 30, 28
	v_mov_b32_e32 v9, 0
	s_mov_b64 s[18:19], 0
	v_mov_b32_e32 v10, v0
	v_mov_b32_e32 v4, v9
	;; [unrolled: 1-line block ×3, first 2 shown]
.LBB67_9:                               ; =>This Inner Loop Header: Depth=1
	v_ashrrev_i32_e32 v11, 31, v10
	v_subrev_u32_e32 v8, 28, v6
	v_lshl_add_u64 v[16:17], v[10:11], 2, s[6:7]
	v_lshl_add_u64 v[18:19], v[8:9], 2, s[8:9]
	global_load_dword v1, v[16:17], off
	global_load_dwordx2 v[20:21], v[18:19], off
	v_mov_b32_e32 v13, v9
	v_subrev_u32_e32 v8, 26, v6
	v_lshl_add_u64 v[16:17], v[8:9], 2, s[8:9]
	global_load_dwordx2 v[16:17], v[16:17], off
	v_mov_b32_e32 v7, v9
	v_add_u32_e32 v10, 16, v10
	v_cmp_ge_i32_e32 vcc, v10, v14
	s_or_b64 s[18:19], vcc, s[18:19]
	s_waitcnt vmcnt(2)
	v_subrev_u32_e32 v1, s16, v1
	v_mul_lo_u32 v12, v1, 15
	v_lshl_add_u64 v[18:19], v[12:13], 2, s[10:11]
	v_add_u32_e32 v8, 1, v12
	global_load_dword v18, v[18:19], off
	v_lshl_add_u64 v[22:23], v[8:9], 2, s[10:11]
	global_load_dword v22, v[22:23], off
	v_subrev_u32_e32 v8, 24, v6
	v_lshl_add_u64 v[24:25], v[8:9], 2, s[8:9]
	v_add_u32_e32 v8, 2, v12
	v_lshl_add_u64 v[26:27], v[8:9], 2, s[10:11]
	v_subrev_u32_e32 v8, 22, v6
	v_lshl_add_u64 v[28:29], v[8:9], 2, s[8:9]
	v_add_u32_e32 v8, 3, v12
	v_lshl_add_u64 v[30:31], v[8:9], 2, s[10:11]
	;; [unrolled: 4-line block ×4, first 2 shown]
	v_add_u32_e32 v8, -16, v6
	v_lshl_add_u64 v[40:41], v[8:9], 2, s[8:9]
	v_add_u32_e32 v8, 6, v12
	v_lshl_add_u64 v[42:43], v[8:9], 2, s[10:11]
	v_add_u32_e32 v8, -14, v6
	v_lshl_add_u64 v[44:45], v[8:9], 2, s[8:9]
	v_add_u32_e32 v8, 7, v12
	v_lshl_add_u64 v[46:47], v[8:9], 2, s[10:11]
	;; [unrolled: 4-line block ×6, first 2 shown]
	v_add_u32_e32 v8, -4, v6
	s_waitcnt vmcnt(1)
	v_pk_fma_f32 v[4:5], v[20:21], v[18:19], v[4:5] op_sel_hi:[1,0,1]
	v_lshl_add_u64 v[18:19], v[8:9], 2, s[8:9]
	v_add_u32_e32 v8, 12, v12
	v_lshl_add_u64 v[20:21], v[8:9], 2, s[10:11]
	v_add_u32_e32 v8, -2, v6
	s_waitcnt vmcnt(0)
	v_pk_fma_f32 v[4:5], v[16:17], v[22:23], v[4:5] op_sel_hi:[1,0,1]
	v_lshl_add_u64 v[16:17], v[8:9], 2, s[8:9]
	v_add_u32_e32 v8, 13, v12
	v_lshl_add_u64 v[22:23], v[8:9], 2, s[10:11]
	v_add_u32_e32 v8, 14, v12
	v_lshl_add_u64 v[12:13], v[6:7], 2, s[8:9]
	global_load_dwordx2 v[64:65], v[12:13], off
	global_load_dwordx2 v[66:67], v[24:25], off
	global_load_dword v68, v[26:27], off
	global_load_dwordx2 v[70:71], v[28:29], off
	global_load_dword v72, v[30:31], off
	;; [unrolled: 2-line block ×7, first 2 shown]
                                        ; kill: killed $vgpr38_vgpr39
                                        ; kill: killed $vgpr24_vgpr25
                                        ; kill: killed $vgpr30_vgpr31
                                        ; kill: killed $vgpr36_vgpr37
                                        ; kill: killed $vgpr28_vgpr29
                                        ; kill: killed $vgpr12_vgpr13
                                        ; kill: killed $vgpr34_vgpr35
                                        ; kill: killed $vgpr26_vgpr27
                                        ; kill: killed $vgpr32_vgpr33
                                        ; kill: killed $vgpr50_vgpr51
                                        ; kill: killed $vgpr48_vgpr49
                                        ; kill: killed $vgpr46_vgpr47
                                        ; kill: killed $vgpr44_vgpr45
                                        ; kill: killed $vgpr42_vgpr43
                                        ; kill: killed $vgpr40_vgpr41
	global_load_dwordx2 v[12:13], v[52:53], off
	global_load_dword v24, v[54:55], off
	global_load_dwordx2 v[26:27], v[56:57], off
	global_load_dword v28, v[58:59], off
	global_load_dwordx2 v[30:31], v[60:61], off
	global_load_dword v32, v[62:63], off
	global_load_dwordx2 v[34:35], v[18:19], off
	global_load_dword v36, v[20:21], off
	global_load_dwordx2 v[38:39], v[16:17], off
	global_load_dword v40, v[22:23], off
	v_lshl_add_u64 v[16:17], v[8:9], 2, s[10:11]
	global_load_dword v8, v[16:17], off
	v_add_u32_e32 v6, 0x1e0, v6
	s_waitcnt vmcnt(23)
	v_pk_fma_f32 v[4:5], v[66:67], v[68:69], v[4:5] op_sel_hi:[1,0,1]
	s_waitcnt vmcnt(21)
	v_pk_fma_f32 v[4:5], v[70:71], v[72:73], v[4:5] op_sel_hi:[1,0,1]
	s_waitcnt vmcnt(19)
	v_pk_fma_f32 v[4:5], v[74:75], v[76:77], v[4:5] op_sel_hi:[1,0,1]
	s_waitcnt vmcnt(17)
	v_pk_fma_f32 v[4:5], v[78:79], v[80:81], v[4:5] op_sel_hi:[1,0,1]
	s_waitcnt vmcnt(15)
	v_pk_fma_f32 v[4:5], v[82:83], v[84:85], v[4:5] op_sel_hi:[1,0,1]
	s_waitcnt vmcnt(13)
	v_pk_fma_f32 v[4:5], v[86:87], v[88:89], v[4:5] op_sel_hi:[1,0,1]
	s_waitcnt vmcnt(11)
	v_pk_fma_f32 v[4:5], v[90:91], v[92:93], v[4:5] op_sel_hi:[1,0,1]
	s_waitcnt vmcnt(9)
	v_pk_fma_f32 v[4:5], v[12:13], v[24:25], v[4:5] op_sel_hi:[1,0,1]
	s_waitcnt vmcnt(7)
	v_pk_fma_f32 v[4:5], v[26:27], v[28:29], v[4:5] op_sel_hi:[1,0,1]
	s_waitcnt vmcnt(5)
	v_pk_fma_f32 v[4:5], v[30:31], v[32:33], v[4:5] op_sel_hi:[1,0,1]
	s_waitcnt vmcnt(3)
	v_pk_fma_f32 v[4:5], v[34:35], v[36:37], v[4:5] op_sel_hi:[1,0,1]
	s_waitcnt vmcnt(1)
	v_pk_fma_f32 v[4:5], v[38:39], v[40:41], v[4:5] op_sel_hi:[1,0,1]
	s_waitcnt vmcnt(0)
	v_pk_fma_f32 v[4:5], v[64:65], v[8:9], v[4:5] op_sel_hi:[1,0,1]
	s_andn2_b64 exec, exec, s[18:19]
	s_cbranch_execnz .LBB67_9
; %bb.10:
	s_or_b64 exec, exec, s[18:19]
.LBB67_11:
	s_or_b64 exec, exec, s[4:5]
	s_cbranch_execz .LBB67_13
	s_branch .LBB67_18
.LBB67_12:
                                        ; implicit-def: $vgpr5
.LBB67_13:
	v_mov_b32_e32 v5, 0
	v_mov_b32_e32 v4, v5
	s_and_saveexec_b64 s[4:5], s[2:3]
	s_cbranch_execz .LBB67_17
; %bb.14:
	v_mad_u64_u32 v[6:7], s[2:3], v0, 30, 29
	v_mov_b32_e32 v9, 0
	s_mov_b64 s[2:3], 0
	v_mov_b32_e32 v4, v9
	v_mov_b32_e32 v5, v9
.LBB67_15:                              ; =>This Inner Loop Header: Depth=1
	v_ashrrev_i32_e32 v1, 31, v0
	v_subrev_u32_e32 v8, 29, v6
	v_add_u32_e32 v12, -14, v6
	v_mov_b32_e32 v13, v9
	v_lshl_add_u64 v[16:17], v[0:1], 2, s[6:7]
	v_lshl_add_u64 v[18:19], v[8:9], 2, s[8:9]
	;; [unrolled: 1-line block ×3, first 2 shown]
	global_load_dword v1, v[16:17], off
	global_load_dwordx2 v[22:23], v[18:19], off
	global_load_dword v13, v[20:21], off
	v_mov_b32_e32 v11, v9
	v_mov_b32_e32 v7, v9
	v_add_u32_e32 v0, 16, v0
	v_cmp_ge_i32_e32 vcc, v0, v14
	s_or_b64 s[2:3], vcc, s[2:3]
	s_waitcnt vmcnt(2)
	v_subrev_u32_e32 v1, s16, v1
	v_mul_lo_u32 v10, v1, 15
	v_lshl_add_u64 v[18:19], v[10:11], 2, s[10:11]
	global_load_dword v18, v[18:19], off
	v_add_u32_e32 v8, 1, v10
	v_lshl_add_u64 v[20:21], v[8:9], 2, s[10:11]
	global_load_dword v20, v[20:21], off
	v_add_u32_e32 v8, -13, v6
	s_waitcnt vmcnt(3)
	v_mov_b32_e32 v12, v22
	v_mov_b32_e32 v16, v23
	v_lshl_add_u64 v[22:23], v[8:9], 2, s[8:9]
	v_subrev_u32_e32 v8, 27, v6
	v_lshl_add_u64 v[24:25], v[8:9], 2, s[8:9]
	global_load_dword v17, v[22:23], off
	global_load_dword v26, v[24:25], off
	v_add_u32_e32 v8, 2, v10
	v_lshl_add_u64 v[22:23], v[8:9], 2, s[10:11]
	v_add_u32_e32 v8, -12, v6
	v_lshl_add_u64 v[24:25], v[8:9], 2, s[8:9]
	v_subrev_u32_e32 v8, 26, v6
	v_lshl_add_u64 v[28:29], v[8:9], 2, s[8:9]
	v_add_u32_e32 v8, 3, v10
	global_load_dword v27, v[24:25], off
	global_load_dword v30, v[28:29], off
	v_lshl_add_u64 v[24:25], v[8:9], 2, s[10:11]
	v_add_u32_e32 v8, -11, v6
	v_lshl_add_u64 v[28:29], v[8:9], 2, s[8:9]
	v_subrev_u32_e32 v8, 25, v6
	v_lshl_add_u64 v[32:33], v[8:9], 2, s[8:9]
	v_add_u32_e32 v8, 4, v10
	global_load_dword v31, v[28:29], off
	global_load_dword v34, v[32:33], off
	;; [unrolled: 8-line block ×9, first 2 shown]
	v_lshl_add_u64 v[56:57], v[8:9], 2, s[10:11]
	v_add_u32_e32 v8, -3, v6
	s_waitcnt vmcnt(21)
	v_pk_fma_f32 v[4:5], v[12:13], v[18:19], v[4:5] op_sel_hi:[1,0,1]
	v_lshl_add_u64 v[12:13], v[8:9], 2, s[8:9]
	v_subrev_u32_e32 v8, 17, v6
	v_lshl_add_u64 v[18:19], v[8:9], 2, s[8:9]
	v_add_u32_e32 v8, 12, v10
	global_load_dword v63, v[12:13], off
	global_load_dword v60, v[18:19], off
	v_lshl_add_u64 v[12:13], v[8:9], 2, s[10:11]
	v_add_u32_e32 v8, -2, v6
	s_waitcnt vmcnt(21)
	v_pk_fma_f32 v[4:5], v[16:17], v[20:21], v[4:5] op_sel_hi:[1,0,1]
	v_lshl_add_u64 v[16:17], v[8:9], 2, s[8:9]
	v_add_u32_e32 v8, -16, v6
	v_lshl_add_u64 v[18:19], v[8:9], 2, s[8:9]
	v_add_u32_e32 v8, 13, v10
	global_load_dword v61, v[16:17], off
	v_lshl_add_u64 v[16:17], v[8:9], 2, s[10:11]
	v_add_u32_e32 v8, -1, v6
	v_lshl_add_u64 v[20:21], v[8:9], 2, s[8:9]
	v_add_u32_e32 v8, -15, v6
	v_lshl_add_u64 v[64:65], v[8:9], 2, s[8:9]
	v_add_u32_e32 v8, 14, v10
	global_load_dword v10, v[18:19], off
	global_load_dword v11, v[20:21], off
	v_lshl_add_u64 v[18:19], v[6:7], 2, s[8:9]
	global_load_dword v21, v[18:19], off
	global_load_dword v20, v[64:65], off
	;; [unrolled: 1-line block ×14, first 2 shown]
	v_lshl_add_u64 v[12:13], v[8:9], 2, s[10:11]
	global_load_dword v8, v[12:13], off
	v_add_u32_e32 v6, 0x1e0, v6
	s_waitcnt vmcnt(12)
	v_pk_fma_f32 v[4:5], v[26:27], v[66:67], v[4:5] op_sel_hi:[1,0,1]
	s_waitcnt vmcnt(11)
	v_pk_fma_f32 v[4:5], v[30:31], v[68:69], v[4:5] op_sel_hi:[1,0,1]
	;; [unrolled: 2-line block ×13, first 2 shown]
	s_andn2_b64 exec, exec, s[2:3]
	s_cbranch_execnz .LBB67_15
; %bb.16:
	s_or_b64 exec, exec, s[2:3]
.LBB67_17:
	s_or_b64 exec, exec, s[4:5]
.LBB67_18:
	v_mov_b32_dpp v0, v4 row_shr:1 row_mask:0xf bank_mask:0xf
	v_mov_b32_dpp v1, v5 row_shr:1 row_mask:0xf bank_mask:0xf
	v_pk_add_f32 v[0:1], v[4:5], v[0:1]
	v_cmp_eq_u32_e32 vcc, 15, v3
	s_nop 0
	v_mov_b32_dpp v4, v0 row_shr:2 row_mask:0xf bank_mask:0xf
	v_mov_b32_dpp v5, v1 row_shr:2 row_mask:0xf bank_mask:0xf
	v_pk_add_f32 v[0:1], v[0:1], v[4:5]
	s_nop 1
	v_mov_b32_dpp v4, v0 row_shr:4 row_mask:0xf bank_mask:0xe
	v_mov_b32_dpp v5, v1 row_shr:4 row_mask:0xf bank_mask:0xe
	v_pk_add_f32 v[0:1], v[0:1], v[4:5]
	s_nop 1
	v_mov_b32_dpp v4, v0 row_shr:8 row_mask:0xf bank_mask:0xc
	v_mov_b32_dpp v5, v1 row_shr:8 row_mask:0xf bank_mask:0xc
	s_and_b64 exec, exec, vcc
	s_cbranch_execz .LBB67_22
; %bb.19:
	s_load_dwordx2 s[0:1], s[0:1], 0x38
	v_cmp_eq_f32_e64 s[2:3], s12, 0
	v_pk_add_f32 v[0:1], v[0:1], v[4:5]
	s_and_b64 vcc, exec, s[2:3]
	v_lshlrev_b32_e32 v2, 1, v2
	s_cbranch_vccz .LBB67_23
; %bb.20:
	v_ashrrev_i32_e32 v3, 31, v2
	s_waitcnt lgkmcnt(0)
	v_lshl_add_u64 v[4:5], v[2:3], 2, s[0:1]
	v_pk_mul_f32 v[6:7], s[14:15], v[0:1] op_sel_hi:[0,1]
	global_store_dwordx2 v[4:5], v[6:7], off
	s_cbranch_execnz .LBB67_22
.LBB67_21:
	v_ashrrev_i32_e32 v3, 31, v2
	s_waitcnt lgkmcnt(0)
	v_lshl_add_u64 v[2:3], v[2:3], 2, s[0:1]
	global_load_dwordx2 v[4:5], v[2:3], off
	v_pk_mul_f32 v[0:1], s[14:15], v[0:1] op_sel_hi:[0,1]
	s_waitcnt vmcnt(0)
	v_pk_fma_f32 v[0:1], s[12:13], v[4:5], v[0:1] op_sel_hi:[0,1,1]
	global_store_dwordx2 v[2:3], v[0:1], off
.LBB67_22:
	s_endpgm
.LBB67_23:
	s_branch .LBB67_21
	.section	.rodata,"a",@progbits
	.p2align	6, 0x0
	.amdhsa_kernel _ZN9rocsparseL19gebsrmvn_2xn_kernelILj128ELj15ELj16EfEEvi20rocsparse_direction_NS_24const_host_device_scalarIT2_EEPKiS6_PKS3_S8_S4_PS3_21rocsparse_index_base_b
		.amdhsa_group_segment_fixed_size 0
		.amdhsa_private_segment_fixed_size 0
		.amdhsa_kernarg_size 72
		.amdhsa_user_sgpr_count 2
		.amdhsa_user_sgpr_dispatch_ptr 0
		.amdhsa_user_sgpr_queue_ptr 0
		.amdhsa_user_sgpr_kernarg_segment_ptr 1
		.amdhsa_user_sgpr_dispatch_id 0
		.amdhsa_user_sgpr_kernarg_preload_length 0
		.amdhsa_user_sgpr_kernarg_preload_offset 0
		.amdhsa_user_sgpr_private_segment_size 0
		.amdhsa_uses_dynamic_stack 0
		.amdhsa_enable_private_segment 0
		.amdhsa_system_sgpr_workgroup_id_x 1
		.amdhsa_system_sgpr_workgroup_id_y 0
		.amdhsa_system_sgpr_workgroup_id_z 0
		.amdhsa_system_sgpr_workgroup_info 0
		.amdhsa_system_vgpr_workitem_id 0
		.amdhsa_next_free_vgpr 94
		.amdhsa_next_free_sgpr 20
		.amdhsa_accum_offset 96
		.amdhsa_reserve_vcc 1
		.amdhsa_float_round_mode_32 0
		.amdhsa_float_round_mode_16_64 0
		.amdhsa_float_denorm_mode_32 3
		.amdhsa_float_denorm_mode_16_64 3
		.amdhsa_dx10_clamp 1
		.amdhsa_ieee_mode 1
		.amdhsa_fp16_overflow 0
		.amdhsa_tg_split 0
		.amdhsa_exception_fp_ieee_invalid_op 0
		.amdhsa_exception_fp_denorm_src 0
		.amdhsa_exception_fp_ieee_div_zero 0
		.amdhsa_exception_fp_ieee_overflow 0
		.amdhsa_exception_fp_ieee_underflow 0
		.amdhsa_exception_fp_ieee_inexact 0
		.amdhsa_exception_int_div_zero 0
	.end_amdhsa_kernel
	.section	.text._ZN9rocsparseL19gebsrmvn_2xn_kernelILj128ELj15ELj16EfEEvi20rocsparse_direction_NS_24const_host_device_scalarIT2_EEPKiS6_PKS3_S8_S4_PS3_21rocsparse_index_base_b,"axG",@progbits,_ZN9rocsparseL19gebsrmvn_2xn_kernelILj128ELj15ELj16EfEEvi20rocsparse_direction_NS_24const_host_device_scalarIT2_EEPKiS6_PKS3_S8_S4_PS3_21rocsparse_index_base_b,comdat
.Lfunc_end67:
	.size	_ZN9rocsparseL19gebsrmvn_2xn_kernelILj128ELj15ELj16EfEEvi20rocsparse_direction_NS_24const_host_device_scalarIT2_EEPKiS6_PKS3_S8_S4_PS3_21rocsparse_index_base_b, .Lfunc_end67-_ZN9rocsparseL19gebsrmvn_2xn_kernelILj128ELj15ELj16EfEEvi20rocsparse_direction_NS_24const_host_device_scalarIT2_EEPKiS6_PKS3_S8_S4_PS3_21rocsparse_index_base_b
                                        ; -- End function
	.section	.AMDGPU.csdata,"",@progbits
; Kernel info:
; codeLenInByte = 2544
; NumSgprs: 26
; NumVgprs: 94
; NumAgprs: 0
; TotalNumVgprs: 94
; ScratchSize: 0
; MemoryBound: 0
; FloatMode: 240
; IeeeMode: 1
; LDSByteSize: 0 bytes/workgroup (compile time only)
; SGPRBlocks: 3
; VGPRBlocks: 11
; NumSGPRsForWavesPerEU: 26
; NumVGPRsForWavesPerEU: 94
; AccumOffset: 96
; Occupancy: 5
; WaveLimiterHint : 1
; COMPUTE_PGM_RSRC2:SCRATCH_EN: 0
; COMPUTE_PGM_RSRC2:USER_SGPR: 2
; COMPUTE_PGM_RSRC2:TRAP_HANDLER: 0
; COMPUTE_PGM_RSRC2:TGID_X_EN: 1
; COMPUTE_PGM_RSRC2:TGID_Y_EN: 0
; COMPUTE_PGM_RSRC2:TGID_Z_EN: 0
; COMPUTE_PGM_RSRC2:TIDIG_COMP_CNT: 0
; COMPUTE_PGM_RSRC3_GFX90A:ACCUM_OFFSET: 23
; COMPUTE_PGM_RSRC3_GFX90A:TG_SPLIT: 0
	.section	.text._ZN9rocsparseL19gebsrmvn_2xn_kernelILj128ELj15ELj32EfEEvi20rocsparse_direction_NS_24const_host_device_scalarIT2_EEPKiS6_PKS3_S8_S4_PS3_21rocsparse_index_base_b,"axG",@progbits,_ZN9rocsparseL19gebsrmvn_2xn_kernelILj128ELj15ELj32EfEEvi20rocsparse_direction_NS_24const_host_device_scalarIT2_EEPKiS6_PKS3_S8_S4_PS3_21rocsparse_index_base_b,comdat
	.globl	_ZN9rocsparseL19gebsrmvn_2xn_kernelILj128ELj15ELj32EfEEvi20rocsparse_direction_NS_24const_host_device_scalarIT2_EEPKiS6_PKS3_S8_S4_PS3_21rocsparse_index_base_b ; -- Begin function _ZN9rocsparseL19gebsrmvn_2xn_kernelILj128ELj15ELj32EfEEvi20rocsparse_direction_NS_24const_host_device_scalarIT2_EEPKiS6_PKS3_S8_S4_PS3_21rocsparse_index_base_b
	.p2align	8
	.type	_ZN9rocsparseL19gebsrmvn_2xn_kernelILj128ELj15ELj32EfEEvi20rocsparse_direction_NS_24const_host_device_scalarIT2_EEPKiS6_PKS3_S8_S4_PS3_21rocsparse_index_base_b,@function
_ZN9rocsparseL19gebsrmvn_2xn_kernelILj128ELj15ELj32EfEEvi20rocsparse_direction_NS_24const_host_device_scalarIT2_EEPKiS6_PKS3_S8_S4_PS3_21rocsparse_index_base_b: ; @_ZN9rocsparseL19gebsrmvn_2xn_kernelILj128ELj15ELj32EfEEvi20rocsparse_direction_NS_24const_host_device_scalarIT2_EEPKiS6_PKS3_S8_S4_PS3_21rocsparse_index_base_b
; %bb.0:
	s_load_dwordx2 s[16:17], s[0:1], 0x40
	s_load_dwordx2 s[14:15], s[0:1], 0x8
	s_load_dwordx2 s[12:13], s[0:1], 0x30
	s_waitcnt lgkmcnt(0)
	s_bitcmp1_b32 s17, 0
	s_cselect_b64 s[6:7], -1, 0
	s_xor_b64 s[4:5], s[6:7], -1
	s_and_b64 vcc, exec, s[6:7]
	s_cbranch_vccnz .LBB68_2
; %bb.1:
	s_load_dword s14, s[14:15], 0x0
.LBB68_2:
	s_andn2_b64 vcc, exec, s[4:5]
	s_cbranch_vccnz .LBB68_4
; %bb.3:
	s_load_dword s12, s[12:13], 0x0
.LBB68_4:
	s_waitcnt lgkmcnt(0)
	v_cmp_eq_f32_e64 s[4:5], s14, 0
	v_cmp_eq_f32_e64 s[6:7], s12, 1.0
	s_and_b64 s[4:5], s[4:5], s[6:7]
	s_and_b64 vcc, exec, s[4:5]
	s_cbranch_vccnz .LBB68_22
; %bb.5:
	s_load_dwordx2 s[18:19], s[0:1], 0x0
	v_lshrrev_b32_e32 v1, 5, v0
	v_lshl_or_b32 v2, s2, 2, v1
	s_waitcnt lgkmcnt(0)
	v_cmp_gt_i32_e32 vcc, s18, v2
	s_and_saveexec_b64 s[2:3], vcc
	s_cbranch_execz .LBB68_22
; %bb.6:
	s_load_dwordx8 s[4:11], s[0:1], 0x10
	v_ashrrev_i32_e32 v3, 31, v2
	s_cmp_lg_u32 s19, 0
	s_waitcnt lgkmcnt(0)
	v_lshl_add_u64 v[4:5], v[2:3], 2, s[4:5]
	global_load_dwordx2 v[4:5], v[4:5], off
	v_and_b32_e32 v3, 31, v0
	s_waitcnt vmcnt(0)
	v_subrev_u32_e32 v0, s16, v4
	v_subrev_u32_e32 v14, s16, v5
	v_add_u32_e32 v0, v0, v3
	v_cmp_lt_i32_e64 s[2:3], v0, v14
	s_cbranch_scc0 .LBB68_12
; %bb.7:
	v_mov_b32_e32 v5, 0
	v_mov_b32_e32 v4, v5
	s_and_saveexec_b64 s[4:5], s[2:3]
	s_cbranch_execz .LBB68_11
; %bb.8:
	v_mad_u64_u32 v[6:7], s[18:19], v0, 30, 28
	v_mov_b32_e32 v9, 0
	s_mov_b64 s[18:19], 0
	v_mov_b32_e32 v10, v0
	v_mov_b32_e32 v4, v9
	;; [unrolled: 1-line block ×3, first 2 shown]
.LBB68_9:                               ; =>This Inner Loop Header: Depth=1
	v_ashrrev_i32_e32 v11, 31, v10
	v_subrev_u32_e32 v8, 28, v6
	v_lshl_add_u64 v[16:17], v[10:11], 2, s[6:7]
	v_lshl_add_u64 v[18:19], v[8:9], 2, s[8:9]
	global_load_dword v1, v[16:17], off
	global_load_dwordx2 v[20:21], v[18:19], off
	v_mov_b32_e32 v13, v9
	v_subrev_u32_e32 v8, 26, v6
	v_lshl_add_u64 v[16:17], v[8:9], 2, s[8:9]
	global_load_dwordx2 v[16:17], v[16:17], off
	v_mov_b32_e32 v7, v9
	v_add_u32_e32 v10, 32, v10
	v_cmp_ge_i32_e32 vcc, v10, v14
	s_or_b64 s[18:19], vcc, s[18:19]
	s_waitcnt vmcnt(2)
	v_subrev_u32_e32 v1, s16, v1
	v_mul_lo_u32 v12, v1, 15
	v_lshl_add_u64 v[18:19], v[12:13], 2, s[10:11]
	v_add_u32_e32 v8, 1, v12
	global_load_dword v18, v[18:19], off
	v_lshl_add_u64 v[22:23], v[8:9], 2, s[10:11]
	global_load_dword v22, v[22:23], off
	v_subrev_u32_e32 v8, 24, v6
	v_lshl_add_u64 v[24:25], v[8:9], 2, s[8:9]
	v_add_u32_e32 v8, 2, v12
	v_lshl_add_u64 v[26:27], v[8:9], 2, s[10:11]
	v_subrev_u32_e32 v8, 22, v6
	v_lshl_add_u64 v[28:29], v[8:9], 2, s[8:9]
	v_add_u32_e32 v8, 3, v12
	v_lshl_add_u64 v[30:31], v[8:9], 2, s[10:11]
	;; [unrolled: 4-line block ×4, first 2 shown]
	v_add_u32_e32 v8, -16, v6
	v_lshl_add_u64 v[40:41], v[8:9], 2, s[8:9]
	v_add_u32_e32 v8, 6, v12
	v_lshl_add_u64 v[42:43], v[8:9], 2, s[10:11]
	v_add_u32_e32 v8, -14, v6
	v_lshl_add_u64 v[44:45], v[8:9], 2, s[8:9]
	v_add_u32_e32 v8, 7, v12
	v_lshl_add_u64 v[46:47], v[8:9], 2, s[10:11]
	;; [unrolled: 4-line block ×6, first 2 shown]
	v_add_u32_e32 v8, -4, v6
	s_waitcnt vmcnt(1)
	v_pk_fma_f32 v[4:5], v[20:21], v[18:19], v[4:5] op_sel_hi:[1,0,1]
	v_lshl_add_u64 v[18:19], v[8:9], 2, s[8:9]
	v_add_u32_e32 v8, 12, v12
	v_lshl_add_u64 v[20:21], v[8:9], 2, s[10:11]
	v_add_u32_e32 v8, -2, v6
	s_waitcnt vmcnt(0)
	v_pk_fma_f32 v[4:5], v[16:17], v[22:23], v[4:5] op_sel_hi:[1,0,1]
	v_lshl_add_u64 v[16:17], v[8:9], 2, s[8:9]
	v_add_u32_e32 v8, 13, v12
	v_lshl_add_u64 v[22:23], v[8:9], 2, s[10:11]
	v_add_u32_e32 v8, 14, v12
	v_lshl_add_u64 v[12:13], v[6:7], 2, s[8:9]
	global_load_dwordx2 v[64:65], v[12:13], off
	global_load_dwordx2 v[66:67], v[24:25], off
	global_load_dword v68, v[26:27], off
	global_load_dwordx2 v[70:71], v[28:29], off
	global_load_dword v72, v[30:31], off
	;; [unrolled: 2-line block ×7, first 2 shown]
                                        ; kill: killed $vgpr42_vgpr43
                                        ; kill: killed $vgpr40_vgpr41
                                        ; kill: killed $vgpr38_vgpr39
                                        ; kill: killed $vgpr24_vgpr25
                                        ; kill: killed $vgpr30_vgpr31
                                        ; kill: killed $vgpr36_vgpr37
                                        ; kill: killed $vgpr28_vgpr29
                                        ; kill: killed $vgpr12_vgpr13
                                        ; kill: killed $vgpr34_vgpr35
                                        ; kill: killed $vgpr26_vgpr27
                                        ; kill: killed $vgpr32_vgpr33
                                        ; kill: killed $vgpr50_vgpr51
                                        ; kill: killed $vgpr48_vgpr49
                                        ; kill: killed $vgpr46_vgpr47
                                        ; kill: killed $vgpr44_vgpr45
	global_load_dwordx2 v[12:13], v[52:53], off
	global_load_dword v24, v[54:55], off
	global_load_dwordx2 v[26:27], v[56:57], off
	global_load_dword v28, v[58:59], off
	;; [unrolled: 2-line block ×5, first 2 shown]
	v_lshl_add_u64 v[16:17], v[8:9], 2, s[10:11]
	global_load_dword v8, v[16:17], off
	v_add_u32_e32 v6, 0x3c0, v6
	s_waitcnt vmcnt(23)
	v_pk_fma_f32 v[4:5], v[66:67], v[68:69], v[4:5] op_sel_hi:[1,0,1]
	s_waitcnt vmcnt(21)
	v_pk_fma_f32 v[4:5], v[70:71], v[72:73], v[4:5] op_sel_hi:[1,0,1]
	;; [unrolled: 2-line block ×13, first 2 shown]
	s_andn2_b64 exec, exec, s[18:19]
	s_cbranch_execnz .LBB68_9
; %bb.10:
	s_or_b64 exec, exec, s[18:19]
.LBB68_11:
	s_or_b64 exec, exec, s[4:5]
	s_cbranch_execz .LBB68_13
	s_branch .LBB68_18
.LBB68_12:
                                        ; implicit-def: $vgpr5
.LBB68_13:
	v_mov_b32_e32 v5, 0
	v_mov_b32_e32 v4, v5
	s_and_saveexec_b64 s[4:5], s[2:3]
	s_cbranch_execz .LBB68_17
; %bb.14:
	v_mad_u64_u32 v[6:7], s[2:3], v0, 30, 29
	v_mov_b32_e32 v9, 0
	s_mov_b64 s[2:3], 0
	v_mov_b32_e32 v4, v9
	v_mov_b32_e32 v5, v9
.LBB68_15:                              ; =>This Inner Loop Header: Depth=1
	v_ashrrev_i32_e32 v1, 31, v0
	v_subrev_u32_e32 v8, 29, v6
	v_add_u32_e32 v12, -14, v6
	v_mov_b32_e32 v13, v9
	v_lshl_add_u64 v[16:17], v[0:1], 2, s[6:7]
	v_lshl_add_u64 v[18:19], v[8:9], 2, s[8:9]
	v_lshl_add_u64 v[20:21], v[12:13], 2, s[8:9]
	global_load_dword v1, v[16:17], off
	global_load_dwordx2 v[22:23], v[18:19], off
	global_load_dword v13, v[20:21], off
	v_mov_b32_e32 v11, v9
	v_mov_b32_e32 v7, v9
	v_add_u32_e32 v0, 32, v0
	v_cmp_ge_i32_e32 vcc, v0, v14
	s_or_b64 s[2:3], vcc, s[2:3]
	s_waitcnt vmcnt(2)
	v_subrev_u32_e32 v1, s16, v1
	v_mul_lo_u32 v10, v1, 15
	v_lshl_add_u64 v[18:19], v[10:11], 2, s[10:11]
	global_load_dword v18, v[18:19], off
	v_add_u32_e32 v8, 1, v10
	v_lshl_add_u64 v[20:21], v[8:9], 2, s[10:11]
	global_load_dword v20, v[20:21], off
	v_add_u32_e32 v8, -13, v6
	s_waitcnt vmcnt(3)
	v_mov_b32_e32 v12, v22
	v_mov_b32_e32 v16, v23
	v_lshl_add_u64 v[22:23], v[8:9], 2, s[8:9]
	v_subrev_u32_e32 v8, 27, v6
	v_lshl_add_u64 v[24:25], v[8:9], 2, s[8:9]
	global_load_dword v17, v[22:23], off
	global_load_dword v26, v[24:25], off
	v_add_u32_e32 v8, 2, v10
	v_lshl_add_u64 v[22:23], v[8:9], 2, s[10:11]
	v_add_u32_e32 v8, -12, v6
	v_lshl_add_u64 v[24:25], v[8:9], 2, s[8:9]
	v_subrev_u32_e32 v8, 26, v6
	v_lshl_add_u64 v[28:29], v[8:9], 2, s[8:9]
	v_add_u32_e32 v8, 3, v10
	global_load_dword v27, v[24:25], off
	global_load_dword v30, v[28:29], off
	v_lshl_add_u64 v[24:25], v[8:9], 2, s[10:11]
	v_add_u32_e32 v8, -11, v6
	v_lshl_add_u64 v[28:29], v[8:9], 2, s[8:9]
	v_subrev_u32_e32 v8, 25, v6
	v_lshl_add_u64 v[32:33], v[8:9], 2, s[8:9]
	v_add_u32_e32 v8, 4, v10
	global_load_dword v31, v[28:29], off
	global_load_dword v34, v[32:33], off
	;; [unrolled: 8-line block ×9, first 2 shown]
	v_lshl_add_u64 v[56:57], v[8:9], 2, s[10:11]
	v_add_u32_e32 v8, -3, v6
	s_waitcnt vmcnt(21)
	v_pk_fma_f32 v[4:5], v[12:13], v[18:19], v[4:5] op_sel_hi:[1,0,1]
	v_lshl_add_u64 v[12:13], v[8:9], 2, s[8:9]
	v_subrev_u32_e32 v8, 17, v6
	v_lshl_add_u64 v[18:19], v[8:9], 2, s[8:9]
	v_add_u32_e32 v8, 12, v10
	global_load_dword v63, v[12:13], off
	global_load_dword v60, v[18:19], off
	v_lshl_add_u64 v[12:13], v[8:9], 2, s[10:11]
	v_add_u32_e32 v8, -2, v6
	s_waitcnt vmcnt(21)
	v_pk_fma_f32 v[4:5], v[16:17], v[20:21], v[4:5] op_sel_hi:[1,0,1]
	v_lshl_add_u64 v[16:17], v[8:9], 2, s[8:9]
	v_add_u32_e32 v8, -16, v6
	v_lshl_add_u64 v[18:19], v[8:9], 2, s[8:9]
	v_add_u32_e32 v8, 13, v10
	global_load_dword v61, v[16:17], off
	v_lshl_add_u64 v[16:17], v[8:9], 2, s[10:11]
	v_add_u32_e32 v8, -1, v6
	v_lshl_add_u64 v[20:21], v[8:9], 2, s[8:9]
	v_add_u32_e32 v8, -15, v6
	v_lshl_add_u64 v[64:65], v[8:9], 2, s[8:9]
	v_add_u32_e32 v8, 14, v10
	global_load_dword v10, v[18:19], off
	global_load_dword v11, v[20:21], off
	v_lshl_add_u64 v[18:19], v[6:7], 2, s[8:9]
	global_load_dword v21, v[18:19], off
	global_load_dword v20, v[64:65], off
	;; [unrolled: 1-line block ×14, first 2 shown]
	v_lshl_add_u64 v[12:13], v[8:9], 2, s[10:11]
	global_load_dword v8, v[12:13], off
	v_add_u32_e32 v6, 0x3c0, v6
	s_waitcnt vmcnt(12)
	v_pk_fma_f32 v[4:5], v[26:27], v[66:67], v[4:5] op_sel_hi:[1,0,1]
	s_waitcnt vmcnt(11)
	v_pk_fma_f32 v[4:5], v[30:31], v[68:69], v[4:5] op_sel_hi:[1,0,1]
	;; [unrolled: 2-line block ×13, first 2 shown]
	s_andn2_b64 exec, exec, s[2:3]
	s_cbranch_execnz .LBB68_15
; %bb.16:
	s_or_b64 exec, exec, s[2:3]
.LBB68_17:
	s_or_b64 exec, exec, s[4:5]
.LBB68_18:
	v_mov_b32_dpp v0, v4 row_shr:1 row_mask:0xf bank_mask:0xf
	v_mov_b32_dpp v1, v5 row_shr:1 row_mask:0xf bank_mask:0xf
	v_pk_add_f32 v[0:1], v[4:5], v[0:1]
	v_cmp_eq_u32_e32 vcc, 31, v3
	s_nop 0
	v_mov_b32_dpp v4, v0 row_shr:2 row_mask:0xf bank_mask:0xf
	v_mov_b32_dpp v5, v1 row_shr:2 row_mask:0xf bank_mask:0xf
	v_pk_add_f32 v[0:1], v[0:1], v[4:5]
	s_nop 1
	v_mov_b32_dpp v4, v0 row_shr:4 row_mask:0xf bank_mask:0xe
	v_mov_b32_dpp v5, v1 row_shr:4 row_mask:0xf bank_mask:0xe
	v_pk_add_f32 v[0:1], v[0:1], v[4:5]
	;; [unrolled: 4-line block ×3, first 2 shown]
	s_nop 1
	v_mov_b32_dpp v4, v0 row_bcast:15 row_mask:0xa bank_mask:0xf
	v_mov_b32_dpp v5, v1 row_bcast:15 row_mask:0xa bank_mask:0xf
	s_and_b64 exec, exec, vcc
	s_cbranch_execz .LBB68_22
; %bb.19:
	s_load_dwordx2 s[0:1], s[0:1], 0x38
	v_cmp_eq_f32_e64 s[2:3], s12, 0
	v_pk_add_f32 v[0:1], v[0:1], v[4:5]
	s_and_b64 vcc, exec, s[2:3]
	v_lshlrev_b32_e32 v2, 1, v2
	s_cbranch_vccz .LBB68_23
; %bb.20:
	v_ashrrev_i32_e32 v3, 31, v2
	s_waitcnt lgkmcnt(0)
	v_lshl_add_u64 v[4:5], v[2:3], 2, s[0:1]
	v_pk_mul_f32 v[6:7], s[14:15], v[0:1] op_sel_hi:[0,1]
	global_store_dwordx2 v[4:5], v[6:7], off
	s_cbranch_execnz .LBB68_22
.LBB68_21:
	v_ashrrev_i32_e32 v3, 31, v2
	s_waitcnt lgkmcnt(0)
	v_lshl_add_u64 v[2:3], v[2:3], 2, s[0:1]
	global_load_dwordx2 v[4:5], v[2:3], off
	v_pk_mul_f32 v[0:1], s[14:15], v[0:1] op_sel_hi:[0,1]
	s_waitcnt vmcnt(0)
	v_pk_fma_f32 v[0:1], s[12:13], v[4:5], v[0:1] op_sel_hi:[0,1,1]
	global_store_dwordx2 v[2:3], v[0:1], off
.LBB68_22:
	s_endpgm
.LBB68_23:
	s_branch .LBB68_21
	.section	.rodata,"a",@progbits
	.p2align	6, 0x0
	.amdhsa_kernel _ZN9rocsparseL19gebsrmvn_2xn_kernelILj128ELj15ELj32EfEEvi20rocsparse_direction_NS_24const_host_device_scalarIT2_EEPKiS6_PKS3_S8_S4_PS3_21rocsparse_index_base_b
		.amdhsa_group_segment_fixed_size 0
		.amdhsa_private_segment_fixed_size 0
		.amdhsa_kernarg_size 72
		.amdhsa_user_sgpr_count 2
		.amdhsa_user_sgpr_dispatch_ptr 0
		.amdhsa_user_sgpr_queue_ptr 0
		.amdhsa_user_sgpr_kernarg_segment_ptr 1
		.amdhsa_user_sgpr_dispatch_id 0
		.amdhsa_user_sgpr_kernarg_preload_length 0
		.amdhsa_user_sgpr_kernarg_preload_offset 0
		.amdhsa_user_sgpr_private_segment_size 0
		.amdhsa_uses_dynamic_stack 0
		.amdhsa_enable_private_segment 0
		.amdhsa_system_sgpr_workgroup_id_x 1
		.amdhsa_system_sgpr_workgroup_id_y 0
		.amdhsa_system_sgpr_workgroup_id_z 0
		.amdhsa_system_sgpr_workgroup_info 0
		.amdhsa_system_vgpr_workitem_id 0
		.amdhsa_next_free_vgpr 94
		.amdhsa_next_free_sgpr 20
		.amdhsa_accum_offset 96
		.amdhsa_reserve_vcc 1
		.amdhsa_float_round_mode_32 0
		.amdhsa_float_round_mode_16_64 0
		.amdhsa_float_denorm_mode_32 3
		.amdhsa_float_denorm_mode_16_64 3
		.amdhsa_dx10_clamp 1
		.amdhsa_ieee_mode 1
		.amdhsa_fp16_overflow 0
		.amdhsa_tg_split 0
		.amdhsa_exception_fp_ieee_invalid_op 0
		.amdhsa_exception_fp_denorm_src 0
		.amdhsa_exception_fp_ieee_div_zero 0
		.amdhsa_exception_fp_ieee_overflow 0
		.amdhsa_exception_fp_ieee_underflow 0
		.amdhsa_exception_fp_ieee_inexact 0
		.amdhsa_exception_int_div_zero 0
	.end_amdhsa_kernel
	.section	.text._ZN9rocsparseL19gebsrmvn_2xn_kernelILj128ELj15ELj32EfEEvi20rocsparse_direction_NS_24const_host_device_scalarIT2_EEPKiS6_PKS3_S8_S4_PS3_21rocsparse_index_base_b,"axG",@progbits,_ZN9rocsparseL19gebsrmvn_2xn_kernelILj128ELj15ELj32EfEEvi20rocsparse_direction_NS_24const_host_device_scalarIT2_EEPKiS6_PKS3_S8_S4_PS3_21rocsparse_index_base_b,comdat
.Lfunc_end68:
	.size	_ZN9rocsparseL19gebsrmvn_2xn_kernelILj128ELj15ELj32EfEEvi20rocsparse_direction_NS_24const_host_device_scalarIT2_EEPKiS6_PKS3_S8_S4_PS3_21rocsparse_index_base_b, .Lfunc_end68-_ZN9rocsparseL19gebsrmvn_2xn_kernelILj128ELj15ELj32EfEEvi20rocsparse_direction_NS_24const_host_device_scalarIT2_EEPKiS6_PKS3_S8_S4_PS3_21rocsparse_index_base_b
                                        ; -- End function
	.section	.AMDGPU.csdata,"",@progbits
; Kernel info:
; codeLenInByte = 2572
; NumSgprs: 26
; NumVgprs: 94
; NumAgprs: 0
; TotalNumVgprs: 94
; ScratchSize: 0
; MemoryBound: 0
; FloatMode: 240
; IeeeMode: 1
; LDSByteSize: 0 bytes/workgroup (compile time only)
; SGPRBlocks: 3
; VGPRBlocks: 11
; NumSGPRsForWavesPerEU: 26
; NumVGPRsForWavesPerEU: 94
; AccumOffset: 96
; Occupancy: 5
; WaveLimiterHint : 1
; COMPUTE_PGM_RSRC2:SCRATCH_EN: 0
; COMPUTE_PGM_RSRC2:USER_SGPR: 2
; COMPUTE_PGM_RSRC2:TRAP_HANDLER: 0
; COMPUTE_PGM_RSRC2:TGID_X_EN: 1
; COMPUTE_PGM_RSRC2:TGID_Y_EN: 0
; COMPUTE_PGM_RSRC2:TGID_Z_EN: 0
; COMPUTE_PGM_RSRC2:TIDIG_COMP_CNT: 0
; COMPUTE_PGM_RSRC3_GFX90A:ACCUM_OFFSET: 23
; COMPUTE_PGM_RSRC3_GFX90A:TG_SPLIT: 0
	.section	.text._ZN9rocsparseL19gebsrmvn_2xn_kernelILj128ELj15ELj64EfEEvi20rocsparse_direction_NS_24const_host_device_scalarIT2_EEPKiS6_PKS3_S8_S4_PS3_21rocsparse_index_base_b,"axG",@progbits,_ZN9rocsparseL19gebsrmvn_2xn_kernelILj128ELj15ELj64EfEEvi20rocsparse_direction_NS_24const_host_device_scalarIT2_EEPKiS6_PKS3_S8_S4_PS3_21rocsparse_index_base_b,comdat
	.globl	_ZN9rocsparseL19gebsrmvn_2xn_kernelILj128ELj15ELj64EfEEvi20rocsparse_direction_NS_24const_host_device_scalarIT2_EEPKiS6_PKS3_S8_S4_PS3_21rocsparse_index_base_b ; -- Begin function _ZN9rocsparseL19gebsrmvn_2xn_kernelILj128ELj15ELj64EfEEvi20rocsparse_direction_NS_24const_host_device_scalarIT2_EEPKiS6_PKS3_S8_S4_PS3_21rocsparse_index_base_b
	.p2align	8
	.type	_ZN9rocsparseL19gebsrmvn_2xn_kernelILj128ELj15ELj64EfEEvi20rocsparse_direction_NS_24const_host_device_scalarIT2_EEPKiS6_PKS3_S8_S4_PS3_21rocsparse_index_base_b,@function
_ZN9rocsparseL19gebsrmvn_2xn_kernelILj128ELj15ELj64EfEEvi20rocsparse_direction_NS_24const_host_device_scalarIT2_EEPKiS6_PKS3_S8_S4_PS3_21rocsparse_index_base_b: ; @_ZN9rocsparseL19gebsrmvn_2xn_kernelILj128ELj15ELj64EfEEvi20rocsparse_direction_NS_24const_host_device_scalarIT2_EEPKiS6_PKS3_S8_S4_PS3_21rocsparse_index_base_b
; %bb.0:
	s_load_dwordx2 s[16:17], s[0:1], 0x40
	s_load_dwordx2 s[14:15], s[0:1], 0x8
	;; [unrolled: 1-line block ×3, first 2 shown]
	s_waitcnt lgkmcnt(0)
	s_bitcmp1_b32 s17, 0
	s_cselect_b64 s[6:7], -1, 0
	s_xor_b64 s[4:5], s[6:7], -1
	s_and_b64 vcc, exec, s[6:7]
	s_cbranch_vccnz .LBB69_2
; %bb.1:
	s_load_dword s14, s[14:15], 0x0
.LBB69_2:
	s_andn2_b64 vcc, exec, s[4:5]
	s_cbranch_vccnz .LBB69_4
; %bb.3:
	s_load_dword s12, s[12:13], 0x0
.LBB69_4:
	s_waitcnt lgkmcnt(0)
	v_cmp_eq_f32_e64 s[4:5], s14, 0
	v_cmp_eq_f32_e64 s[6:7], s12, 1.0
	s_and_b64 s[4:5], s[4:5], s[6:7]
	s_and_b64 vcc, exec, s[4:5]
	s_cbranch_vccnz .LBB69_22
; %bb.5:
	s_load_dwordx2 s[18:19], s[0:1], 0x0
	v_lshrrev_b32_e32 v1, 6, v0
	v_lshl_or_b32 v2, s2, 1, v1
	s_waitcnt lgkmcnt(0)
	v_cmp_gt_i32_e32 vcc, s18, v2
	s_and_saveexec_b64 s[2:3], vcc
	s_cbranch_execz .LBB69_22
; %bb.6:
	s_load_dwordx8 s[4:11], s[0:1], 0x10
	v_ashrrev_i32_e32 v3, 31, v2
	s_cmp_lg_u32 s19, 0
	s_waitcnt lgkmcnt(0)
	v_lshl_add_u64 v[4:5], v[2:3], 2, s[4:5]
	global_load_dwordx2 v[4:5], v[4:5], off
	v_and_b32_e32 v3, 63, v0
	s_waitcnt vmcnt(0)
	v_subrev_u32_e32 v0, s16, v4
	v_subrev_u32_e32 v26, s16, v5
	v_add_u32_e32 v0, v0, v3
	v_cmp_lt_i32_e64 s[2:3], v0, v26
	s_cbranch_scc0 .LBB69_12
; %bb.7:
	v_mov_b32_e32 v5, 0
	v_mov_b32_e32 v4, v5
	s_and_saveexec_b64 s[4:5], s[2:3]
	s_cbranch_execz .LBB69_11
; %bb.8:
	v_mad_u64_u32 v[6:7], s[18:19], v0, 30, 28
	v_mov_b32_e32 v9, 0
	s_mov_b64 s[18:19], 0
	v_mov_b32_e32 v10, v0
	v_mov_b32_e32 v4, v9
	;; [unrolled: 1-line block ×3, first 2 shown]
.LBB69_9:                               ; =>This Inner Loop Header: Depth=1
	v_ashrrev_i32_e32 v11, 31, v10
	v_subrev_u32_e32 v8, 28, v6
	v_lshl_add_u64 v[14:15], v[10:11], 2, s[6:7]
	v_lshl_add_u64 v[16:17], v[8:9], 2, s[8:9]
	global_load_dword v1, v[14:15], off
	global_load_dwordx2 v[18:19], v[16:17], off
	v_mov_b32_e32 v13, v9
	v_subrev_u32_e32 v8, 26, v6
	v_lshl_add_u64 v[14:15], v[8:9], 2, s[8:9]
	global_load_dwordx2 v[14:15], v[14:15], off
	v_mov_b32_e32 v7, v9
	v_add_u32_e32 v10, 64, v10
	v_cmp_ge_i32_e32 vcc, v10, v26
	s_or_b64 s[18:19], vcc, s[18:19]
	s_waitcnt vmcnt(2)
	v_subrev_u32_e32 v1, s16, v1
	v_mul_lo_u32 v12, v1, 15
	v_lshl_add_u64 v[16:17], v[12:13], 2, s[10:11]
	v_add_u32_e32 v8, 1, v12
	global_load_dword v16, v[16:17], off
	v_lshl_add_u64 v[20:21], v[8:9], 2, s[10:11]
	global_load_dword v20, v[20:21], off
	v_subrev_u32_e32 v8, 24, v6
	v_lshl_add_u64 v[22:23], v[8:9], 2, s[8:9]
	v_add_u32_e32 v8, 2, v12
	v_lshl_add_u64 v[24:25], v[8:9], 2, s[10:11]
	v_subrev_u32_e32 v8, 22, v6
	v_lshl_add_u64 v[28:29], v[8:9], 2, s[8:9]
	v_add_u32_e32 v8, 3, v12
	v_lshl_add_u64 v[30:31], v[8:9], 2, s[10:11]
	;; [unrolled: 4-line block ×4, first 2 shown]
	v_add_u32_e32 v8, -16, v6
	v_lshl_add_u64 v[40:41], v[8:9], 2, s[8:9]
	v_add_u32_e32 v8, 6, v12
	v_lshl_add_u64 v[42:43], v[8:9], 2, s[10:11]
	v_add_u32_e32 v8, -14, v6
	v_lshl_add_u64 v[44:45], v[8:9], 2, s[8:9]
	v_add_u32_e32 v8, 7, v12
	v_lshl_add_u64 v[46:47], v[8:9], 2, s[10:11]
	v_add_u32_e32 v8, -12, v6
	v_lshl_add_u64 v[48:49], v[8:9], 2, s[8:9]
	v_add_u32_e32 v8, 8, v12
	v_lshl_add_u64 v[50:51], v[8:9], 2, s[10:11]
	v_add_u32_e32 v8, -10, v6
	v_lshl_add_u64 v[52:53], v[8:9], 2, s[8:9]
	v_add_u32_e32 v8, 9, v12
	v_lshl_add_u64 v[54:55], v[8:9], 2, s[10:11]
	v_add_u32_e32 v8, -8, v6
	v_lshl_add_u64 v[56:57], v[8:9], 2, s[8:9]
	v_add_u32_e32 v8, 10, v12
	v_lshl_add_u64 v[58:59], v[8:9], 2, s[10:11]
	v_add_u32_e32 v8, -6, v6
	v_lshl_add_u64 v[60:61], v[8:9], 2, s[8:9]
	v_add_u32_e32 v8, 11, v12
	v_lshl_add_u64 v[62:63], v[8:9], 2, s[10:11]
	v_add_u32_e32 v8, -4, v6
	s_waitcnt vmcnt(1)
	v_pk_fma_f32 v[4:5], v[18:19], v[16:17], v[4:5] op_sel_hi:[1,0,1]
	v_lshl_add_u64 v[16:17], v[8:9], 2, s[8:9]
	v_add_u32_e32 v8, 12, v12
	v_lshl_add_u64 v[18:19], v[8:9], 2, s[10:11]
	v_add_u32_e32 v8, -2, v6
	s_waitcnt vmcnt(0)
	v_pk_fma_f32 v[4:5], v[14:15], v[20:21], v[4:5] op_sel_hi:[1,0,1]
	v_lshl_add_u64 v[14:15], v[8:9], 2, s[8:9]
	v_add_u32_e32 v8, 13, v12
	v_lshl_add_u64 v[20:21], v[8:9], 2, s[10:11]
	v_add_u32_e32 v8, 14, v12
	v_lshl_add_u64 v[12:13], v[6:7], 2, s[8:9]
	global_load_dwordx2 v[64:65], v[12:13], off
	global_load_dwordx2 v[66:67], v[22:23], off
	global_load_dword v68, v[24:25], off
	global_load_dwordx2 v[70:71], v[28:29], off
	global_load_dword v72, v[30:31], off
	;; [unrolled: 2-line block ×7, first 2 shown]
                                        ; kill: killed $vgpr34_vgpr35
                                        ; kill: killed $vgpr24_vgpr25
                                        ; kill: killed $vgpr32_vgpr33
                                        ; kill: killed $vgpr12_vgpr13
                                        ; kill: killed $vgpr50_vgpr51
                                        ; kill: killed $vgpr48_vgpr49
                                        ; kill: killed $vgpr46_vgpr47
                                        ; kill: killed $vgpr44_vgpr45
                                        ; kill: killed $vgpr42_vgpr43
                                        ; kill: killed $vgpr40_vgpr41
                                        ; kill: killed $vgpr38_vgpr39
                                        ; kill: killed $vgpr22_vgpr23
                                        ; kill: killed $vgpr30_vgpr31
                                        ; kill: killed $vgpr36_vgpr37
                                        ; kill: killed $vgpr28_vgpr29
	global_load_dwordx2 v[12:13], v[52:53], off
	global_load_dword v22, v[54:55], off
	global_load_dwordx2 v[24:25], v[56:57], off
	global_load_dword v28, v[58:59], off
	;; [unrolled: 2-line block ×5, first 2 shown]
	v_lshl_add_u64 v[14:15], v[8:9], 2, s[10:11]
	global_load_dword v8, v[14:15], off
	v_add_u32_e32 v6, 0x780, v6
	s_waitcnt vmcnt(23)
	v_pk_fma_f32 v[4:5], v[66:67], v[68:69], v[4:5] op_sel_hi:[1,0,1]
	s_waitcnt vmcnt(21)
	v_pk_fma_f32 v[4:5], v[70:71], v[72:73], v[4:5] op_sel_hi:[1,0,1]
	;; [unrolled: 2-line block ×13, first 2 shown]
	s_andn2_b64 exec, exec, s[18:19]
	s_cbranch_execnz .LBB69_9
; %bb.10:
	s_or_b64 exec, exec, s[18:19]
.LBB69_11:
	s_or_b64 exec, exec, s[4:5]
	s_cbranch_execz .LBB69_13
	s_branch .LBB69_18
.LBB69_12:
                                        ; implicit-def: $vgpr5
.LBB69_13:
	v_mov_b32_e32 v5, 0
	v_mov_b32_e32 v4, v5
	s_and_saveexec_b64 s[4:5], s[2:3]
	s_cbranch_execz .LBB69_17
; %bb.14:
	v_mad_u64_u32 v[6:7], s[2:3], v0, 30, 29
	v_mov_b32_e32 v9, 0
	s_mov_b64 s[2:3], 0
	v_mov_b32_e32 v4, v9
	v_mov_b32_e32 v5, v9
.LBB69_15:                              ; =>This Inner Loop Header: Depth=1
	v_ashrrev_i32_e32 v1, 31, v0
	v_subrev_u32_e32 v8, 29, v6
	v_add_u32_e32 v12, -14, v6
	v_mov_b32_e32 v13, v9
	v_lshl_add_u64 v[14:15], v[0:1], 2, s[6:7]
	v_lshl_add_u64 v[16:17], v[8:9], 2, s[8:9]
	;; [unrolled: 1-line block ×3, first 2 shown]
	global_load_dword v1, v[14:15], off
	global_load_dwordx2 v[18:19], v[16:17], off
	global_load_dword v29, v[12:13], off
	v_mov_b32_e32 v11, v9
	v_mov_b32_e32 v7, v9
	v_add_u32_e32 v0, 64, v0
	v_cmp_ge_i32_e32 vcc, v0, v26
	s_or_b64 s[2:3], vcc, s[2:3]
	s_waitcnt vmcnt(2)
	v_subrev_u32_e32 v1, s16, v1
	v_mul_lo_u32 v10, v1, 15
	v_lshl_add_u64 v[12:13], v[10:11], 2, s[10:11]
	global_load_dword v32, v[12:13], off
	v_add_u32_e32 v8, 1, v10
	v_lshl_add_u64 v[12:13], v[8:9], 2, s[10:11]
	v_add_u32_e32 v8, -13, v6
	global_load_dword v34, v[12:13], off
	v_lshl_add_u64 v[14:15], v[8:9], 2, s[8:9]
	v_subrev_u32_e32 v8, 27, v6
	v_lshl_add_u64 v[16:17], v[8:9], 2, s[8:9]
	global_load_dword v31, v[14:15], off
	global_load_dword v12, v[16:17], off
	v_add_u32_e32 v8, 2, v10
	v_lshl_add_u64 v[16:17], v[8:9], 2, s[10:11]
	v_add_u32_e32 v8, -12, v6
	s_waitcnt vmcnt(5)
	v_mov_b32_e32 v28, v18
	v_mov_b32_e32 v30, v19
	v_lshl_add_u64 v[18:19], v[8:9], 2, s[8:9]
	v_subrev_u32_e32 v8, 26, v6
	v_lshl_add_u64 v[20:21], v[8:9], 2, s[8:9]
	v_add_u32_e32 v8, 3, v10
	global_load_dword v13, v[18:19], off
	global_load_dword v14, v[20:21], off
	v_lshl_add_u64 v[20:21], v[8:9], 2, s[10:11]
	v_add_u32_e32 v8, -11, v6
	v_lshl_add_u64 v[22:23], v[8:9], 2, s[8:9]
	v_subrev_u32_e32 v8, 25, v6
	v_lshl_add_u64 v[24:25], v[8:9], 2, s[8:9]
	v_add_u32_e32 v8, 4, v10
	global_load_dword v15, v[22:23], off
	global_load_dword v18, v[24:25], off
	v_lshl_add_u64 v[24:25], v[8:9], 2, s[10:11]
	v_add_u32_e32 v8, -10, v6
	;; [unrolled: 8-line block ×9, first 2 shown]
	s_waitcnt vmcnt(21)
	v_pk_fma_f32 v[4:5], v[28:29], v[32:33], v[4:5] op_sel_hi:[1,0,1]
	v_lshl_add_u64 v[28:29], v[8:9], 2, s[8:9]
	v_subrev_u32_e32 v8, 17, v6
	v_lshl_add_u64 v[32:33], v[8:9], 2, s[8:9]
	v_add_u32_e32 v8, 12, v10
	global_load_dword v63, v[28:29], off
	global_load_dword v60, v[32:33], off
	v_lshl_add_u64 v[28:29], v[8:9], 2, s[10:11]
	v_add_u32_e32 v8, -2, v6
	s_waitcnt vmcnt(21)
	v_pk_fma_f32 v[4:5], v[30:31], v[34:35], v[4:5] op_sel_hi:[1,0,1]
	v_lshl_add_u64 v[30:31], v[8:9], 2, s[8:9]
	v_add_u32_e32 v8, -16, v6
	v_lshl_add_u64 v[32:33], v[8:9], 2, s[8:9]
	v_add_u32_e32 v8, 13, v10
	global_load_dword v61, v[30:31], off
	v_lshl_add_u64 v[30:31], v[8:9], 2, s[10:11]
	v_add_u32_e32 v8, -1, v6
	v_lshl_add_u64 v[34:35], v[8:9], 2, s[8:9]
	v_add_u32_e32 v8, -15, v6
	v_lshl_add_u64 v[64:65], v[8:9], 2, s[8:9]
	v_add_u32_e32 v8, 14, v10
	global_load_dword v10, v[32:33], off
	global_load_dword v11, v[34:35], off
	v_lshl_add_u64 v[32:33], v[6:7], 2, s[8:9]
	global_load_dword v35, v[32:33], off
	global_load_dword v34, v[64:65], off
	;; [unrolled: 1-line block ×14, first 2 shown]
	v_add_u32_e32 v6, 0x780, v6
	s_waitcnt vmcnt(11)
	v_pk_fma_f32 v[4:5], v[12:13], v[66:67], v[4:5] op_sel_hi:[1,0,1]
	v_lshl_add_u64 v[12:13], v[8:9], 2, s[10:11]
	global_load_dword v8, v[12:13], off
	s_waitcnt vmcnt(11)
	v_pk_fma_f32 v[4:5], v[14:15], v[68:69], v[4:5] op_sel_hi:[1,0,1]
	s_waitcnt vmcnt(10)
	v_pk_fma_f32 v[4:5], v[18:19], v[70:71], v[4:5] op_sel_hi:[1,0,1]
	s_waitcnt vmcnt(9)
	v_pk_fma_f32 v[4:5], v[22:23], v[72:73], v[4:5] op_sel_hi:[1,0,1]
	s_waitcnt vmcnt(8)
	v_pk_fma_f32 v[4:5], v[42:43], v[74:75], v[4:5] op_sel_hi:[1,0,1]
	s_waitcnt vmcnt(7)
	v_pk_fma_f32 v[4:5], v[46:47], v[76:77], v[4:5] op_sel_hi:[1,0,1]
	s_waitcnt vmcnt(6)
	v_pk_fma_f32 v[4:5], v[50:51], v[78:79], v[4:5] op_sel_hi:[1,0,1]
	s_waitcnt vmcnt(5)
	v_pk_fma_f32 v[4:5], v[54:55], v[80:81], v[4:5] op_sel_hi:[1,0,1]
	s_waitcnt vmcnt(4)
	v_pk_fma_f32 v[4:5], v[58:59], v[82:83], v[4:5] op_sel_hi:[1,0,1]
	s_waitcnt vmcnt(3)
	v_pk_fma_f32 v[4:5], v[62:63], v[84:85], v[4:5] op_sel_hi:[1,0,1]
	s_waitcnt vmcnt(2)
	v_pk_fma_f32 v[4:5], v[60:61], v[86:87], v[4:5] op_sel_hi:[1,0,1]
	s_waitcnt vmcnt(1)
	v_pk_fma_f32 v[4:5], v[10:11], v[88:89], v[4:5] op_sel_hi:[1,0,1]
	s_waitcnt vmcnt(0)
	v_pk_fma_f32 v[4:5], v[34:35], v[8:9], v[4:5] op_sel_hi:[1,0,1]
	s_andn2_b64 exec, exec, s[2:3]
	s_cbranch_execnz .LBB69_15
; %bb.16:
	s_or_b64 exec, exec, s[2:3]
.LBB69_17:
	s_or_b64 exec, exec, s[4:5]
.LBB69_18:
	v_mov_b32_dpp v0, v4 row_shr:1 row_mask:0xf bank_mask:0xf
	v_mov_b32_dpp v1, v5 row_shr:1 row_mask:0xf bank_mask:0xf
	v_pk_add_f32 v[0:1], v[4:5], v[0:1]
	v_cmp_eq_u32_e32 vcc, 63, v3
	s_nop 0
	v_mov_b32_dpp v4, v0 row_shr:2 row_mask:0xf bank_mask:0xf
	v_mov_b32_dpp v5, v1 row_shr:2 row_mask:0xf bank_mask:0xf
	v_pk_add_f32 v[0:1], v[0:1], v[4:5]
	s_nop 1
	v_mov_b32_dpp v4, v0 row_shr:4 row_mask:0xf bank_mask:0xe
	v_mov_b32_dpp v5, v1 row_shr:4 row_mask:0xf bank_mask:0xe
	v_pk_add_f32 v[0:1], v[0:1], v[4:5]
	;; [unrolled: 4-line block ×3, first 2 shown]
	s_nop 1
	v_mov_b32_dpp v4, v0 row_bcast:15 row_mask:0xa bank_mask:0xf
	v_mov_b32_dpp v5, v1 row_bcast:15 row_mask:0xa bank_mask:0xf
	v_pk_add_f32 v[0:1], v[0:1], v[4:5]
	s_nop 1
	v_mov_b32_dpp v4, v0 row_bcast:31 row_mask:0xc bank_mask:0xf
	v_mov_b32_dpp v5, v1 row_bcast:31 row_mask:0xc bank_mask:0xf
	s_and_b64 exec, exec, vcc
	s_cbranch_execz .LBB69_22
; %bb.19:
	s_load_dwordx2 s[0:1], s[0:1], 0x38
	v_cmp_eq_f32_e64 s[2:3], s12, 0
	v_pk_add_f32 v[0:1], v[0:1], v[4:5]
	s_and_b64 vcc, exec, s[2:3]
	v_lshlrev_b32_e32 v2, 1, v2
	s_cbranch_vccz .LBB69_23
; %bb.20:
	v_ashrrev_i32_e32 v3, 31, v2
	s_waitcnt lgkmcnt(0)
	v_lshl_add_u64 v[4:5], v[2:3], 2, s[0:1]
	v_pk_mul_f32 v[6:7], s[14:15], v[0:1] op_sel_hi:[0,1]
	global_store_dwordx2 v[4:5], v[6:7], off
	s_cbranch_execnz .LBB69_22
.LBB69_21:
	v_ashrrev_i32_e32 v3, 31, v2
	s_waitcnt lgkmcnt(0)
	v_lshl_add_u64 v[2:3], v[2:3], 2, s[0:1]
	global_load_dwordx2 v[4:5], v[2:3], off
	v_pk_mul_f32 v[0:1], s[14:15], v[0:1] op_sel_hi:[0,1]
	s_waitcnt vmcnt(0)
	v_pk_fma_f32 v[0:1], s[12:13], v[4:5], v[0:1] op_sel_hi:[0,1,1]
	global_store_dwordx2 v[2:3], v[0:1], off
.LBB69_22:
	s_endpgm
.LBB69_23:
	s_branch .LBB69_21
	.section	.rodata,"a",@progbits
	.p2align	6, 0x0
	.amdhsa_kernel _ZN9rocsparseL19gebsrmvn_2xn_kernelILj128ELj15ELj64EfEEvi20rocsparse_direction_NS_24const_host_device_scalarIT2_EEPKiS6_PKS3_S8_S4_PS3_21rocsparse_index_base_b
		.amdhsa_group_segment_fixed_size 0
		.amdhsa_private_segment_fixed_size 0
		.amdhsa_kernarg_size 72
		.amdhsa_user_sgpr_count 2
		.amdhsa_user_sgpr_dispatch_ptr 0
		.amdhsa_user_sgpr_queue_ptr 0
		.amdhsa_user_sgpr_kernarg_segment_ptr 1
		.amdhsa_user_sgpr_dispatch_id 0
		.amdhsa_user_sgpr_kernarg_preload_length 0
		.amdhsa_user_sgpr_kernarg_preload_offset 0
		.amdhsa_user_sgpr_private_segment_size 0
		.amdhsa_uses_dynamic_stack 0
		.amdhsa_enable_private_segment 0
		.amdhsa_system_sgpr_workgroup_id_x 1
		.amdhsa_system_sgpr_workgroup_id_y 0
		.amdhsa_system_sgpr_workgroup_id_z 0
		.amdhsa_system_sgpr_workgroup_info 0
		.amdhsa_system_vgpr_workitem_id 0
		.amdhsa_next_free_vgpr 94
		.amdhsa_next_free_sgpr 20
		.amdhsa_accum_offset 96
		.amdhsa_reserve_vcc 1
		.amdhsa_float_round_mode_32 0
		.amdhsa_float_round_mode_16_64 0
		.amdhsa_float_denorm_mode_32 3
		.amdhsa_float_denorm_mode_16_64 3
		.amdhsa_dx10_clamp 1
		.amdhsa_ieee_mode 1
		.amdhsa_fp16_overflow 0
		.amdhsa_tg_split 0
		.amdhsa_exception_fp_ieee_invalid_op 0
		.amdhsa_exception_fp_denorm_src 0
		.amdhsa_exception_fp_ieee_div_zero 0
		.amdhsa_exception_fp_ieee_overflow 0
		.amdhsa_exception_fp_ieee_underflow 0
		.amdhsa_exception_fp_ieee_inexact 0
		.amdhsa_exception_int_div_zero 0
	.end_amdhsa_kernel
	.section	.text._ZN9rocsparseL19gebsrmvn_2xn_kernelILj128ELj15ELj64EfEEvi20rocsparse_direction_NS_24const_host_device_scalarIT2_EEPKiS6_PKS3_S8_S4_PS3_21rocsparse_index_base_b,"axG",@progbits,_ZN9rocsparseL19gebsrmvn_2xn_kernelILj128ELj15ELj64EfEEvi20rocsparse_direction_NS_24const_host_device_scalarIT2_EEPKiS6_PKS3_S8_S4_PS3_21rocsparse_index_base_b,comdat
.Lfunc_end69:
	.size	_ZN9rocsparseL19gebsrmvn_2xn_kernelILj128ELj15ELj64EfEEvi20rocsparse_direction_NS_24const_host_device_scalarIT2_EEPKiS6_PKS3_S8_S4_PS3_21rocsparse_index_base_b, .Lfunc_end69-_ZN9rocsparseL19gebsrmvn_2xn_kernelILj128ELj15ELj64EfEEvi20rocsparse_direction_NS_24const_host_device_scalarIT2_EEPKiS6_PKS3_S8_S4_PS3_21rocsparse_index_base_b
                                        ; -- End function
	.section	.AMDGPU.csdata,"",@progbits
; Kernel info:
; codeLenInByte = 2600
; NumSgprs: 26
; NumVgprs: 94
; NumAgprs: 0
; TotalNumVgprs: 94
; ScratchSize: 0
; MemoryBound: 0
; FloatMode: 240
; IeeeMode: 1
; LDSByteSize: 0 bytes/workgroup (compile time only)
; SGPRBlocks: 3
; VGPRBlocks: 11
; NumSGPRsForWavesPerEU: 26
; NumVGPRsForWavesPerEU: 94
; AccumOffset: 96
; Occupancy: 5
; WaveLimiterHint : 1
; COMPUTE_PGM_RSRC2:SCRATCH_EN: 0
; COMPUTE_PGM_RSRC2:USER_SGPR: 2
; COMPUTE_PGM_RSRC2:TRAP_HANDLER: 0
; COMPUTE_PGM_RSRC2:TGID_X_EN: 1
; COMPUTE_PGM_RSRC2:TGID_Y_EN: 0
; COMPUTE_PGM_RSRC2:TGID_Z_EN: 0
; COMPUTE_PGM_RSRC2:TIDIG_COMP_CNT: 0
; COMPUTE_PGM_RSRC3_GFX90A:ACCUM_OFFSET: 23
; COMPUTE_PGM_RSRC3_GFX90A:TG_SPLIT: 0
	.section	.text._ZN9rocsparseL19gebsrmvn_2xn_kernelILj128ELj16ELj4EfEEvi20rocsparse_direction_NS_24const_host_device_scalarIT2_EEPKiS6_PKS3_S8_S4_PS3_21rocsparse_index_base_b,"axG",@progbits,_ZN9rocsparseL19gebsrmvn_2xn_kernelILj128ELj16ELj4EfEEvi20rocsparse_direction_NS_24const_host_device_scalarIT2_EEPKiS6_PKS3_S8_S4_PS3_21rocsparse_index_base_b,comdat
	.globl	_ZN9rocsparseL19gebsrmvn_2xn_kernelILj128ELj16ELj4EfEEvi20rocsparse_direction_NS_24const_host_device_scalarIT2_EEPKiS6_PKS3_S8_S4_PS3_21rocsparse_index_base_b ; -- Begin function _ZN9rocsparseL19gebsrmvn_2xn_kernelILj128ELj16ELj4EfEEvi20rocsparse_direction_NS_24const_host_device_scalarIT2_EEPKiS6_PKS3_S8_S4_PS3_21rocsparse_index_base_b
	.p2align	8
	.type	_ZN9rocsparseL19gebsrmvn_2xn_kernelILj128ELj16ELj4EfEEvi20rocsparse_direction_NS_24const_host_device_scalarIT2_EEPKiS6_PKS3_S8_S4_PS3_21rocsparse_index_base_b,@function
_ZN9rocsparseL19gebsrmvn_2xn_kernelILj128ELj16ELj4EfEEvi20rocsparse_direction_NS_24const_host_device_scalarIT2_EEPKiS6_PKS3_S8_S4_PS3_21rocsparse_index_base_b: ; @_ZN9rocsparseL19gebsrmvn_2xn_kernelILj128ELj16ELj4EfEEvi20rocsparse_direction_NS_24const_host_device_scalarIT2_EEPKiS6_PKS3_S8_S4_PS3_21rocsparse_index_base_b
; %bb.0:
	s_load_dwordx2 s[16:17], s[0:1], 0x40
	s_load_dwordx2 s[14:15], s[0:1], 0x8
	;; [unrolled: 1-line block ×3, first 2 shown]
	s_waitcnt lgkmcnt(0)
	s_bitcmp1_b32 s17, 0
	s_cselect_b64 s[6:7], -1, 0
	s_xor_b64 s[4:5], s[6:7], -1
	s_and_b64 vcc, exec, s[6:7]
	s_cbranch_vccnz .LBB70_2
; %bb.1:
	s_load_dword s14, s[14:15], 0x0
.LBB70_2:
	s_andn2_b64 vcc, exec, s[4:5]
	s_cbranch_vccnz .LBB70_4
; %bb.3:
	s_load_dword s12, s[12:13], 0x0
.LBB70_4:
	s_waitcnt lgkmcnt(0)
	v_cmp_eq_f32_e64 s[4:5], s14, 0
	v_cmp_eq_f32_e64 s[6:7], s12, 1.0
	s_and_b64 s[4:5], s[4:5], s[6:7]
	s_and_b64 vcc, exec, s[4:5]
	s_cbranch_vccnz .LBB70_22
; %bb.5:
	s_load_dwordx2 s[18:19], s[0:1], 0x0
	v_lshrrev_b32_e32 v1, 2, v0
	v_lshl_or_b32 v2, s2, 5, v1
	s_waitcnt lgkmcnt(0)
	v_cmp_gt_i32_e32 vcc, s18, v2
	s_and_saveexec_b64 s[2:3], vcc
	s_cbranch_execz .LBB70_22
; %bb.6:
	s_load_dwordx8 s[4:11], s[0:1], 0x10
	v_ashrrev_i32_e32 v3, 31, v2
	s_cmp_lg_u32 s19, 0
	s_waitcnt lgkmcnt(0)
	v_lshl_add_u64 v[4:5], v[2:3], 2, s[4:5]
	global_load_dwordx2 v[4:5], v[4:5], off
	v_and_b32_e32 v3, 3, v0
	s_waitcnt vmcnt(0)
	v_subrev_u32_e32 v0, s16, v4
	v_subrev_u32_e32 v10, s16, v5
	v_add_u32_e32 v0, v0, v3
	v_cmp_lt_i32_e64 s[2:3], v0, v10
	s_cbranch_scc0 .LBB70_12
; %bb.7:
	v_mov_b32_e32 v5, 0
	v_mov_b32_e32 v4, v5
	s_and_saveexec_b64 s[4:5], s[2:3]
	s_cbranch_execz .LBB70_11
; %bb.8:
	v_mov_b32_e32 v7, 0
	v_lshlrev_b32_e32 v6, 5, v0
	s_mov_b64 s[18:19], 0
	v_mov_b32_e32 v8, v0
	v_mov_b32_e32 v4, v7
	;; [unrolled: 1-line block ×3, first 2 shown]
.LBB70_9:                               ; =>This Inner Loop Header: Depth=1
	v_ashrrev_i32_e32 v9, 31, v8
	v_lshl_add_u64 v[12:13], v[8:9], 2, s[6:7]
	global_load_dword v1, v[12:13], off
	v_lshl_add_u64 v[60:61], v[6:7], 2, s[8:9]
	global_load_dwordx4 v[12:15], v[60:61], off offset:48
	global_load_dwordx4 v[16:19], v[60:61], off offset:32
	;; [unrolled: 1-line block ×3, first 2 shown]
	global_load_dwordx4 v[24:27], v[60:61], off
	global_load_dwordx4 v[28:31], v[60:61], off offset:80
	global_load_dwordx4 v[32:35], v[60:61], off offset:64
	v_mov_b32_e32 v37, v7
	v_add_u32_e32 v8, 4, v8
	v_cmp_ge_i32_e32 vcc, v8, v10
	v_add_u32_e32 v6, 0x80, v6
	s_or_b64 s[18:19], vcc, s[18:19]
	s_waitcnt vmcnt(6)
	v_subrev_u32_e32 v1, s16, v1
	v_lshlrev_b32_e32 v36, 4, v1
	v_lshl_add_u64 v[62:63], v[36:37], 2, s[10:11]
	global_load_dwordx4 v[36:39], v[62:63], off
	global_load_dwordx4 v[40:43], v[62:63], off offset:16
	global_load_dwordx4 v[44:47], v[62:63], off offset:32
	;; [unrolled: 1-line block ×5, first 2 shown]
	s_waitcnt vmcnt(5)
	v_pk_fma_f32 v[4:5], v[24:25], v[36:37], v[4:5] op_sel_hi:[1,0,1]
	s_nop 0
	v_pk_fma_f32 v[4:5], v[26:27], v[36:37], v[4:5] op_sel:[0,1,0]
	v_mov_b32_e32 v24, v39
	v_pk_fma_f32 v[4:5], v[20:21], v[38:39], v[4:5] op_sel_hi:[1,0,1]
	s_waitcnt vmcnt(4)
	v_mov_b32_e32 v60, v43
	v_pk_fma_f32 v[4:5], v[22:23], v[24:25], v[4:5] op_sel_hi:[1,0,1]
	s_waitcnt vmcnt(3)
	;; [unrolled: 3-line block ×3, first 2 shown]
	v_mov_b32_e32 v36, v51
	v_pk_fma_f32 v[4:5], v[18:19], v[40:41], v[4:5] op_sel:[0,1,0]
	s_nop 0
	v_pk_fma_f32 v[4:5], v[12:13], v[42:43], v[4:5] op_sel_hi:[1,0,1]
	s_nop 0
	v_pk_fma_f32 v[4:5], v[14:15], v[60:61], v[4:5] op_sel_hi:[1,0,1]
	s_nop 0
	v_pk_fma_f32 v[4:5], v[32:33], v[44:45], v[4:5] op_sel_hi:[1,0,1]
	s_nop 0
	v_pk_fma_f32 v[4:5], v[34:35], v[44:45], v[4:5] op_sel:[0,1,0]
	s_nop 0
	v_pk_fma_f32 v[4:5], v[28:29], v[46:47], v[4:5] op_sel_hi:[1,0,1]
	s_nop 0
	v_pk_fma_f32 v[4:5], v[30:31], v[26:27], v[4:5] op_sel_hi:[1,0,1]
	s_waitcnt vmcnt(1)
	v_pk_fma_f32 v[4:5], v[52:53], v[48:49], v[4:5] op_sel_hi:[1,0,1]
	s_nop 0
	v_pk_fma_f32 v[4:5], v[54:55], v[48:49], v[4:5] op_sel:[0,1,0]
	s_waitcnt vmcnt(0)
	v_pk_fma_f32 v[4:5], v[56:57], v[50:51], v[4:5] op_sel_hi:[1,0,1]
	s_nop 0
	v_pk_fma_f32 v[4:5], v[58:59], v[36:37], v[4:5] op_sel_hi:[1,0,1]
	s_andn2_b64 exec, exec, s[18:19]
	s_cbranch_execnz .LBB70_9
; %bb.10:
	s_or_b64 exec, exec, s[18:19]
.LBB70_11:
	s_or_b64 exec, exec, s[4:5]
	s_cbranch_execz .LBB70_13
	s_branch .LBB70_18
.LBB70_12:
                                        ; implicit-def: $vgpr5
.LBB70_13:
	v_mov_b32_e32 v5, 0
	v_mov_b32_e32 v4, v5
	s_and_saveexec_b64 s[4:5], s[2:3]
	s_cbranch_execz .LBB70_17
; %bb.14:
	v_mov_b32_e32 v7, 0
	v_lshlrev_b32_e32 v6, 5, v0
	s_mov_b64 s[2:3], 0
	v_mov_b32_e32 v4, v7
	v_mov_b32_e32 v5, v7
.LBB70_15:                              ; =>This Inner Loop Header: Depth=1
	v_ashrrev_i32_e32 v1, 31, v0
	v_lshl_add_u64 v[8:9], v[0:1], 2, s[6:7]
	global_load_dword v1, v[8:9], off
	v_lshl_add_u64 v[8:9], v[6:7], 2, s[8:9]
	v_mov_b32_e32 v45, v7
	global_load_dwordx4 v[12:15], v[8:9], off
	global_load_dwordx4 v[16:19], v[8:9], off offset:64
	global_load_dwordx4 v[20:23], v[8:9], off offset:16
	;; [unrolled: 1-line block ×7, first 2 shown]
	v_add_u32_e32 v0, 4, v0
	v_cmp_ge_i32_e32 vcc, v0, v10
	v_add_u32_e32 v6, 0x80, v6
	s_or_b64 s[2:3], vcc, s[2:3]
	s_waitcnt vmcnt(8)
	v_subrev_u32_e32 v1, s16, v1
	v_lshlrev_b32_e32 v44, 4, v1
	v_lshl_add_u64 v[8:9], v[44:45], 2, s[10:11]
	global_load_dwordx4 v[44:47], v[8:9], off
	global_load_dwordx4 v[48:51], v[8:9], off offset:16
	global_load_dwordx4 v[52:55], v[8:9], off offset:32
	;; [unrolled: 1-line block ×3, first 2 shown]
	s_waitcnt vmcnt(11)
	v_mov_b32_e32 v8, v12
	s_waitcnt vmcnt(10)
	v_mov_b32_e32 v9, v16
	v_mov_b32_e32 v16, v13
	;; [unrolled: 1-line block ×5, first 2 shown]
	s_waitcnt vmcnt(9)
	v_mov_b32_e32 v14, v20
	s_waitcnt vmcnt(8)
	v_mov_b32_e32 v15, v24
	v_mov_b32_e32 v24, v21
	;; [unrolled: 1-line block ×5, first 2 shown]
	s_waitcnt vmcnt(7)
	v_mov_b32_e32 v22, v28
	v_mov_b32_e32 v28, v30
	s_waitcnt vmcnt(5)
	v_mov_b32_e32 v30, v36
	v_mov_b32_e32 v36, v38
	;; [unrolled: 1-line block ×6, first 2 shown]
	s_waitcnt vmcnt(4)
	v_mov_b32_e32 v31, v40
	v_mov_b32_e32 v40, v37
	;; [unrolled: 1-line block ×4, first 2 shown]
	s_waitcnt vmcnt(3)
	v_pk_fma_f32 v[4:5], v[8:9], v[44:45], v[4:5] op_sel_hi:[1,0,1]
	s_nop 0
	v_pk_fma_f32 v[4:5], v[16:17], v[44:45], v[4:5] op_sel:[0,1,0]
	v_mov_b32_e32 v8, v47
	v_pk_fma_f32 v[4:5], v[12:13], v[46:47], v[4:5] op_sel_hi:[1,0,1]
	s_waitcnt vmcnt(2)
	v_mov_b32_e32 v38, v51
	v_pk_fma_f32 v[4:5], v[18:19], v[8:9], v[4:5] op_sel_hi:[1,0,1]
	s_waitcnt vmcnt(1)
	v_mov_b32_e32 v60, v55
	v_pk_fma_f32 v[4:5], v[14:15], v[48:49], v[4:5] op_sel_hi:[1,0,1]
	s_waitcnt vmcnt(0)
	v_mov_b32_e32 v12, v59
	v_pk_fma_f32 v[4:5], v[24:25], v[48:49], v[4:5] op_sel:[0,1,0]
	s_nop 0
	v_pk_fma_f32 v[4:5], v[20:21], v[50:51], v[4:5] op_sel_hi:[1,0,1]
	s_nop 0
	v_pk_fma_f32 v[4:5], v[26:27], v[38:39], v[4:5] op_sel_hi:[1,0,1]
	;; [unrolled: 2-line block ×3, first 2 shown]
	s_nop 0
	v_pk_fma_f32 v[4:5], v[32:33], v[52:53], v[4:5] op_sel:[0,1,0]
	s_nop 0
	v_pk_fma_f32 v[4:5], v[28:29], v[54:55], v[4:5] op_sel_hi:[1,0,1]
	s_nop 0
	v_pk_fma_f32 v[4:5], v[34:35], v[60:61], v[4:5] op_sel_hi:[1,0,1]
	;; [unrolled: 2-line block ×3, first 2 shown]
	s_nop 0
	v_pk_fma_f32 v[4:5], v[40:41], v[56:57], v[4:5] op_sel:[0,1,0]
	s_nop 0
	v_pk_fma_f32 v[4:5], v[36:37], v[58:59], v[4:5] op_sel_hi:[1,0,1]
	s_nop 0
	v_pk_fma_f32 v[4:5], v[42:43], v[12:13], v[4:5] op_sel_hi:[1,0,1]
	s_andn2_b64 exec, exec, s[2:3]
	s_cbranch_execnz .LBB70_15
; %bb.16:
	s_or_b64 exec, exec, s[2:3]
.LBB70_17:
	s_or_b64 exec, exec, s[4:5]
.LBB70_18:
	v_mov_b32_dpp v0, v4 row_shr:1 row_mask:0xf bank_mask:0xf
	v_mov_b32_dpp v1, v5 row_shr:1 row_mask:0xf bank_mask:0xf
	v_pk_add_f32 v[0:1], v[4:5], v[0:1]
	v_cmp_eq_u32_e32 vcc, 3, v3
	s_nop 0
	v_mov_b32_dpp v4, v0 row_shr:2 row_mask:0xf bank_mask:0xf
	v_mov_b32_dpp v5, v1 row_shr:2 row_mask:0xf bank_mask:0xf
	s_and_b64 exec, exec, vcc
	s_cbranch_execz .LBB70_22
; %bb.19:
	s_load_dwordx2 s[0:1], s[0:1], 0x38
	v_cmp_eq_f32_e64 s[2:3], s12, 0
	v_pk_add_f32 v[0:1], v[0:1], v[4:5]
	s_and_b64 vcc, exec, s[2:3]
	v_lshlrev_b32_e32 v2, 1, v2
	s_cbranch_vccz .LBB70_23
; %bb.20:
	v_ashrrev_i32_e32 v3, 31, v2
	s_waitcnt lgkmcnt(0)
	v_lshl_add_u64 v[4:5], v[2:3], 2, s[0:1]
	v_pk_mul_f32 v[6:7], s[14:15], v[0:1] op_sel_hi:[0,1]
	global_store_dwordx2 v[4:5], v[6:7], off
	s_cbranch_execnz .LBB70_22
.LBB70_21:
	v_ashrrev_i32_e32 v3, 31, v2
	s_waitcnt lgkmcnt(0)
	v_lshl_add_u64 v[2:3], v[2:3], 2, s[0:1]
	global_load_dwordx2 v[4:5], v[2:3], off
	v_pk_mul_f32 v[0:1], s[14:15], v[0:1] op_sel_hi:[0,1]
	s_waitcnt vmcnt(0)
	v_pk_fma_f32 v[0:1], s[12:13], v[4:5], v[0:1] op_sel_hi:[0,1,1]
	global_store_dwordx2 v[2:3], v[0:1], off
.LBB70_22:
	s_endpgm
.LBB70_23:
	s_branch .LBB70_21
	.section	.rodata,"a",@progbits
	.p2align	6, 0x0
	.amdhsa_kernel _ZN9rocsparseL19gebsrmvn_2xn_kernelILj128ELj16ELj4EfEEvi20rocsparse_direction_NS_24const_host_device_scalarIT2_EEPKiS6_PKS3_S8_S4_PS3_21rocsparse_index_base_b
		.amdhsa_group_segment_fixed_size 0
		.amdhsa_private_segment_fixed_size 0
		.amdhsa_kernarg_size 72
		.amdhsa_user_sgpr_count 2
		.amdhsa_user_sgpr_dispatch_ptr 0
		.amdhsa_user_sgpr_queue_ptr 0
		.amdhsa_user_sgpr_kernarg_segment_ptr 1
		.amdhsa_user_sgpr_dispatch_id 0
		.amdhsa_user_sgpr_kernarg_preload_length 0
		.amdhsa_user_sgpr_kernarg_preload_offset 0
		.amdhsa_user_sgpr_private_segment_size 0
		.amdhsa_uses_dynamic_stack 0
		.amdhsa_enable_private_segment 0
		.amdhsa_system_sgpr_workgroup_id_x 1
		.amdhsa_system_sgpr_workgroup_id_y 0
		.amdhsa_system_sgpr_workgroup_id_z 0
		.amdhsa_system_sgpr_workgroup_info 0
		.amdhsa_system_vgpr_workitem_id 0
		.amdhsa_next_free_vgpr 64
		.amdhsa_next_free_sgpr 20
		.amdhsa_accum_offset 64
		.amdhsa_reserve_vcc 1
		.amdhsa_float_round_mode_32 0
		.amdhsa_float_round_mode_16_64 0
		.amdhsa_float_denorm_mode_32 3
		.amdhsa_float_denorm_mode_16_64 3
		.amdhsa_dx10_clamp 1
		.amdhsa_ieee_mode 1
		.amdhsa_fp16_overflow 0
		.amdhsa_tg_split 0
		.amdhsa_exception_fp_ieee_invalid_op 0
		.amdhsa_exception_fp_denorm_src 0
		.amdhsa_exception_fp_ieee_div_zero 0
		.amdhsa_exception_fp_ieee_overflow 0
		.amdhsa_exception_fp_ieee_underflow 0
		.amdhsa_exception_fp_ieee_inexact 0
		.amdhsa_exception_int_div_zero 0
	.end_amdhsa_kernel
	.section	.text._ZN9rocsparseL19gebsrmvn_2xn_kernelILj128ELj16ELj4EfEEvi20rocsparse_direction_NS_24const_host_device_scalarIT2_EEPKiS6_PKS3_S8_S4_PS3_21rocsparse_index_base_b,"axG",@progbits,_ZN9rocsparseL19gebsrmvn_2xn_kernelILj128ELj16ELj4EfEEvi20rocsparse_direction_NS_24const_host_device_scalarIT2_EEPKiS6_PKS3_S8_S4_PS3_21rocsparse_index_base_b,comdat
.Lfunc_end70:
	.size	_ZN9rocsparseL19gebsrmvn_2xn_kernelILj128ELj16ELj4EfEEvi20rocsparse_direction_NS_24const_host_device_scalarIT2_EEPKiS6_PKS3_S8_S4_PS3_21rocsparse_index_base_b, .Lfunc_end70-_ZN9rocsparseL19gebsrmvn_2xn_kernelILj128ELj16ELj4EfEEvi20rocsparse_direction_NS_24const_host_device_scalarIT2_EEPKiS6_PKS3_S8_S4_PS3_21rocsparse_index_base_b
                                        ; -- End function
	.section	.AMDGPU.csdata,"",@progbits
; Kernel info:
; codeLenInByte = 1380
; NumSgprs: 26
; NumVgprs: 64
; NumAgprs: 0
; TotalNumVgprs: 64
; ScratchSize: 0
; MemoryBound: 0
; FloatMode: 240
; IeeeMode: 1
; LDSByteSize: 0 bytes/workgroup (compile time only)
; SGPRBlocks: 3
; VGPRBlocks: 7
; NumSGPRsForWavesPerEU: 26
; NumVGPRsForWavesPerEU: 64
; AccumOffset: 64
; Occupancy: 8
; WaveLimiterHint : 1
; COMPUTE_PGM_RSRC2:SCRATCH_EN: 0
; COMPUTE_PGM_RSRC2:USER_SGPR: 2
; COMPUTE_PGM_RSRC2:TRAP_HANDLER: 0
; COMPUTE_PGM_RSRC2:TGID_X_EN: 1
; COMPUTE_PGM_RSRC2:TGID_Y_EN: 0
; COMPUTE_PGM_RSRC2:TGID_Z_EN: 0
; COMPUTE_PGM_RSRC2:TIDIG_COMP_CNT: 0
; COMPUTE_PGM_RSRC3_GFX90A:ACCUM_OFFSET: 15
; COMPUTE_PGM_RSRC3_GFX90A:TG_SPLIT: 0
	.section	.text._ZN9rocsparseL19gebsrmvn_2xn_kernelILj128ELj16ELj8EfEEvi20rocsparse_direction_NS_24const_host_device_scalarIT2_EEPKiS6_PKS3_S8_S4_PS3_21rocsparse_index_base_b,"axG",@progbits,_ZN9rocsparseL19gebsrmvn_2xn_kernelILj128ELj16ELj8EfEEvi20rocsparse_direction_NS_24const_host_device_scalarIT2_EEPKiS6_PKS3_S8_S4_PS3_21rocsparse_index_base_b,comdat
	.globl	_ZN9rocsparseL19gebsrmvn_2xn_kernelILj128ELj16ELj8EfEEvi20rocsparse_direction_NS_24const_host_device_scalarIT2_EEPKiS6_PKS3_S8_S4_PS3_21rocsparse_index_base_b ; -- Begin function _ZN9rocsparseL19gebsrmvn_2xn_kernelILj128ELj16ELj8EfEEvi20rocsparse_direction_NS_24const_host_device_scalarIT2_EEPKiS6_PKS3_S8_S4_PS3_21rocsparse_index_base_b
	.p2align	8
	.type	_ZN9rocsparseL19gebsrmvn_2xn_kernelILj128ELj16ELj8EfEEvi20rocsparse_direction_NS_24const_host_device_scalarIT2_EEPKiS6_PKS3_S8_S4_PS3_21rocsparse_index_base_b,@function
_ZN9rocsparseL19gebsrmvn_2xn_kernelILj128ELj16ELj8EfEEvi20rocsparse_direction_NS_24const_host_device_scalarIT2_EEPKiS6_PKS3_S8_S4_PS3_21rocsparse_index_base_b: ; @_ZN9rocsparseL19gebsrmvn_2xn_kernelILj128ELj16ELj8EfEEvi20rocsparse_direction_NS_24const_host_device_scalarIT2_EEPKiS6_PKS3_S8_S4_PS3_21rocsparse_index_base_b
; %bb.0:
	s_load_dwordx2 s[16:17], s[0:1], 0x40
	s_load_dwordx2 s[14:15], s[0:1], 0x8
	;; [unrolled: 1-line block ×3, first 2 shown]
	s_waitcnt lgkmcnt(0)
	s_bitcmp1_b32 s17, 0
	s_cselect_b64 s[6:7], -1, 0
	s_xor_b64 s[4:5], s[6:7], -1
	s_and_b64 vcc, exec, s[6:7]
	s_cbranch_vccnz .LBB71_2
; %bb.1:
	s_load_dword s14, s[14:15], 0x0
.LBB71_2:
	s_andn2_b64 vcc, exec, s[4:5]
	s_cbranch_vccnz .LBB71_4
; %bb.3:
	s_load_dword s12, s[12:13], 0x0
.LBB71_4:
	s_waitcnt lgkmcnt(0)
	v_cmp_eq_f32_e64 s[4:5], s14, 0
	v_cmp_eq_f32_e64 s[6:7], s12, 1.0
	s_and_b64 s[4:5], s[4:5], s[6:7]
	s_and_b64 vcc, exec, s[4:5]
	s_cbranch_vccnz .LBB71_22
; %bb.5:
	s_load_dwordx2 s[18:19], s[0:1], 0x0
	v_lshrrev_b32_e32 v1, 3, v0
	v_lshl_or_b32 v2, s2, 4, v1
	s_waitcnt lgkmcnt(0)
	v_cmp_gt_i32_e32 vcc, s18, v2
	s_and_saveexec_b64 s[2:3], vcc
	s_cbranch_execz .LBB71_22
; %bb.6:
	s_load_dwordx8 s[4:11], s[0:1], 0x10
	v_ashrrev_i32_e32 v3, 31, v2
	s_cmp_lg_u32 s19, 0
	s_waitcnt lgkmcnt(0)
	v_lshl_add_u64 v[4:5], v[2:3], 2, s[4:5]
	global_load_dwordx2 v[4:5], v[4:5], off
	v_and_b32_e32 v3, 7, v0
	s_waitcnt vmcnt(0)
	v_subrev_u32_e32 v0, s16, v4
	v_subrev_u32_e32 v10, s16, v5
	v_add_u32_e32 v0, v0, v3
	v_cmp_lt_i32_e64 s[2:3], v0, v10
	s_cbranch_scc0 .LBB71_12
; %bb.7:
	v_mov_b32_e32 v5, 0
	v_mov_b32_e32 v4, v5
	s_and_saveexec_b64 s[4:5], s[2:3]
	s_cbranch_execz .LBB71_11
; %bb.8:
	v_mov_b32_e32 v7, 0
	v_lshlrev_b32_e32 v6, 5, v0
	s_mov_b64 s[18:19], 0
	v_mov_b32_e32 v8, v0
	v_mov_b32_e32 v4, v7
	;; [unrolled: 1-line block ×3, first 2 shown]
.LBB71_9:                               ; =>This Inner Loop Header: Depth=1
	v_ashrrev_i32_e32 v9, 31, v8
	v_lshl_add_u64 v[12:13], v[8:9], 2, s[6:7]
	global_load_dword v1, v[12:13], off
	v_lshl_add_u64 v[60:61], v[6:7], 2, s[8:9]
	global_load_dwordx4 v[12:15], v[60:61], off offset:48
	global_load_dwordx4 v[16:19], v[60:61], off offset:32
	;; [unrolled: 1-line block ×3, first 2 shown]
	global_load_dwordx4 v[24:27], v[60:61], off
	global_load_dwordx4 v[28:31], v[60:61], off offset:80
	global_load_dwordx4 v[32:35], v[60:61], off offset:64
	v_mov_b32_e32 v37, v7
	v_add_u32_e32 v8, 8, v8
	v_cmp_ge_i32_e32 vcc, v8, v10
	v_add_u32_e32 v6, 0x100, v6
	s_or_b64 s[18:19], vcc, s[18:19]
	s_waitcnt vmcnt(6)
	v_subrev_u32_e32 v1, s16, v1
	v_lshlrev_b32_e32 v36, 4, v1
	v_lshl_add_u64 v[62:63], v[36:37], 2, s[10:11]
	global_load_dwordx4 v[36:39], v[62:63], off
	global_load_dwordx4 v[40:43], v[62:63], off offset:16
	global_load_dwordx4 v[44:47], v[62:63], off offset:32
	;; [unrolled: 1-line block ×5, first 2 shown]
	s_waitcnt vmcnt(5)
	v_pk_fma_f32 v[4:5], v[24:25], v[36:37], v[4:5] op_sel_hi:[1,0,1]
	s_nop 0
	v_pk_fma_f32 v[4:5], v[26:27], v[36:37], v[4:5] op_sel:[0,1,0]
	v_mov_b32_e32 v24, v39
	v_pk_fma_f32 v[4:5], v[20:21], v[38:39], v[4:5] op_sel_hi:[1,0,1]
	s_waitcnt vmcnt(4)
	v_mov_b32_e32 v60, v43
	v_pk_fma_f32 v[4:5], v[22:23], v[24:25], v[4:5] op_sel_hi:[1,0,1]
	s_waitcnt vmcnt(3)
	;; [unrolled: 3-line block ×3, first 2 shown]
	v_mov_b32_e32 v36, v51
	v_pk_fma_f32 v[4:5], v[18:19], v[40:41], v[4:5] op_sel:[0,1,0]
	s_nop 0
	v_pk_fma_f32 v[4:5], v[12:13], v[42:43], v[4:5] op_sel_hi:[1,0,1]
	s_nop 0
	v_pk_fma_f32 v[4:5], v[14:15], v[60:61], v[4:5] op_sel_hi:[1,0,1]
	s_nop 0
	v_pk_fma_f32 v[4:5], v[32:33], v[44:45], v[4:5] op_sel_hi:[1,0,1]
	s_nop 0
	v_pk_fma_f32 v[4:5], v[34:35], v[44:45], v[4:5] op_sel:[0,1,0]
	s_nop 0
	v_pk_fma_f32 v[4:5], v[28:29], v[46:47], v[4:5] op_sel_hi:[1,0,1]
	s_nop 0
	v_pk_fma_f32 v[4:5], v[30:31], v[26:27], v[4:5] op_sel_hi:[1,0,1]
	s_waitcnt vmcnt(1)
	v_pk_fma_f32 v[4:5], v[52:53], v[48:49], v[4:5] op_sel_hi:[1,0,1]
	s_nop 0
	v_pk_fma_f32 v[4:5], v[54:55], v[48:49], v[4:5] op_sel:[0,1,0]
	s_waitcnt vmcnt(0)
	v_pk_fma_f32 v[4:5], v[56:57], v[50:51], v[4:5] op_sel_hi:[1,0,1]
	s_nop 0
	v_pk_fma_f32 v[4:5], v[58:59], v[36:37], v[4:5] op_sel_hi:[1,0,1]
	s_andn2_b64 exec, exec, s[18:19]
	s_cbranch_execnz .LBB71_9
; %bb.10:
	s_or_b64 exec, exec, s[18:19]
.LBB71_11:
	s_or_b64 exec, exec, s[4:5]
	s_cbranch_execz .LBB71_13
	s_branch .LBB71_18
.LBB71_12:
                                        ; implicit-def: $vgpr5
.LBB71_13:
	v_mov_b32_e32 v5, 0
	v_mov_b32_e32 v4, v5
	s_and_saveexec_b64 s[4:5], s[2:3]
	s_cbranch_execz .LBB71_17
; %bb.14:
	v_mov_b32_e32 v7, 0
	v_lshlrev_b32_e32 v6, 5, v0
	s_mov_b64 s[2:3], 0
	v_mov_b32_e32 v4, v7
	v_mov_b32_e32 v5, v7
.LBB71_15:                              ; =>This Inner Loop Header: Depth=1
	v_ashrrev_i32_e32 v1, 31, v0
	v_lshl_add_u64 v[8:9], v[0:1], 2, s[6:7]
	global_load_dword v1, v[8:9], off
	v_lshl_add_u64 v[8:9], v[6:7], 2, s[8:9]
	v_mov_b32_e32 v45, v7
	global_load_dwordx4 v[12:15], v[8:9], off
	global_load_dwordx4 v[16:19], v[8:9], off offset:64
	global_load_dwordx4 v[20:23], v[8:9], off offset:16
	;; [unrolled: 1-line block ×7, first 2 shown]
	v_add_u32_e32 v0, 8, v0
	v_cmp_ge_i32_e32 vcc, v0, v10
	v_add_u32_e32 v6, 0x100, v6
	s_or_b64 s[2:3], vcc, s[2:3]
	s_waitcnt vmcnt(8)
	v_subrev_u32_e32 v1, s16, v1
	v_lshlrev_b32_e32 v44, 4, v1
	v_lshl_add_u64 v[8:9], v[44:45], 2, s[10:11]
	global_load_dwordx4 v[44:47], v[8:9], off
	global_load_dwordx4 v[48:51], v[8:9], off offset:16
	global_load_dwordx4 v[52:55], v[8:9], off offset:32
	;; [unrolled: 1-line block ×3, first 2 shown]
	s_waitcnt vmcnt(11)
	v_mov_b32_e32 v8, v12
	s_waitcnt vmcnt(10)
	v_mov_b32_e32 v9, v16
	v_mov_b32_e32 v16, v13
	;; [unrolled: 1-line block ×5, first 2 shown]
	s_waitcnt vmcnt(9)
	v_mov_b32_e32 v14, v20
	s_waitcnt vmcnt(8)
	v_mov_b32_e32 v15, v24
	v_mov_b32_e32 v24, v21
	;; [unrolled: 1-line block ×5, first 2 shown]
	s_waitcnt vmcnt(7)
	v_mov_b32_e32 v22, v28
	v_mov_b32_e32 v28, v30
	s_waitcnt vmcnt(5)
	v_mov_b32_e32 v30, v36
	v_mov_b32_e32 v36, v38
	;; [unrolled: 1-line block ×6, first 2 shown]
	s_waitcnt vmcnt(4)
	v_mov_b32_e32 v31, v40
	v_mov_b32_e32 v40, v37
	;; [unrolled: 1-line block ×4, first 2 shown]
	s_waitcnt vmcnt(3)
	v_pk_fma_f32 v[4:5], v[8:9], v[44:45], v[4:5] op_sel_hi:[1,0,1]
	s_nop 0
	v_pk_fma_f32 v[4:5], v[16:17], v[44:45], v[4:5] op_sel:[0,1,0]
	v_mov_b32_e32 v8, v47
	v_pk_fma_f32 v[4:5], v[12:13], v[46:47], v[4:5] op_sel_hi:[1,0,1]
	s_waitcnt vmcnt(2)
	v_mov_b32_e32 v38, v51
	v_pk_fma_f32 v[4:5], v[18:19], v[8:9], v[4:5] op_sel_hi:[1,0,1]
	s_waitcnt vmcnt(1)
	;; [unrolled: 3-line block ×3, first 2 shown]
	v_mov_b32_e32 v12, v59
	v_pk_fma_f32 v[4:5], v[24:25], v[48:49], v[4:5] op_sel:[0,1,0]
	s_nop 0
	v_pk_fma_f32 v[4:5], v[20:21], v[50:51], v[4:5] op_sel_hi:[1,0,1]
	s_nop 0
	v_pk_fma_f32 v[4:5], v[26:27], v[38:39], v[4:5] op_sel_hi:[1,0,1]
	;; [unrolled: 2-line block ×3, first 2 shown]
	s_nop 0
	v_pk_fma_f32 v[4:5], v[32:33], v[52:53], v[4:5] op_sel:[0,1,0]
	s_nop 0
	v_pk_fma_f32 v[4:5], v[28:29], v[54:55], v[4:5] op_sel_hi:[1,0,1]
	s_nop 0
	v_pk_fma_f32 v[4:5], v[34:35], v[60:61], v[4:5] op_sel_hi:[1,0,1]
	;; [unrolled: 2-line block ×3, first 2 shown]
	s_nop 0
	v_pk_fma_f32 v[4:5], v[40:41], v[56:57], v[4:5] op_sel:[0,1,0]
	s_nop 0
	v_pk_fma_f32 v[4:5], v[36:37], v[58:59], v[4:5] op_sel_hi:[1,0,1]
	s_nop 0
	v_pk_fma_f32 v[4:5], v[42:43], v[12:13], v[4:5] op_sel_hi:[1,0,1]
	s_andn2_b64 exec, exec, s[2:3]
	s_cbranch_execnz .LBB71_15
; %bb.16:
	s_or_b64 exec, exec, s[2:3]
.LBB71_17:
	s_or_b64 exec, exec, s[4:5]
.LBB71_18:
	v_mov_b32_dpp v0, v4 row_shr:1 row_mask:0xf bank_mask:0xf
	v_mov_b32_dpp v1, v5 row_shr:1 row_mask:0xf bank_mask:0xf
	v_pk_add_f32 v[0:1], v[4:5], v[0:1]
	v_cmp_eq_u32_e32 vcc, 7, v3
	s_nop 0
	v_mov_b32_dpp v4, v0 row_shr:2 row_mask:0xf bank_mask:0xf
	v_mov_b32_dpp v5, v1 row_shr:2 row_mask:0xf bank_mask:0xf
	v_pk_add_f32 v[0:1], v[0:1], v[4:5]
	s_nop 1
	v_mov_b32_dpp v4, v0 row_shr:4 row_mask:0xf bank_mask:0xe
	v_mov_b32_dpp v5, v1 row_shr:4 row_mask:0xf bank_mask:0xe
	s_and_b64 exec, exec, vcc
	s_cbranch_execz .LBB71_22
; %bb.19:
	s_load_dwordx2 s[0:1], s[0:1], 0x38
	v_cmp_eq_f32_e64 s[2:3], s12, 0
	v_pk_add_f32 v[0:1], v[0:1], v[4:5]
	s_and_b64 vcc, exec, s[2:3]
	v_lshlrev_b32_e32 v2, 1, v2
	s_cbranch_vccz .LBB71_23
; %bb.20:
	v_ashrrev_i32_e32 v3, 31, v2
	s_waitcnt lgkmcnt(0)
	v_lshl_add_u64 v[4:5], v[2:3], 2, s[0:1]
	v_pk_mul_f32 v[6:7], s[14:15], v[0:1] op_sel_hi:[0,1]
	global_store_dwordx2 v[4:5], v[6:7], off
	s_cbranch_execnz .LBB71_22
.LBB71_21:
	v_ashrrev_i32_e32 v3, 31, v2
	s_waitcnt lgkmcnt(0)
	v_lshl_add_u64 v[2:3], v[2:3], 2, s[0:1]
	global_load_dwordx2 v[4:5], v[2:3], off
	v_pk_mul_f32 v[0:1], s[14:15], v[0:1] op_sel_hi:[0,1]
	s_waitcnt vmcnt(0)
	v_pk_fma_f32 v[0:1], s[12:13], v[4:5], v[0:1] op_sel_hi:[0,1,1]
	global_store_dwordx2 v[2:3], v[0:1], off
.LBB71_22:
	s_endpgm
.LBB71_23:
	s_branch .LBB71_21
	.section	.rodata,"a",@progbits
	.p2align	6, 0x0
	.amdhsa_kernel _ZN9rocsparseL19gebsrmvn_2xn_kernelILj128ELj16ELj8EfEEvi20rocsparse_direction_NS_24const_host_device_scalarIT2_EEPKiS6_PKS3_S8_S4_PS3_21rocsparse_index_base_b
		.amdhsa_group_segment_fixed_size 0
		.amdhsa_private_segment_fixed_size 0
		.amdhsa_kernarg_size 72
		.amdhsa_user_sgpr_count 2
		.amdhsa_user_sgpr_dispatch_ptr 0
		.amdhsa_user_sgpr_queue_ptr 0
		.amdhsa_user_sgpr_kernarg_segment_ptr 1
		.amdhsa_user_sgpr_dispatch_id 0
		.amdhsa_user_sgpr_kernarg_preload_length 0
		.amdhsa_user_sgpr_kernarg_preload_offset 0
		.amdhsa_user_sgpr_private_segment_size 0
		.amdhsa_uses_dynamic_stack 0
		.amdhsa_enable_private_segment 0
		.amdhsa_system_sgpr_workgroup_id_x 1
		.amdhsa_system_sgpr_workgroup_id_y 0
		.amdhsa_system_sgpr_workgroup_id_z 0
		.amdhsa_system_sgpr_workgroup_info 0
		.amdhsa_system_vgpr_workitem_id 0
		.amdhsa_next_free_vgpr 64
		.amdhsa_next_free_sgpr 20
		.amdhsa_accum_offset 64
		.amdhsa_reserve_vcc 1
		.amdhsa_float_round_mode_32 0
		.amdhsa_float_round_mode_16_64 0
		.amdhsa_float_denorm_mode_32 3
		.amdhsa_float_denorm_mode_16_64 3
		.amdhsa_dx10_clamp 1
		.amdhsa_ieee_mode 1
		.amdhsa_fp16_overflow 0
		.amdhsa_tg_split 0
		.amdhsa_exception_fp_ieee_invalid_op 0
		.amdhsa_exception_fp_denorm_src 0
		.amdhsa_exception_fp_ieee_div_zero 0
		.amdhsa_exception_fp_ieee_overflow 0
		.amdhsa_exception_fp_ieee_underflow 0
		.amdhsa_exception_fp_ieee_inexact 0
		.amdhsa_exception_int_div_zero 0
	.end_amdhsa_kernel
	.section	.text._ZN9rocsparseL19gebsrmvn_2xn_kernelILj128ELj16ELj8EfEEvi20rocsparse_direction_NS_24const_host_device_scalarIT2_EEPKiS6_PKS3_S8_S4_PS3_21rocsparse_index_base_b,"axG",@progbits,_ZN9rocsparseL19gebsrmvn_2xn_kernelILj128ELj16ELj8EfEEvi20rocsparse_direction_NS_24const_host_device_scalarIT2_EEPKiS6_PKS3_S8_S4_PS3_21rocsparse_index_base_b,comdat
.Lfunc_end71:
	.size	_ZN9rocsparseL19gebsrmvn_2xn_kernelILj128ELj16ELj8EfEEvi20rocsparse_direction_NS_24const_host_device_scalarIT2_EEPKiS6_PKS3_S8_S4_PS3_21rocsparse_index_base_b, .Lfunc_end71-_ZN9rocsparseL19gebsrmvn_2xn_kernelILj128ELj16ELj8EfEEvi20rocsparse_direction_NS_24const_host_device_scalarIT2_EEPKiS6_PKS3_S8_S4_PS3_21rocsparse_index_base_b
                                        ; -- End function
	.section	.AMDGPU.csdata,"",@progbits
; Kernel info:
; codeLenInByte = 1408
; NumSgprs: 26
; NumVgprs: 64
; NumAgprs: 0
; TotalNumVgprs: 64
; ScratchSize: 0
; MemoryBound: 0
; FloatMode: 240
; IeeeMode: 1
; LDSByteSize: 0 bytes/workgroup (compile time only)
; SGPRBlocks: 3
; VGPRBlocks: 7
; NumSGPRsForWavesPerEU: 26
; NumVGPRsForWavesPerEU: 64
; AccumOffset: 64
; Occupancy: 8
; WaveLimiterHint : 1
; COMPUTE_PGM_RSRC2:SCRATCH_EN: 0
; COMPUTE_PGM_RSRC2:USER_SGPR: 2
; COMPUTE_PGM_RSRC2:TRAP_HANDLER: 0
; COMPUTE_PGM_RSRC2:TGID_X_EN: 1
; COMPUTE_PGM_RSRC2:TGID_Y_EN: 0
; COMPUTE_PGM_RSRC2:TGID_Z_EN: 0
; COMPUTE_PGM_RSRC2:TIDIG_COMP_CNT: 0
; COMPUTE_PGM_RSRC3_GFX90A:ACCUM_OFFSET: 15
; COMPUTE_PGM_RSRC3_GFX90A:TG_SPLIT: 0
	.section	.text._ZN9rocsparseL19gebsrmvn_2xn_kernelILj128ELj16ELj16EfEEvi20rocsparse_direction_NS_24const_host_device_scalarIT2_EEPKiS6_PKS3_S8_S4_PS3_21rocsparse_index_base_b,"axG",@progbits,_ZN9rocsparseL19gebsrmvn_2xn_kernelILj128ELj16ELj16EfEEvi20rocsparse_direction_NS_24const_host_device_scalarIT2_EEPKiS6_PKS3_S8_S4_PS3_21rocsparse_index_base_b,comdat
	.globl	_ZN9rocsparseL19gebsrmvn_2xn_kernelILj128ELj16ELj16EfEEvi20rocsparse_direction_NS_24const_host_device_scalarIT2_EEPKiS6_PKS3_S8_S4_PS3_21rocsparse_index_base_b ; -- Begin function _ZN9rocsparseL19gebsrmvn_2xn_kernelILj128ELj16ELj16EfEEvi20rocsparse_direction_NS_24const_host_device_scalarIT2_EEPKiS6_PKS3_S8_S4_PS3_21rocsparse_index_base_b
	.p2align	8
	.type	_ZN9rocsparseL19gebsrmvn_2xn_kernelILj128ELj16ELj16EfEEvi20rocsparse_direction_NS_24const_host_device_scalarIT2_EEPKiS6_PKS3_S8_S4_PS3_21rocsparse_index_base_b,@function
_ZN9rocsparseL19gebsrmvn_2xn_kernelILj128ELj16ELj16EfEEvi20rocsparse_direction_NS_24const_host_device_scalarIT2_EEPKiS6_PKS3_S8_S4_PS3_21rocsparse_index_base_b: ; @_ZN9rocsparseL19gebsrmvn_2xn_kernelILj128ELj16ELj16EfEEvi20rocsparse_direction_NS_24const_host_device_scalarIT2_EEPKiS6_PKS3_S8_S4_PS3_21rocsparse_index_base_b
; %bb.0:
	s_load_dwordx2 s[16:17], s[0:1], 0x40
	s_load_dwordx2 s[14:15], s[0:1], 0x8
	;; [unrolled: 1-line block ×3, first 2 shown]
	s_waitcnt lgkmcnt(0)
	s_bitcmp1_b32 s17, 0
	s_cselect_b64 s[6:7], -1, 0
	s_xor_b64 s[4:5], s[6:7], -1
	s_and_b64 vcc, exec, s[6:7]
	s_cbranch_vccnz .LBB72_2
; %bb.1:
	s_load_dword s14, s[14:15], 0x0
.LBB72_2:
	s_andn2_b64 vcc, exec, s[4:5]
	s_cbranch_vccnz .LBB72_4
; %bb.3:
	s_load_dword s12, s[12:13], 0x0
.LBB72_4:
	s_waitcnt lgkmcnt(0)
	v_cmp_eq_f32_e64 s[4:5], s14, 0
	v_cmp_eq_f32_e64 s[6:7], s12, 1.0
	s_and_b64 s[4:5], s[4:5], s[6:7]
	s_and_b64 vcc, exec, s[4:5]
	s_cbranch_vccnz .LBB72_22
; %bb.5:
	s_load_dwordx2 s[18:19], s[0:1], 0x0
	v_lshrrev_b32_e32 v1, 4, v0
	v_lshl_or_b32 v2, s2, 3, v1
	s_waitcnt lgkmcnt(0)
	v_cmp_gt_i32_e32 vcc, s18, v2
	s_and_saveexec_b64 s[2:3], vcc
	s_cbranch_execz .LBB72_22
; %bb.6:
	s_load_dwordx8 s[4:11], s[0:1], 0x10
	v_ashrrev_i32_e32 v3, 31, v2
	s_cmp_lg_u32 s19, 0
	s_waitcnt lgkmcnt(0)
	v_lshl_add_u64 v[4:5], v[2:3], 2, s[4:5]
	global_load_dwordx2 v[4:5], v[4:5], off
	v_and_b32_e32 v3, 15, v0
	s_waitcnt vmcnt(0)
	v_subrev_u32_e32 v0, s16, v4
	v_subrev_u32_e32 v10, s16, v5
	v_add_u32_e32 v0, v0, v3
	v_cmp_lt_i32_e64 s[2:3], v0, v10
	s_cbranch_scc0 .LBB72_12
; %bb.7:
	v_mov_b32_e32 v5, 0
	v_mov_b32_e32 v4, v5
	s_and_saveexec_b64 s[4:5], s[2:3]
	s_cbranch_execz .LBB72_11
; %bb.8:
	v_mov_b32_e32 v7, 0
	v_lshlrev_b32_e32 v6, 5, v0
	s_mov_b64 s[18:19], 0
	v_mov_b32_e32 v8, v0
	v_mov_b32_e32 v4, v7
	;; [unrolled: 1-line block ×3, first 2 shown]
.LBB72_9:                               ; =>This Inner Loop Header: Depth=1
	v_ashrrev_i32_e32 v9, 31, v8
	v_lshl_add_u64 v[12:13], v[8:9], 2, s[6:7]
	global_load_dword v1, v[12:13], off
	v_lshl_add_u64 v[60:61], v[6:7], 2, s[8:9]
	global_load_dwordx4 v[12:15], v[60:61], off offset:48
	global_load_dwordx4 v[16:19], v[60:61], off offset:32
	;; [unrolled: 1-line block ×3, first 2 shown]
	global_load_dwordx4 v[24:27], v[60:61], off
	global_load_dwordx4 v[28:31], v[60:61], off offset:80
	global_load_dwordx4 v[32:35], v[60:61], off offset:64
	v_mov_b32_e32 v37, v7
	v_add_u32_e32 v8, 16, v8
	v_cmp_ge_i32_e32 vcc, v8, v10
	v_add_u32_e32 v6, 0x200, v6
	s_or_b64 s[18:19], vcc, s[18:19]
	s_waitcnt vmcnt(6)
	v_subrev_u32_e32 v1, s16, v1
	v_lshlrev_b32_e32 v36, 4, v1
	v_lshl_add_u64 v[62:63], v[36:37], 2, s[10:11]
	global_load_dwordx4 v[36:39], v[62:63], off
	global_load_dwordx4 v[40:43], v[62:63], off offset:16
	global_load_dwordx4 v[44:47], v[62:63], off offset:32
	;; [unrolled: 1-line block ×5, first 2 shown]
	s_waitcnt vmcnt(5)
	v_pk_fma_f32 v[4:5], v[24:25], v[36:37], v[4:5] op_sel_hi:[1,0,1]
	s_nop 0
	v_pk_fma_f32 v[4:5], v[26:27], v[36:37], v[4:5] op_sel:[0,1,0]
	v_mov_b32_e32 v24, v39
	v_pk_fma_f32 v[4:5], v[20:21], v[38:39], v[4:5] op_sel_hi:[1,0,1]
	s_waitcnt vmcnt(4)
	v_mov_b32_e32 v60, v43
	v_pk_fma_f32 v[4:5], v[22:23], v[24:25], v[4:5] op_sel_hi:[1,0,1]
	s_waitcnt vmcnt(3)
	;; [unrolled: 3-line block ×3, first 2 shown]
	v_mov_b32_e32 v36, v51
	v_pk_fma_f32 v[4:5], v[18:19], v[40:41], v[4:5] op_sel:[0,1,0]
	s_nop 0
	v_pk_fma_f32 v[4:5], v[12:13], v[42:43], v[4:5] op_sel_hi:[1,0,1]
	s_nop 0
	v_pk_fma_f32 v[4:5], v[14:15], v[60:61], v[4:5] op_sel_hi:[1,0,1]
	s_nop 0
	v_pk_fma_f32 v[4:5], v[32:33], v[44:45], v[4:5] op_sel_hi:[1,0,1]
	s_nop 0
	v_pk_fma_f32 v[4:5], v[34:35], v[44:45], v[4:5] op_sel:[0,1,0]
	s_nop 0
	v_pk_fma_f32 v[4:5], v[28:29], v[46:47], v[4:5] op_sel_hi:[1,0,1]
	s_nop 0
	v_pk_fma_f32 v[4:5], v[30:31], v[26:27], v[4:5] op_sel_hi:[1,0,1]
	s_waitcnt vmcnt(1)
	v_pk_fma_f32 v[4:5], v[52:53], v[48:49], v[4:5] op_sel_hi:[1,0,1]
	s_nop 0
	v_pk_fma_f32 v[4:5], v[54:55], v[48:49], v[4:5] op_sel:[0,1,0]
	s_waitcnt vmcnt(0)
	v_pk_fma_f32 v[4:5], v[56:57], v[50:51], v[4:5] op_sel_hi:[1,0,1]
	s_nop 0
	v_pk_fma_f32 v[4:5], v[58:59], v[36:37], v[4:5] op_sel_hi:[1,0,1]
	s_andn2_b64 exec, exec, s[18:19]
	s_cbranch_execnz .LBB72_9
; %bb.10:
	s_or_b64 exec, exec, s[18:19]
.LBB72_11:
	s_or_b64 exec, exec, s[4:5]
	s_cbranch_execz .LBB72_13
	s_branch .LBB72_18
.LBB72_12:
                                        ; implicit-def: $vgpr5
.LBB72_13:
	v_mov_b32_e32 v5, 0
	v_mov_b32_e32 v4, v5
	s_and_saveexec_b64 s[4:5], s[2:3]
	s_cbranch_execz .LBB72_17
; %bb.14:
	v_mov_b32_e32 v7, 0
	v_lshlrev_b32_e32 v6, 5, v0
	s_mov_b64 s[2:3], 0
	v_mov_b32_e32 v4, v7
	v_mov_b32_e32 v5, v7
.LBB72_15:                              ; =>This Inner Loop Header: Depth=1
	v_ashrrev_i32_e32 v1, 31, v0
	v_lshl_add_u64 v[8:9], v[0:1], 2, s[6:7]
	global_load_dword v1, v[8:9], off
	v_lshl_add_u64 v[8:9], v[6:7], 2, s[8:9]
	v_mov_b32_e32 v45, v7
	global_load_dwordx4 v[12:15], v[8:9], off
	global_load_dwordx4 v[16:19], v[8:9], off offset:64
	global_load_dwordx4 v[20:23], v[8:9], off offset:16
	;; [unrolled: 1-line block ×7, first 2 shown]
	v_add_u32_e32 v0, 16, v0
	v_cmp_ge_i32_e32 vcc, v0, v10
	v_add_u32_e32 v6, 0x200, v6
	s_or_b64 s[2:3], vcc, s[2:3]
	s_waitcnt vmcnt(8)
	v_subrev_u32_e32 v1, s16, v1
	v_lshlrev_b32_e32 v44, 4, v1
	v_lshl_add_u64 v[8:9], v[44:45], 2, s[10:11]
	global_load_dwordx4 v[44:47], v[8:9], off
	global_load_dwordx4 v[48:51], v[8:9], off offset:16
	global_load_dwordx4 v[52:55], v[8:9], off offset:32
	;; [unrolled: 1-line block ×3, first 2 shown]
	s_waitcnt vmcnt(11)
	v_mov_b32_e32 v8, v12
	s_waitcnt vmcnt(10)
	v_mov_b32_e32 v9, v16
	v_mov_b32_e32 v16, v13
	;; [unrolled: 1-line block ×5, first 2 shown]
	s_waitcnt vmcnt(9)
	v_mov_b32_e32 v14, v20
	s_waitcnt vmcnt(8)
	v_mov_b32_e32 v15, v24
	v_mov_b32_e32 v24, v21
	;; [unrolled: 1-line block ×5, first 2 shown]
	s_waitcnt vmcnt(7)
	v_mov_b32_e32 v22, v28
	v_mov_b32_e32 v28, v30
	s_waitcnt vmcnt(5)
	v_mov_b32_e32 v30, v36
	v_mov_b32_e32 v36, v38
	;; [unrolled: 1-line block ×6, first 2 shown]
	s_waitcnt vmcnt(4)
	v_mov_b32_e32 v31, v40
	v_mov_b32_e32 v40, v37
	;; [unrolled: 1-line block ×4, first 2 shown]
	s_waitcnt vmcnt(3)
	v_pk_fma_f32 v[4:5], v[8:9], v[44:45], v[4:5] op_sel_hi:[1,0,1]
	s_nop 0
	v_pk_fma_f32 v[4:5], v[16:17], v[44:45], v[4:5] op_sel:[0,1,0]
	v_mov_b32_e32 v8, v47
	v_pk_fma_f32 v[4:5], v[12:13], v[46:47], v[4:5] op_sel_hi:[1,0,1]
	s_waitcnt vmcnt(2)
	v_mov_b32_e32 v38, v51
	v_pk_fma_f32 v[4:5], v[18:19], v[8:9], v[4:5] op_sel_hi:[1,0,1]
	s_waitcnt vmcnt(1)
	;; [unrolled: 3-line block ×3, first 2 shown]
	v_mov_b32_e32 v12, v59
	v_pk_fma_f32 v[4:5], v[24:25], v[48:49], v[4:5] op_sel:[0,1,0]
	s_nop 0
	v_pk_fma_f32 v[4:5], v[20:21], v[50:51], v[4:5] op_sel_hi:[1,0,1]
	s_nop 0
	v_pk_fma_f32 v[4:5], v[26:27], v[38:39], v[4:5] op_sel_hi:[1,0,1]
	;; [unrolled: 2-line block ×3, first 2 shown]
	s_nop 0
	v_pk_fma_f32 v[4:5], v[32:33], v[52:53], v[4:5] op_sel:[0,1,0]
	s_nop 0
	v_pk_fma_f32 v[4:5], v[28:29], v[54:55], v[4:5] op_sel_hi:[1,0,1]
	s_nop 0
	v_pk_fma_f32 v[4:5], v[34:35], v[60:61], v[4:5] op_sel_hi:[1,0,1]
	;; [unrolled: 2-line block ×3, first 2 shown]
	s_nop 0
	v_pk_fma_f32 v[4:5], v[40:41], v[56:57], v[4:5] op_sel:[0,1,0]
	s_nop 0
	v_pk_fma_f32 v[4:5], v[36:37], v[58:59], v[4:5] op_sel_hi:[1,0,1]
	s_nop 0
	v_pk_fma_f32 v[4:5], v[42:43], v[12:13], v[4:5] op_sel_hi:[1,0,1]
	s_andn2_b64 exec, exec, s[2:3]
	s_cbranch_execnz .LBB72_15
; %bb.16:
	s_or_b64 exec, exec, s[2:3]
.LBB72_17:
	s_or_b64 exec, exec, s[4:5]
.LBB72_18:
	v_mov_b32_dpp v0, v4 row_shr:1 row_mask:0xf bank_mask:0xf
	v_mov_b32_dpp v1, v5 row_shr:1 row_mask:0xf bank_mask:0xf
	v_pk_add_f32 v[0:1], v[4:5], v[0:1]
	v_cmp_eq_u32_e32 vcc, 15, v3
	s_nop 0
	v_mov_b32_dpp v4, v0 row_shr:2 row_mask:0xf bank_mask:0xf
	v_mov_b32_dpp v5, v1 row_shr:2 row_mask:0xf bank_mask:0xf
	v_pk_add_f32 v[0:1], v[0:1], v[4:5]
	s_nop 1
	v_mov_b32_dpp v4, v0 row_shr:4 row_mask:0xf bank_mask:0xe
	v_mov_b32_dpp v5, v1 row_shr:4 row_mask:0xf bank_mask:0xe
	v_pk_add_f32 v[0:1], v[0:1], v[4:5]
	s_nop 1
	v_mov_b32_dpp v4, v0 row_shr:8 row_mask:0xf bank_mask:0xc
	v_mov_b32_dpp v5, v1 row_shr:8 row_mask:0xf bank_mask:0xc
	s_and_b64 exec, exec, vcc
	s_cbranch_execz .LBB72_22
; %bb.19:
	s_load_dwordx2 s[0:1], s[0:1], 0x38
	v_cmp_eq_f32_e64 s[2:3], s12, 0
	v_pk_add_f32 v[0:1], v[0:1], v[4:5]
	s_and_b64 vcc, exec, s[2:3]
	v_lshlrev_b32_e32 v2, 1, v2
	s_cbranch_vccz .LBB72_23
; %bb.20:
	v_ashrrev_i32_e32 v3, 31, v2
	s_waitcnt lgkmcnt(0)
	v_lshl_add_u64 v[4:5], v[2:3], 2, s[0:1]
	v_pk_mul_f32 v[6:7], s[14:15], v[0:1] op_sel_hi:[0,1]
	global_store_dwordx2 v[4:5], v[6:7], off
	s_cbranch_execnz .LBB72_22
.LBB72_21:
	v_ashrrev_i32_e32 v3, 31, v2
	s_waitcnt lgkmcnt(0)
	v_lshl_add_u64 v[2:3], v[2:3], 2, s[0:1]
	global_load_dwordx2 v[4:5], v[2:3], off
	v_pk_mul_f32 v[0:1], s[14:15], v[0:1] op_sel_hi:[0,1]
	s_waitcnt vmcnt(0)
	v_pk_fma_f32 v[0:1], s[12:13], v[4:5], v[0:1] op_sel_hi:[0,1,1]
	global_store_dwordx2 v[2:3], v[0:1], off
.LBB72_22:
	s_endpgm
.LBB72_23:
	s_branch .LBB72_21
	.section	.rodata,"a",@progbits
	.p2align	6, 0x0
	.amdhsa_kernel _ZN9rocsparseL19gebsrmvn_2xn_kernelILj128ELj16ELj16EfEEvi20rocsparse_direction_NS_24const_host_device_scalarIT2_EEPKiS6_PKS3_S8_S4_PS3_21rocsparse_index_base_b
		.amdhsa_group_segment_fixed_size 0
		.amdhsa_private_segment_fixed_size 0
		.amdhsa_kernarg_size 72
		.amdhsa_user_sgpr_count 2
		.amdhsa_user_sgpr_dispatch_ptr 0
		.amdhsa_user_sgpr_queue_ptr 0
		.amdhsa_user_sgpr_kernarg_segment_ptr 1
		.amdhsa_user_sgpr_dispatch_id 0
		.amdhsa_user_sgpr_kernarg_preload_length 0
		.amdhsa_user_sgpr_kernarg_preload_offset 0
		.amdhsa_user_sgpr_private_segment_size 0
		.amdhsa_uses_dynamic_stack 0
		.amdhsa_enable_private_segment 0
		.amdhsa_system_sgpr_workgroup_id_x 1
		.amdhsa_system_sgpr_workgroup_id_y 0
		.amdhsa_system_sgpr_workgroup_id_z 0
		.amdhsa_system_sgpr_workgroup_info 0
		.amdhsa_system_vgpr_workitem_id 0
		.amdhsa_next_free_vgpr 64
		.amdhsa_next_free_sgpr 20
		.amdhsa_accum_offset 64
		.amdhsa_reserve_vcc 1
		.amdhsa_float_round_mode_32 0
		.amdhsa_float_round_mode_16_64 0
		.amdhsa_float_denorm_mode_32 3
		.amdhsa_float_denorm_mode_16_64 3
		.amdhsa_dx10_clamp 1
		.amdhsa_ieee_mode 1
		.amdhsa_fp16_overflow 0
		.amdhsa_tg_split 0
		.amdhsa_exception_fp_ieee_invalid_op 0
		.amdhsa_exception_fp_denorm_src 0
		.amdhsa_exception_fp_ieee_div_zero 0
		.amdhsa_exception_fp_ieee_overflow 0
		.amdhsa_exception_fp_ieee_underflow 0
		.amdhsa_exception_fp_ieee_inexact 0
		.amdhsa_exception_int_div_zero 0
	.end_amdhsa_kernel
	.section	.text._ZN9rocsparseL19gebsrmvn_2xn_kernelILj128ELj16ELj16EfEEvi20rocsparse_direction_NS_24const_host_device_scalarIT2_EEPKiS6_PKS3_S8_S4_PS3_21rocsparse_index_base_b,"axG",@progbits,_ZN9rocsparseL19gebsrmvn_2xn_kernelILj128ELj16ELj16EfEEvi20rocsparse_direction_NS_24const_host_device_scalarIT2_EEPKiS6_PKS3_S8_S4_PS3_21rocsparse_index_base_b,comdat
.Lfunc_end72:
	.size	_ZN9rocsparseL19gebsrmvn_2xn_kernelILj128ELj16ELj16EfEEvi20rocsparse_direction_NS_24const_host_device_scalarIT2_EEPKiS6_PKS3_S8_S4_PS3_21rocsparse_index_base_b, .Lfunc_end72-_ZN9rocsparseL19gebsrmvn_2xn_kernelILj128ELj16ELj16EfEEvi20rocsparse_direction_NS_24const_host_device_scalarIT2_EEPKiS6_PKS3_S8_S4_PS3_21rocsparse_index_base_b
                                        ; -- End function
	.section	.AMDGPU.csdata,"",@progbits
; Kernel info:
; codeLenInByte = 1436
; NumSgprs: 26
; NumVgprs: 64
; NumAgprs: 0
; TotalNumVgprs: 64
; ScratchSize: 0
; MemoryBound: 0
; FloatMode: 240
; IeeeMode: 1
; LDSByteSize: 0 bytes/workgroup (compile time only)
; SGPRBlocks: 3
; VGPRBlocks: 7
; NumSGPRsForWavesPerEU: 26
; NumVGPRsForWavesPerEU: 64
; AccumOffset: 64
; Occupancy: 8
; WaveLimiterHint : 1
; COMPUTE_PGM_RSRC2:SCRATCH_EN: 0
; COMPUTE_PGM_RSRC2:USER_SGPR: 2
; COMPUTE_PGM_RSRC2:TRAP_HANDLER: 0
; COMPUTE_PGM_RSRC2:TGID_X_EN: 1
; COMPUTE_PGM_RSRC2:TGID_Y_EN: 0
; COMPUTE_PGM_RSRC2:TGID_Z_EN: 0
; COMPUTE_PGM_RSRC2:TIDIG_COMP_CNT: 0
; COMPUTE_PGM_RSRC3_GFX90A:ACCUM_OFFSET: 15
; COMPUTE_PGM_RSRC3_GFX90A:TG_SPLIT: 0
	.section	.text._ZN9rocsparseL19gebsrmvn_2xn_kernelILj128ELj16ELj32EfEEvi20rocsparse_direction_NS_24const_host_device_scalarIT2_EEPKiS6_PKS3_S8_S4_PS3_21rocsparse_index_base_b,"axG",@progbits,_ZN9rocsparseL19gebsrmvn_2xn_kernelILj128ELj16ELj32EfEEvi20rocsparse_direction_NS_24const_host_device_scalarIT2_EEPKiS6_PKS3_S8_S4_PS3_21rocsparse_index_base_b,comdat
	.globl	_ZN9rocsparseL19gebsrmvn_2xn_kernelILj128ELj16ELj32EfEEvi20rocsparse_direction_NS_24const_host_device_scalarIT2_EEPKiS6_PKS3_S8_S4_PS3_21rocsparse_index_base_b ; -- Begin function _ZN9rocsparseL19gebsrmvn_2xn_kernelILj128ELj16ELj32EfEEvi20rocsparse_direction_NS_24const_host_device_scalarIT2_EEPKiS6_PKS3_S8_S4_PS3_21rocsparse_index_base_b
	.p2align	8
	.type	_ZN9rocsparseL19gebsrmvn_2xn_kernelILj128ELj16ELj32EfEEvi20rocsparse_direction_NS_24const_host_device_scalarIT2_EEPKiS6_PKS3_S8_S4_PS3_21rocsparse_index_base_b,@function
_ZN9rocsparseL19gebsrmvn_2xn_kernelILj128ELj16ELj32EfEEvi20rocsparse_direction_NS_24const_host_device_scalarIT2_EEPKiS6_PKS3_S8_S4_PS3_21rocsparse_index_base_b: ; @_ZN9rocsparseL19gebsrmvn_2xn_kernelILj128ELj16ELj32EfEEvi20rocsparse_direction_NS_24const_host_device_scalarIT2_EEPKiS6_PKS3_S8_S4_PS3_21rocsparse_index_base_b
; %bb.0:
	s_load_dwordx2 s[16:17], s[0:1], 0x40
	s_load_dwordx2 s[14:15], s[0:1], 0x8
	;; [unrolled: 1-line block ×3, first 2 shown]
	s_waitcnt lgkmcnt(0)
	s_bitcmp1_b32 s17, 0
	s_cselect_b64 s[6:7], -1, 0
	s_xor_b64 s[4:5], s[6:7], -1
	s_and_b64 vcc, exec, s[6:7]
	s_cbranch_vccnz .LBB73_2
; %bb.1:
	s_load_dword s14, s[14:15], 0x0
.LBB73_2:
	s_andn2_b64 vcc, exec, s[4:5]
	s_cbranch_vccnz .LBB73_4
; %bb.3:
	s_load_dword s12, s[12:13], 0x0
.LBB73_4:
	s_waitcnt lgkmcnt(0)
	v_cmp_eq_f32_e64 s[4:5], s14, 0
	v_cmp_eq_f32_e64 s[6:7], s12, 1.0
	s_and_b64 s[4:5], s[4:5], s[6:7]
	s_and_b64 vcc, exec, s[4:5]
	s_cbranch_vccnz .LBB73_22
; %bb.5:
	s_load_dwordx2 s[18:19], s[0:1], 0x0
	v_lshrrev_b32_e32 v1, 5, v0
	v_lshl_or_b32 v2, s2, 2, v1
	s_waitcnt lgkmcnt(0)
	v_cmp_gt_i32_e32 vcc, s18, v2
	s_and_saveexec_b64 s[2:3], vcc
	s_cbranch_execz .LBB73_22
; %bb.6:
	s_load_dwordx8 s[4:11], s[0:1], 0x10
	v_ashrrev_i32_e32 v3, 31, v2
	s_cmp_lg_u32 s19, 0
	s_waitcnt lgkmcnt(0)
	v_lshl_add_u64 v[4:5], v[2:3], 2, s[4:5]
	global_load_dwordx2 v[4:5], v[4:5], off
	v_and_b32_e32 v3, 31, v0
	s_waitcnt vmcnt(0)
	v_subrev_u32_e32 v0, s16, v4
	v_subrev_u32_e32 v10, s16, v5
	v_add_u32_e32 v0, v0, v3
	v_cmp_lt_i32_e64 s[2:3], v0, v10
	s_cbranch_scc0 .LBB73_12
; %bb.7:
	v_mov_b32_e32 v5, 0
	v_mov_b32_e32 v4, v5
	s_and_saveexec_b64 s[4:5], s[2:3]
	s_cbranch_execz .LBB73_11
; %bb.8:
	v_mov_b32_e32 v7, 0
	v_lshlrev_b32_e32 v6, 5, v0
	s_mov_b64 s[18:19], 0
	v_mov_b32_e32 v8, v0
	v_mov_b32_e32 v4, v7
	;; [unrolled: 1-line block ×3, first 2 shown]
.LBB73_9:                               ; =>This Inner Loop Header: Depth=1
	v_ashrrev_i32_e32 v9, 31, v8
	v_lshl_add_u64 v[12:13], v[8:9], 2, s[6:7]
	global_load_dword v1, v[12:13], off
	v_lshl_add_u64 v[60:61], v[6:7], 2, s[8:9]
	global_load_dwordx4 v[12:15], v[60:61], off offset:48
	global_load_dwordx4 v[16:19], v[60:61], off offset:32
	;; [unrolled: 1-line block ×3, first 2 shown]
	global_load_dwordx4 v[24:27], v[60:61], off
	global_load_dwordx4 v[28:31], v[60:61], off offset:80
	global_load_dwordx4 v[32:35], v[60:61], off offset:64
	v_mov_b32_e32 v37, v7
	v_add_u32_e32 v8, 32, v8
	v_cmp_ge_i32_e32 vcc, v8, v10
	v_add_u32_e32 v6, 0x400, v6
	s_or_b64 s[18:19], vcc, s[18:19]
	s_waitcnt vmcnt(6)
	v_subrev_u32_e32 v1, s16, v1
	v_lshlrev_b32_e32 v36, 4, v1
	v_lshl_add_u64 v[62:63], v[36:37], 2, s[10:11]
	global_load_dwordx4 v[36:39], v[62:63], off
	global_load_dwordx4 v[40:43], v[62:63], off offset:16
	global_load_dwordx4 v[44:47], v[62:63], off offset:32
	;; [unrolled: 1-line block ×5, first 2 shown]
	s_waitcnt vmcnt(5)
	v_pk_fma_f32 v[4:5], v[24:25], v[36:37], v[4:5] op_sel_hi:[1,0,1]
	s_nop 0
	v_pk_fma_f32 v[4:5], v[26:27], v[36:37], v[4:5] op_sel:[0,1,0]
	v_mov_b32_e32 v24, v39
	v_pk_fma_f32 v[4:5], v[20:21], v[38:39], v[4:5] op_sel_hi:[1,0,1]
	s_waitcnt vmcnt(4)
	v_mov_b32_e32 v60, v43
	v_pk_fma_f32 v[4:5], v[22:23], v[24:25], v[4:5] op_sel_hi:[1,0,1]
	s_waitcnt vmcnt(3)
	;; [unrolled: 3-line block ×3, first 2 shown]
	v_mov_b32_e32 v36, v51
	v_pk_fma_f32 v[4:5], v[18:19], v[40:41], v[4:5] op_sel:[0,1,0]
	s_nop 0
	v_pk_fma_f32 v[4:5], v[12:13], v[42:43], v[4:5] op_sel_hi:[1,0,1]
	s_nop 0
	v_pk_fma_f32 v[4:5], v[14:15], v[60:61], v[4:5] op_sel_hi:[1,0,1]
	;; [unrolled: 2-line block ×3, first 2 shown]
	s_nop 0
	v_pk_fma_f32 v[4:5], v[34:35], v[44:45], v[4:5] op_sel:[0,1,0]
	s_nop 0
	v_pk_fma_f32 v[4:5], v[28:29], v[46:47], v[4:5] op_sel_hi:[1,0,1]
	s_nop 0
	v_pk_fma_f32 v[4:5], v[30:31], v[26:27], v[4:5] op_sel_hi:[1,0,1]
	s_waitcnt vmcnt(1)
	v_pk_fma_f32 v[4:5], v[52:53], v[48:49], v[4:5] op_sel_hi:[1,0,1]
	s_nop 0
	v_pk_fma_f32 v[4:5], v[54:55], v[48:49], v[4:5] op_sel:[0,1,0]
	s_waitcnt vmcnt(0)
	v_pk_fma_f32 v[4:5], v[56:57], v[50:51], v[4:5] op_sel_hi:[1,0,1]
	s_nop 0
	v_pk_fma_f32 v[4:5], v[58:59], v[36:37], v[4:5] op_sel_hi:[1,0,1]
	s_andn2_b64 exec, exec, s[18:19]
	s_cbranch_execnz .LBB73_9
; %bb.10:
	s_or_b64 exec, exec, s[18:19]
.LBB73_11:
	s_or_b64 exec, exec, s[4:5]
	s_cbranch_execz .LBB73_13
	s_branch .LBB73_18
.LBB73_12:
                                        ; implicit-def: $vgpr5
.LBB73_13:
	v_mov_b32_e32 v5, 0
	v_mov_b32_e32 v4, v5
	s_and_saveexec_b64 s[4:5], s[2:3]
	s_cbranch_execz .LBB73_17
; %bb.14:
	v_mov_b32_e32 v7, 0
	v_lshlrev_b32_e32 v6, 5, v0
	s_mov_b64 s[2:3], 0
	v_mov_b32_e32 v4, v7
	v_mov_b32_e32 v5, v7
.LBB73_15:                              ; =>This Inner Loop Header: Depth=1
	v_ashrrev_i32_e32 v1, 31, v0
	v_lshl_add_u64 v[8:9], v[0:1], 2, s[6:7]
	global_load_dword v1, v[8:9], off
	v_lshl_add_u64 v[8:9], v[6:7], 2, s[8:9]
	v_mov_b32_e32 v45, v7
	global_load_dwordx4 v[12:15], v[8:9], off
	global_load_dwordx4 v[16:19], v[8:9], off offset:64
	global_load_dwordx4 v[20:23], v[8:9], off offset:16
	;; [unrolled: 1-line block ×7, first 2 shown]
	v_add_u32_e32 v0, 32, v0
	v_cmp_ge_i32_e32 vcc, v0, v10
	v_add_u32_e32 v6, 0x400, v6
	s_or_b64 s[2:3], vcc, s[2:3]
	s_waitcnt vmcnt(8)
	v_subrev_u32_e32 v1, s16, v1
	v_lshlrev_b32_e32 v44, 4, v1
	v_lshl_add_u64 v[8:9], v[44:45], 2, s[10:11]
	global_load_dwordx4 v[44:47], v[8:9], off
	global_load_dwordx4 v[48:51], v[8:9], off offset:16
	global_load_dwordx4 v[52:55], v[8:9], off offset:32
	;; [unrolled: 1-line block ×3, first 2 shown]
	s_waitcnt vmcnt(11)
	v_mov_b32_e32 v8, v12
	s_waitcnt vmcnt(10)
	v_mov_b32_e32 v9, v16
	v_mov_b32_e32 v16, v13
	;; [unrolled: 1-line block ×5, first 2 shown]
	s_waitcnt vmcnt(9)
	v_mov_b32_e32 v14, v20
	s_waitcnt vmcnt(8)
	v_mov_b32_e32 v15, v24
	v_mov_b32_e32 v24, v21
	v_mov_b32_e32 v20, v22
	v_mov_b32_e32 v21, v26
	v_mov_b32_e32 v26, v23
	s_waitcnt vmcnt(7)
	v_mov_b32_e32 v22, v28
	v_mov_b32_e32 v28, v30
	s_waitcnt vmcnt(5)
	v_mov_b32_e32 v30, v36
	v_mov_b32_e32 v36, v38
	v_mov_b32_e32 v23, v32
	v_mov_b32_e32 v32, v29
	v_mov_b32_e32 v29, v34
	v_mov_b32_e32 v34, v31
	s_waitcnt vmcnt(4)
	v_mov_b32_e32 v31, v40
	v_mov_b32_e32 v40, v37
	;; [unrolled: 1-line block ×4, first 2 shown]
	s_waitcnt vmcnt(3)
	v_pk_fma_f32 v[4:5], v[8:9], v[44:45], v[4:5] op_sel_hi:[1,0,1]
	s_nop 0
	v_pk_fma_f32 v[4:5], v[16:17], v[44:45], v[4:5] op_sel:[0,1,0]
	v_mov_b32_e32 v8, v47
	v_pk_fma_f32 v[4:5], v[12:13], v[46:47], v[4:5] op_sel_hi:[1,0,1]
	s_waitcnt vmcnt(2)
	v_mov_b32_e32 v38, v51
	v_pk_fma_f32 v[4:5], v[18:19], v[8:9], v[4:5] op_sel_hi:[1,0,1]
	s_waitcnt vmcnt(1)
	;; [unrolled: 3-line block ×3, first 2 shown]
	v_mov_b32_e32 v12, v59
	v_pk_fma_f32 v[4:5], v[24:25], v[48:49], v[4:5] op_sel:[0,1,0]
	s_nop 0
	v_pk_fma_f32 v[4:5], v[20:21], v[50:51], v[4:5] op_sel_hi:[1,0,1]
	s_nop 0
	v_pk_fma_f32 v[4:5], v[26:27], v[38:39], v[4:5] op_sel_hi:[1,0,1]
	;; [unrolled: 2-line block ×3, first 2 shown]
	s_nop 0
	v_pk_fma_f32 v[4:5], v[32:33], v[52:53], v[4:5] op_sel:[0,1,0]
	s_nop 0
	v_pk_fma_f32 v[4:5], v[28:29], v[54:55], v[4:5] op_sel_hi:[1,0,1]
	s_nop 0
	v_pk_fma_f32 v[4:5], v[34:35], v[60:61], v[4:5] op_sel_hi:[1,0,1]
	;; [unrolled: 2-line block ×3, first 2 shown]
	s_nop 0
	v_pk_fma_f32 v[4:5], v[40:41], v[56:57], v[4:5] op_sel:[0,1,0]
	s_nop 0
	v_pk_fma_f32 v[4:5], v[36:37], v[58:59], v[4:5] op_sel_hi:[1,0,1]
	s_nop 0
	v_pk_fma_f32 v[4:5], v[42:43], v[12:13], v[4:5] op_sel_hi:[1,0,1]
	s_andn2_b64 exec, exec, s[2:3]
	s_cbranch_execnz .LBB73_15
; %bb.16:
	s_or_b64 exec, exec, s[2:3]
.LBB73_17:
	s_or_b64 exec, exec, s[4:5]
.LBB73_18:
	v_mov_b32_dpp v0, v4 row_shr:1 row_mask:0xf bank_mask:0xf
	v_mov_b32_dpp v1, v5 row_shr:1 row_mask:0xf bank_mask:0xf
	v_pk_add_f32 v[0:1], v[4:5], v[0:1]
	v_cmp_eq_u32_e32 vcc, 31, v3
	s_nop 0
	v_mov_b32_dpp v4, v0 row_shr:2 row_mask:0xf bank_mask:0xf
	v_mov_b32_dpp v5, v1 row_shr:2 row_mask:0xf bank_mask:0xf
	v_pk_add_f32 v[0:1], v[0:1], v[4:5]
	s_nop 1
	v_mov_b32_dpp v4, v0 row_shr:4 row_mask:0xf bank_mask:0xe
	v_mov_b32_dpp v5, v1 row_shr:4 row_mask:0xf bank_mask:0xe
	v_pk_add_f32 v[0:1], v[0:1], v[4:5]
	;; [unrolled: 4-line block ×3, first 2 shown]
	s_nop 1
	v_mov_b32_dpp v4, v0 row_bcast:15 row_mask:0xa bank_mask:0xf
	v_mov_b32_dpp v5, v1 row_bcast:15 row_mask:0xa bank_mask:0xf
	s_and_b64 exec, exec, vcc
	s_cbranch_execz .LBB73_22
; %bb.19:
	s_load_dwordx2 s[0:1], s[0:1], 0x38
	v_cmp_eq_f32_e64 s[2:3], s12, 0
	v_pk_add_f32 v[0:1], v[0:1], v[4:5]
	s_and_b64 vcc, exec, s[2:3]
	v_lshlrev_b32_e32 v2, 1, v2
	s_cbranch_vccz .LBB73_23
; %bb.20:
	v_ashrrev_i32_e32 v3, 31, v2
	s_waitcnt lgkmcnt(0)
	v_lshl_add_u64 v[4:5], v[2:3], 2, s[0:1]
	v_pk_mul_f32 v[6:7], s[14:15], v[0:1] op_sel_hi:[0,1]
	global_store_dwordx2 v[4:5], v[6:7], off
	s_cbranch_execnz .LBB73_22
.LBB73_21:
	v_ashrrev_i32_e32 v3, 31, v2
	s_waitcnt lgkmcnt(0)
	v_lshl_add_u64 v[2:3], v[2:3], 2, s[0:1]
	global_load_dwordx2 v[4:5], v[2:3], off
	v_pk_mul_f32 v[0:1], s[14:15], v[0:1] op_sel_hi:[0,1]
	s_waitcnt vmcnt(0)
	v_pk_fma_f32 v[0:1], s[12:13], v[4:5], v[0:1] op_sel_hi:[0,1,1]
	global_store_dwordx2 v[2:3], v[0:1], off
.LBB73_22:
	s_endpgm
.LBB73_23:
	s_branch .LBB73_21
	.section	.rodata,"a",@progbits
	.p2align	6, 0x0
	.amdhsa_kernel _ZN9rocsparseL19gebsrmvn_2xn_kernelILj128ELj16ELj32EfEEvi20rocsparse_direction_NS_24const_host_device_scalarIT2_EEPKiS6_PKS3_S8_S4_PS3_21rocsparse_index_base_b
		.amdhsa_group_segment_fixed_size 0
		.amdhsa_private_segment_fixed_size 0
		.amdhsa_kernarg_size 72
		.amdhsa_user_sgpr_count 2
		.amdhsa_user_sgpr_dispatch_ptr 0
		.amdhsa_user_sgpr_queue_ptr 0
		.amdhsa_user_sgpr_kernarg_segment_ptr 1
		.amdhsa_user_sgpr_dispatch_id 0
		.amdhsa_user_sgpr_kernarg_preload_length 0
		.amdhsa_user_sgpr_kernarg_preload_offset 0
		.amdhsa_user_sgpr_private_segment_size 0
		.amdhsa_uses_dynamic_stack 0
		.amdhsa_enable_private_segment 0
		.amdhsa_system_sgpr_workgroup_id_x 1
		.amdhsa_system_sgpr_workgroup_id_y 0
		.amdhsa_system_sgpr_workgroup_id_z 0
		.amdhsa_system_sgpr_workgroup_info 0
		.amdhsa_system_vgpr_workitem_id 0
		.amdhsa_next_free_vgpr 64
		.amdhsa_next_free_sgpr 20
		.amdhsa_accum_offset 64
		.amdhsa_reserve_vcc 1
		.amdhsa_float_round_mode_32 0
		.amdhsa_float_round_mode_16_64 0
		.amdhsa_float_denorm_mode_32 3
		.amdhsa_float_denorm_mode_16_64 3
		.amdhsa_dx10_clamp 1
		.amdhsa_ieee_mode 1
		.amdhsa_fp16_overflow 0
		.amdhsa_tg_split 0
		.amdhsa_exception_fp_ieee_invalid_op 0
		.amdhsa_exception_fp_denorm_src 0
		.amdhsa_exception_fp_ieee_div_zero 0
		.amdhsa_exception_fp_ieee_overflow 0
		.amdhsa_exception_fp_ieee_underflow 0
		.amdhsa_exception_fp_ieee_inexact 0
		.amdhsa_exception_int_div_zero 0
	.end_amdhsa_kernel
	.section	.text._ZN9rocsparseL19gebsrmvn_2xn_kernelILj128ELj16ELj32EfEEvi20rocsparse_direction_NS_24const_host_device_scalarIT2_EEPKiS6_PKS3_S8_S4_PS3_21rocsparse_index_base_b,"axG",@progbits,_ZN9rocsparseL19gebsrmvn_2xn_kernelILj128ELj16ELj32EfEEvi20rocsparse_direction_NS_24const_host_device_scalarIT2_EEPKiS6_PKS3_S8_S4_PS3_21rocsparse_index_base_b,comdat
.Lfunc_end73:
	.size	_ZN9rocsparseL19gebsrmvn_2xn_kernelILj128ELj16ELj32EfEEvi20rocsparse_direction_NS_24const_host_device_scalarIT2_EEPKiS6_PKS3_S8_S4_PS3_21rocsparse_index_base_b, .Lfunc_end73-_ZN9rocsparseL19gebsrmvn_2xn_kernelILj128ELj16ELj32EfEEvi20rocsparse_direction_NS_24const_host_device_scalarIT2_EEPKiS6_PKS3_S8_S4_PS3_21rocsparse_index_base_b
                                        ; -- End function
	.section	.AMDGPU.csdata,"",@progbits
; Kernel info:
; codeLenInByte = 1464
; NumSgprs: 26
; NumVgprs: 64
; NumAgprs: 0
; TotalNumVgprs: 64
; ScratchSize: 0
; MemoryBound: 0
; FloatMode: 240
; IeeeMode: 1
; LDSByteSize: 0 bytes/workgroup (compile time only)
; SGPRBlocks: 3
; VGPRBlocks: 7
; NumSGPRsForWavesPerEU: 26
; NumVGPRsForWavesPerEU: 64
; AccumOffset: 64
; Occupancy: 8
; WaveLimiterHint : 1
; COMPUTE_PGM_RSRC2:SCRATCH_EN: 0
; COMPUTE_PGM_RSRC2:USER_SGPR: 2
; COMPUTE_PGM_RSRC2:TRAP_HANDLER: 0
; COMPUTE_PGM_RSRC2:TGID_X_EN: 1
; COMPUTE_PGM_RSRC2:TGID_Y_EN: 0
; COMPUTE_PGM_RSRC2:TGID_Z_EN: 0
; COMPUTE_PGM_RSRC2:TIDIG_COMP_CNT: 0
; COMPUTE_PGM_RSRC3_GFX90A:ACCUM_OFFSET: 15
; COMPUTE_PGM_RSRC3_GFX90A:TG_SPLIT: 0
	.section	.text._ZN9rocsparseL19gebsrmvn_2xn_kernelILj128ELj16ELj64EfEEvi20rocsparse_direction_NS_24const_host_device_scalarIT2_EEPKiS6_PKS3_S8_S4_PS3_21rocsparse_index_base_b,"axG",@progbits,_ZN9rocsparseL19gebsrmvn_2xn_kernelILj128ELj16ELj64EfEEvi20rocsparse_direction_NS_24const_host_device_scalarIT2_EEPKiS6_PKS3_S8_S4_PS3_21rocsparse_index_base_b,comdat
	.globl	_ZN9rocsparseL19gebsrmvn_2xn_kernelILj128ELj16ELj64EfEEvi20rocsparse_direction_NS_24const_host_device_scalarIT2_EEPKiS6_PKS3_S8_S4_PS3_21rocsparse_index_base_b ; -- Begin function _ZN9rocsparseL19gebsrmvn_2xn_kernelILj128ELj16ELj64EfEEvi20rocsparse_direction_NS_24const_host_device_scalarIT2_EEPKiS6_PKS3_S8_S4_PS3_21rocsparse_index_base_b
	.p2align	8
	.type	_ZN9rocsparseL19gebsrmvn_2xn_kernelILj128ELj16ELj64EfEEvi20rocsparse_direction_NS_24const_host_device_scalarIT2_EEPKiS6_PKS3_S8_S4_PS3_21rocsparse_index_base_b,@function
_ZN9rocsparseL19gebsrmvn_2xn_kernelILj128ELj16ELj64EfEEvi20rocsparse_direction_NS_24const_host_device_scalarIT2_EEPKiS6_PKS3_S8_S4_PS3_21rocsparse_index_base_b: ; @_ZN9rocsparseL19gebsrmvn_2xn_kernelILj128ELj16ELj64EfEEvi20rocsparse_direction_NS_24const_host_device_scalarIT2_EEPKiS6_PKS3_S8_S4_PS3_21rocsparse_index_base_b
; %bb.0:
	s_load_dwordx2 s[16:17], s[0:1], 0x40
	s_load_dwordx2 s[14:15], s[0:1], 0x8
	;; [unrolled: 1-line block ×3, first 2 shown]
	s_waitcnt lgkmcnt(0)
	s_bitcmp1_b32 s17, 0
	s_cselect_b64 s[6:7], -1, 0
	s_xor_b64 s[4:5], s[6:7], -1
	s_and_b64 vcc, exec, s[6:7]
	s_cbranch_vccnz .LBB74_2
; %bb.1:
	s_load_dword s14, s[14:15], 0x0
.LBB74_2:
	s_andn2_b64 vcc, exec, s[4:5]
	s_cbranch_vccnz .LBB74_4
; %bb.3:
	s_load_dword s12, s[12:13], 0x0
.LBB74_4:
	s_waitcnt lgkmcnt(0)
	v_cmp_eq_f32_e64 s[4:5], s14, 0
	v_cmp_eq_f32_e64 s[6:7], s12, 1.0
	s_and_b64 s[4:5], s[4:5], s[6:7]
	s_and_b64 vcc, exec, s[4:5]
	s_cbranch_vccnz .LBB74_22
; %bb.5:
	s_load_dwordx2 s[18:19], s[0:1], 0x0
	v_lshrrev_b32_e32 v1, 6, v0
	v_lshl_or_b32 v2, s2, 1, v1
	s_waitcnt lgkmcnt(0)
	v_cmp_gt_i32_e32 vcc, s18, v2
	s_and_saveexec_b64 s[2:3], vcc
	s_cbranch_execz .LBB74_22
; %bb.6:
	s_load_dwordx8 s[4:11], s[0:1], 0x10
	v_ashrrev_i32_e32 v3, 31, v2
	s_cmp_lg_u32 s19, 0
	s_waitcnt lgkmcnt(0)
	v_lshl_add_u64 v[4:5], v[2:3], 2, s[4:5]
	global_load_dwordx2 v[4:5], v[4:5], off
	v_and_b32_e32 v3, 63, v0
	s_waitcnt vmcnt(0)
	v_subrev_u32_e32 v0, s16, v4
	v_subrev_u32_e32 v10, s16, v5
	v_add_u32_e32 v0, v0, v3
	v_cmp_lt_i32_e64 s[2:3], v0, v10
	s_cbranch_scc0 .LBB74_12
; %bb.7:
	v_mov_b32_e32 v5, 0
	v_mov_b32_e32 v4, v5
	s_and_saveexec_b64 s[4:5], s[2:3]
	s_cbranch_execz .LBB74_11
; %bb.8:
	v_mov_b32_e32 v7, 0
	v_lshlrev_b32_e32 v6, 5, v0
	s_mov_b64 s[18:19], 0
	v_mov_b32_e32 v8, v0
	v_mov_b32_e32 v4, v7
	;; [unrolled: 1-line block ×3, first 2 shown]
.LBB74_9:                               ; =>This Inner Loop Header: Depth=1
	v_ashrrev_i32_e32 v9, 31, v8
	v_lshl_add_u64 v[12:13], v[8:9], 2, s[6:7]
	global_load_dword v1, v[12:13], off
	v_lshl_add_u64 v[60:61], v[6:7], 2, s[8:9]
	global_load_dwordx4 v[12:15], v[60:61], off offset:48
	global_load_dwordx4 v[16:19], v[60:61], off offset:32
	global_load_dwordx4 v[20:23], v[60:61], off offset:16
	global_load_dwordx4 v[24:27], v[60:61], off
	global_load_dwordx4 v[28:31], v[60:61], off offset:80
	global_load_dwordx4 v[32:35], v[60:61], off offset:64
	v_mov_b32_e32 v37, v7
	v_add_u32_e32 v8, 64, v8
	v_cmp_ge_i32_e32 vcc, v8, v10
	v_add_u32_e32 v6, 0x800, v6
	s_or_b64 s[18:19], vcc, s[18:19]
	s_waitcnt vmcnt(6)
	v_subrev_u32_e32 v1, s16, v1
	v_lshlrev_b32_e32 v36, 4, v1
	v_lshl_add_u64 v[62:63], v[36:37], 2, s[10:11]
	global_load_dwordx4 v[36:39], v[62:63], off
	global_load_dwordx4 v[40:43], v[62:63], off offset:16
	global_load_dwordx4 v[44:47], v[62:63], off offset:32
	;; [unrolled: 1-line block ×5, first 2 shown]
	s_waitcnt vmcnt(5)
	v_pk_fma_f32 v[4:5], v[24:25], v[36:37], v[4:5] op_sel_hi:[1,0,1]
	s_nop 0
	v_pk_fma_f32 v[4:5], v[26:27], v[36:37], v[4:5] op_sel:[0,1,0]
	v_mov_b32_e32 v24, v39
	v_pk_fma_f32 v[4:5], v[20:21], v[38:39], v[4:5] op_sel_hi:[1,0,1]
	s_waitcnt vmcnt(4)
	v_mov_b32_e32 v60, v43
	v_pk_fma_f32 v[4:5], v[22:23], v[24:25], v[4:5] op_sel_hi:[1,0,1]
	s_waitcnt vmcnt(3)
	;; [unrolled: 3-line block ×3, first 2 shown]
	v_mov_b32_e32 v36, v51
	v_pk_fma_f32 v[4:5], v[18:19], v[40:41], v[4:5] op_sel:[0,1,0]
	s_nop 0
	v_pk_fma_f32 v[4:5], v[12:13], v[42:43], v[4:5] op_sel_hi:[1,0,1]
	s_nop 0
	v_pk_fma_f32 v[4:5], v[14:15], v[60:61], v[4:5] op_sel_hi:[1,0,1]
	;; [unrolled: 2-line block ×3, first 2 shown]
	s_nop 0
	v_pk_fma_f32 v[4:5], v[34:35], v[44:45], v[4:5] op_sel:[0,1,0]
	s_nop 0
	v_pk_fma_f32 v[4:5], v[28:29], v[46:47], v[4:5] op_sel_hi:[1,0,1]
	s_nop 0
	v_pk_fma_f32 v[4:5], v[30:31], v[26:27], v[4:5] op_sel_hi:[1,0,1]
	s_waitcnt vmcnt(1)
	v_pk_fma_f32 v[4:5], v[52:53], v[48:49], v[4:5] op_sel_hi:[1,0,1]
	s_nop 0
	v_pk_fma_f32 v[4:5], v[54:55], v[48:49], v[4:5] op_sel:[0,1,0]
	s_waitcnt vmcnt(0)
	v_pk_fma_f32 v[4:5], v[56:57], v[50:51], v[4:5] op_sel_hi:[1,0,1]
	s_nop 0
	v_pk_fma_f32 v[4:5], v[58:59], v[36:37], v[4:5] op_sel_hi:[1,0,1]
	s_andn2_b64 exec, exec, s[18:19]
	s_cbranch_execnz .LBB74_9
; %bb.10:
	s_or_b64 exec, exec, s[18:19]
.LBB74_11:
	s_or_b64 exec, exec, s[4:5]
	s_cbranch_execz .LBB74_13
	s_branch .LBB74_18
.LBB74_12:
                                        ; implicit-def: $vgpr5
.LBB74_13:
	v_mov_b32_e32 v5, 0
	v_mov_b32_e32 v4, v5
	s_and_saveexec_b64 s[4:5], s[2:3]
	s_cbranch_execz .LBB74_17
; %bb.14:
	v_mov_b32_e32 v7, 0
	v_lshlrev_b32_e32 v6, 5, v0
	s_mov_b64 s[2:3], 0
	v_mov_b32_e32 v4, v7
	v_mov_b32_e32 v5, v7
.LBB74_15:                              ; =>This Inner Loop Header: Depth=1
	v_ashrrev_i32_e32 v1, 31, v0
	v_lshl_add_u64 v[8:9], v[0:1], 2, s[6:7]
	global_load_dword v1, v[8:9], off
	v_lshl_add_u64 v[8:9], v[6:7], 2, s[8:9]
	v_mov_b32_e32 v45, v7
	global_load_dwordx4 v[12:15], v[8:9], off
	global_load_dwordx4 v[16:19], v[8:9], off offset:64
	global_load_dwordx4 v[20:23], v[8:9], off offset:16
	;; [unrolled: 1-line block ×7, first 2 shown]
	v_add_u32_e32 v0, 64, v0
	v_cmp_ge_i32_e32 vcc, v0, v10
	v_add_u32_e32 v6, 0x800, v6
	s_or_b64 s[2:3], vcc, s[2:3]
	s_waitcnt vmcnt(8)
	v_subrev_u32_e32 v1, s16, v1
	v_lshlrev_b32_e32 v44, 4, v1
	v_lshl_add_u64 v[8:9], v[44:45], 2, s[10:11]
	global_load_dwordx4 v[44:47], v[8:9], off
	global_load_dwordx4 v[48:51], v[8:9], off offset:16
	global_load_dwordx4 v[52:55], v[8:9], off offset:32
	;; [unrolled: 1-line block ×3, first 2 shown]
	s_waitcnt vmcnt(11)
	v_mov_b32_e32 v8, v12
	s_waitcnt vmcnt(10)
	v_mov_b32_e32 v9, v16
	v_mov_b32_e32 v16, v13
	;; [unrolled: 1-line block ×5, first 2 shown]
	s_waitcnt vmcnt(9)
	v_mov_b32_e32 v14, v20
	s_waitcnt vmcnt(8)
	v_mov_b32_e32 v15, v24
	v_mov_b32_e32 v24, v21
	;; [unrolled: 1-line block ×5, first 2 shown]
	s_waitcnt vmcnt(7)
	v_mov_b32_e32 v22, v28
	v_mov_b32_e32 v28, v30
	s_waitcnt vmcnt(5)
	v_mov_b32_e32 v30, v36
	v_mov_b32_e32 v36, v38
	;; [unrolled: 1-line block ×6, first 2 shown]
	s_waitcnt vmcnt(4)
	v_mov_b32_e32 v31, v40
	v_mov_b32_e32 v40, v37
	;; [unrolled: 1-line block ×4, first 2 shown]
	s_waitcnt vmcnt(3)
	v_pk_fma_f32 v[4:5], v[8:9], v[44:45], v[4:5] op_sel_hi:[1,0,1]
	s_nop 0
	v_pk_fma_f32 v[4:5], v[16:17], v[44:45], v[4:5] op_sel:[0,1,0]
	v_mov_b32_e32 v8, v47
	v_pk_fma_f32 v[4:5], v[12:13], v[46:47], v[4:5] op_sel_hi:[1,0,1]
	s_waitcnt vmcnt(2)
	v_mov_b32_e32 v38, v51
	v_pk_fma_f32 v[4:5], v[18:19], v[8:9], v[4:5] op_sel_hi:[1,0,1]
	s_waitcnt vmcnt(1)
	;; [unrolled: 3-line block ×3, first 2 shown]
	v_mov_b32_e32 v12, v59
	v_pk_fma_f32 v[4:5], v[24:25], v[48:49], v[4:5] op_sel:[0,1,0]
	s_nop 0
	v_pk_fma_f32 v[4:5], v[20:21], v[50:51], v[4:5] op_sel_hi:[1,0,1]
	s_nop 0
	v_pk_fma_f32 v[4:5], v[26:27], v[38:39], v[4:5] op_sel_hi:[1,0,1]
	;; [unrolled: 2-line block ×3, first 2 shown]
	s_nop 0
	v_pk_fma_f32 v[4:5], v[32:33], v[52:53], v[4:5] op_sel:[0,1,0]
	s_nop 0
	v_pk_fma_f32 v[4:5], v[28:29], v[54:55], v[4:5] op_sel_hi:[1,0,1]
	s_nop 0
	v_pk_fma_f32 v[4:5], v[34:35], v[60:61], v[4:5] op_sel_hi:[1,0,1]
	;; [unrolled: 2-line block ×3, first 2 shown]
	s_nop 0
	v_pk_fma_f32 v[4:5], v[40:41], v[56:57], v[4:5] op_sel:[0,1,0]
	s_nop 0
	v_pk_fma_f32 v[4:5], v[36:37], v[58:59], v[4:5] op_sel_hi:[1,0,1]
	s_nop 0
	v_pk_fma_f32 v[4:5], v[42:43], v[12:13], v[4:5] op_sel_hi:[1,0,1]
	s_andn2_b64 exec, exec, s[2:3]
	s_cbranch_execnz .LBB74_15
; %bb.16:
	s_or_b64 exec, exec, s[2:3]
.LBB74_17:
	s_or_b64 exec, exec, s[4:5]
.LBB74_18:
	v_mov_b32_dpp v0, v4 row_shr:1 row_mask:0xf bank_mask:0xf
	v_mov_b32_dpp v1, v5 row_shr:1 row_mask:0xf bank_mask:0xf
	v_pk_add_f32 v[0:1], v[4:5], v[0:1]
	v_cmp_eq_u32_e32 vcc, 63, v3
	s_nop 0
	v_mov_b32_dpp v4, v0 row_shr:2 row_mask:0xf bank_mask:0xf
	v_mov_b32_dpp v5, v1 row_shr:2 row_mask:0xf bank_mask:0xf
	v_pk_add_f32 v[0:1], v[0:1], v[4:5]
	s_nop 1
	v_mov_b32_dpp v4, v0 row_shr:4 row_mask:0xf bank_mask:0xe
	v_mov_b32_dpp v5, v1 row_shr:4 row_mask:0xf bank_mask:0xe
	v_pk_add_f32 v[0:1], v[0:1], v[4:5]
	;; [unrolled: 4-line block ×3, first 2 shown]
	s_nop 1
	v_mov_b32_dpp v4, v0 row_bcast:15 row_mask:0xa bank_mask:0xf
	v_mov_b32_dpp v5, v1 row_bcast:15 row_mask:0xa bank_mask:0xf
	v_pk_add_f32 v[0:1], v[0:1], v[4:5]
	s_nop 1
	v_mov_b32_dpp v4, v0 row_bcast:31 row_mask:0xc bank_mask:0xf
	v_mov_b32_dpp v5, v1 row_bcast:31 row_mask:0xc bank_mask:0xf
	s_and_b64 exec, exec, vcc
	s_cbranch_execz .LBB74_22
; %bb.19:
	s_load_dwordx2 s[0:1], s[0:1], 0x38
	v_cmp_eq_f32_e64 s[2:3], s12, 0
	v_pk_add_f32 v[0:1], v[0:1], v[4:5]
	s_and_b64 vcc, exec, s[2:3]
	v_lshlrev_b32_e32 v2, 1, v2
	s_cbranch_vccz .LBB74_23
; %bb.20:
	v_ashrrev_i32_e32 v3, 31, v2
	s_waitcnt lgkmcnt(0)
	v_lshl_add_u64 v[4:5], v[2:3], 2, s[0:1]
	v_pk_mul_f32 v[6:7], s[14:15], v[0:1] op_sel_hi:[0,1]
	global_store_dwordx2 v[4:5], v[6:7], off
	s_cbranch_execnz .LBB74_22
.LBB74_21:
	v_ashrrev_i32_e32 v3, 31, v2
	s_waitcnt lgkmcnt(0)
	v_lshl_add_u64 v[2:3], v[2:3], 2, s[0:1]
	global_load_dwordx2 v[4:5], v[2:3], off
	v_pk_mul_f32 v[0:1], s[14:15], v[0:1] op_sel_hi:[0,1]
	s_waitcnt vmcnt(0)
	v_pk_fma_f32 v[0:1], s[12:13], v[4:5], v[0:1] op_sel_hi:[0,1,1]
	global_store_dwordx2 v[2:3], v[0:1], off
.LBB74_22:
	s_endpgm
.LBB74_23:
	s_branch .LBB74_21
	.section	.rodata,"a",@progbits
	.p2align	6, 0x0
	.amdhsa_kernel _ZN9rocsparseL19gebsrmvn_2xn_kernelILj128ELj16ELj64EfEEvi20rocsparse_direction_NS_24const_host_device_scalarIT2_EEPKiS6_PKS3_S8_S4_PS3_21rocsparse_index_base_b
		.amdhsa_group_segment_fixed_size 0
		.amdhsa_private_segment_fixed_size 0
		.amdhsa_kernarg_size 72
		.amdhsa_user_sgpr_count 2
		.amdhsa_user_sgpr_dispatch_ptr 0
		.amdhsa_user_sgpr_queue_ptr 0
		.amdhsa_user_sgpr_kernarg_segment_ptr 1
		.amdhsa_user_sgpr_dispatch_id 0
		.amdhsa_user_sgpr_kernarg_preload_length 0
		.amdhsa_user_sgpr_kernarg_preload_offset 0
		.amdhsa_user_sgpr_private_segment_size 0
		.amdhsa_uses_dynamic_stack 0
		.amdhsa_enable_private_segment 0
		.amdhsa_system_sgpr_workgroup_id_x 1
		.amdhsa_system_sgpr_workgroup_id_y 0
		.amdhsa_system_sgpr_workgroup_id_z 0
		.amdhsa_system_sgpr_workgroup_info 0
		.amdhsa_system_vgpr_workitem_id 0
		.amdhsa_next_free_vgpr 64
		.amdhsa_next_free_sgpr 20
		.amdhsa_accum_offset 64
		.amdhsa_reserve_vcc 1
		.amdhsa_float_round_mode_32 0
		.amdhsa_float_round_mode_16_64 0
		.amdhsa_float_denorm_mode_32 3
		.amdhsa_float_denorm_mode_16_64 3
		.amdhsa_dx10_clamp 1
		.amdhsa_ieee_mode 1
		.amdhsa_fp16_overflow 0
		.amdhsa_tg_split 0
		.amdhsa_exception_fp_ieee_invalid_op 0
		.amdhsa_exception_fp_denorm_src 0
		.amdhsa_exception_fp_ieee_div_zero 0
		.amdhsa_exception_fp_ieee_overflow 0
		.amdhsa_exception_fp_ieee_underflow 0
		.amdhsa_exception_fp_ieee_inexact 0
		.amdhsa_exception_int_div_zero 0
	.end_amdhsa_kernel
	.section	.text._ZN9rocsparseL19gebsrmvn_2xn_kernelILj128ELj16ELj64EfEEvi20rocsparse_direction_NS_24const_host_device_scalarIT2_EEPKiS6_PKS3_S8_S4_PS3_21rocsparse_index_base_b,"axG",@progbits,_ZN9rocsparseL19gebsrmvn_2xn_kernelILj128ELj16ELj64EfEEvi20rocsparse_direction_NS_24const_host_device_scalarIT2_EEPKiS6_PKS3_S8_S4_PS3_21rocsparse_index_base_b,comdat
.Lfunc_end74:
	.size	_ZN9rocsparseL19gebsrmvn_2xn_kernelILj128ELj16ELj64EfEEvi20rocsparse_direction_NS_24const_host_device_scalarIT2_EEPKiS6_PKS3_S8_S4_PS3_21rocsparse_index_base_b, .Lfunc_end74-_ZN9rocsparseL19gebsrmvn_2xn_kernelILj128ELj16ELj64EfEEvi20rocsparse_direction_NS_24const_host_device_scalarIT2_EEPKiS6_PKS3_S8_S4_PS3_21rocsparse_index_base_b
                                        ; -- End function
	.section	.AMDGPU.csdata,"",@progbits
; Kernel info:
; codeLenInByte = 1492
; NumSgprs: 26
; NumVgprs: 64
; NumAgprs: 0
; TotalNumVgprs: 64
; ScratchSize: 0
; MemoryBound: 0
; FloatMode: 240
; IeeeMode: 1
; LDSByteSize: 0 bytes/workgroup (compile time only)
; SGPRBlocks: 3
; VGPRBlocks: 7
; NumSGPRsForWavesPerEU: 26
; NumVGPRsForWavesPerEU: 64
; AccumOffset: 64
; Occupancy: 8
; WaveLimiterHint : 1
; COMPUTE_PGM_RSRC2:SCRATCH_EN: 0
; COMPUTE_PGM_RSRC2:USER_SGPR: 2
; COMPUTE_PGM_RSRC2:TRAP_HANDLER: 0
; COMPUTE_PGM_RSRC2:TGID_X_EN: 1
; COMPUTE_PGM_RSRC2:TGID_Y_EN: 0
; COMPUTE_PGM_RSRC2:TGID_Z_EN: 0
; COMPUTE_PGM_RSRC2:TIDIG_COMP_CNT: 0
; COMPUTE_PGM_RSRC3_GFX90A:ACCUM_OFFSET: 15
; COMPUTE_PGM_RSRC3_GFX90A:TG_SPLIT: 0
	.section	.text._ZN9rocsparseL23gebsrmvn_general_kernelILj32ELj32EfEEvi20rocsparse_direction_NS_24const_host_device_scalarIT1_EEPKiS6_PKS3_iiS8_S4_PS3_21rocsparse_index_base_b,"axG",@progbits,_ZN9rocsparseL23gebsrmvn_general_kernelILj32ELj32EfEEvi20rocsparse_direction_NS_24const_host_device_scalarIT1_EEPKiS6_PKS3_iiS8_S4_PS3_21rocsparse_index_base_b,comdat
	.globl	_ZN9rocsparseL23gebsrmvn_general_kernelILj32ELj32EfEEvi20rocsparse_direction_NS_24const_host_device_scalarIT1_EEPKiS6_PKS3_iiS8_S4_PS3_21rocsparse_index_base_b ; -- Begin function _ZN9rocsparseL23gebsrmvn_general_kernelILj32ELj32EfEEvi20rocsparse_direction_NS_24const_host_device_scalarIT1_EEPKiS6_PKS3_iiS8_S4_PS3_21rocsparse_index_base_b
	.p2align	8
	.type	_ZN9rocsparseL23gebsrmvn_general_kernelILj32ELj32EfEEvi20rocsparse_direction_NS_24const_host_device_scalarIT1_EEPKiS6_PKS3_iiS8_S4_PS3_21rocsparse_index_base_b,@function
_ZN9rocsparseL23gebsrmvn_general_kernelILj32ELj32EfEEvi20rocsparse_direction_NS_24const_host_device_scalarIT1_EEPKiS6_PKS3_iiS8_S4_PS3_21rocsparse_index_base_b: ; @_ZN9rocsparseL23gebsrmvn_general_kernelILj32ELj32EfEEvi20rocsparse_direction_NS_24const_host_device_scalarIT1_EEPKiS6_PKS3_iiS8_S4_PS3_21rocsparse_index_base_b
; %bb.0:
	s_load_dwordx2 s[12:13], s[0:1], 0x48
	s_load_dwordx2 s[14:15], s[0:1], 0x8
	;; [unrolled: 1-line block ×3, first 2 shown]
	s_waitcnt lgkmcnt(0)
	s_bitcmp1_b32 s13, 0
	s_cselect_b64 s[6:7], -1, 0
	s_xor_b64 s[4:5], s[6:7], -1
	s_and_b64 vcc, exec, s[6:7]
	s_cbranch_vccnz .LBB75_2
; %bb.1:
	s_load_dword s14, s[14:15], 0x0
.LBB75_2:
	s_andn2_b64 vcc, exec, s[4:5]
	s_cbranch_vccnz .LBB75_4
; %bb.3:
	s_load_dword s16, s[16:17], 0x0
.LBB75_4:
	s_waitcnt lgkmcnt(0)
	v_cmp_eq_f32_e64 s[4:5], s14, 0
	v_cmp_eq_f32_e64 s[6:7], s16, 1.0
	s_and_b64 s[4:5], s[4:5], s[6:7]
	s_and_b64 vcc, exec, s[4:5]
	s_cbranch_vccnz .LBB75_24
; %bb.5:
	s_load_dwordx2 s[18:19], s[0:1], 0x28
	s_waitcnt lgkmcnt(0)
	s_cmp_gt_i32 s18, 0
	s_cselect_b64 s[4:5], -1, 0
	s_and_saveexec_b64 s[6:7], s[4:5]
	s_cbranch_execz .LBB75_24
; %bb.6:
	s_load_dwordx4 s[8:11], s[0:1], 0x10
	s_load_dword s17, s[0:1], 0x4
	s_ashr_i32 s3, s2, 31
	s_lshl_b64 s[4:5], s[2:3], 2
	v_mov_b32_e32 v2, 0
	s_waitcnt lgkmcnt(0)
	s_add_u32 s4, s8, s4
	s_addc_u32 s5, s9, s5
	s_load_dwordx2 s[6:7], s[4:5], 0x0
	s_load_dwordx2 s[8:9], s[0:1], 0x20
	;; [unrolled: 1-line block ×4, first 2 shown]
	v_cmp_gt_i32_e64 s[0:1], s19, v0
	s_waitcnt lgkmcnt(0)
	s_sub_i32 s13, s6, s12
	s_sub_i32 s15, s7, s12
	s_cmp_lt_i32 s6, s7
	s_cselect_b64 s[4:5], -1, 0
	s_cmp_lg_u32 s17, 0
	s_mul_i32 s17, s2, s18
	s_mul_i32 s2, s18, s13
	;; [unrolled: 1-line block ×3, first 2 shown]
	v_cndmask_b32_e64 v3, 0, 1, s[4:5]
	s_cselect_b64 s[24:25], -1, 0
	v_cmp_eq_u32_e64 s[6:7], 31, v0
	v_cmp_eq_f32_e64 s[26:27], s16, 0
	v_mov_b32_e32 v1, s2
	s_mul_i32 s33, s19, s18
	s_mov_b64 s[2:3], 0
	v_cmp_ne_u32_e64 s[4:5], 1, v3
	s_branch .LBB75_8
.LBB75_7:                               ;   in Loop: Header=BB75_8 Depth=1
	s_or_b64 exec, exec, s[28:29]
	v_add_u32_e32 v2, 1, v2
	v_cmp_le_i32_e32 vcc, s18, v2
	s_or_b64 s[2:3], vcc, s[2:3]
	v_add_u32_e32 v1, s19, v1
	s_andn2_b64 exec, exec, s[2:3]
	s_cbranch_execz .LBB75_24
.LBB75_8:                               ; =>This Loop Header: Depth=1
                                        ;     Child Loop BB75_12 Depth 2
                                        ;       Child Loop BB75_15 Depth 3
	s_and_b64 vcc, exec, s[4:5]
	v_mov_b32_e32 v3, 0
	s_cbranch_vccnz .LBB75_19
; %bb.9:                                ;   in Loop: Header=BB75_8 Depth=1
	v_mov_b32_e32 v3, 0
	v_mov_b32_e32 v6, v1
	s_mov_b32 s28, s13
	s_branch .LBB75_12
.LBB75_10:                              ;   in Loop: Header=BB75_12 Depth=2
	s_or_b64 exec, exec, s[34:35]
.LBB75_11:                              ;   in Loop: Header=BB75_12 Depth=2
	s_or_b64 exec, exec, s[30:31]
	s_add_i32 s28, s28, 1
	s_cmp_ge_i32 s28, s15
	v_add_u32_e32 v6, s33, v6
	s_cbranch_scc1 .LBB75_19
.LBB75_12:                              ;   Parent Loop BB75_8 Depth=1
                                        ; =>  This Loop Header: Depth=2
                                        ;       Child Loop BB75_15 Depth 3
	s_and_saveexec_b64 s[30:31], s[0:1]
	s_cbranch_execz .LBB75_11
; %bb.13:                               ;   in Loop: Header=BB75_12 Depth=2
	s_ashr_i32 s29, s28, 31
	s_lshl_b64 s[34:35], s[28:29], 2
	s_add_u32 s34, s10, s34
	s_addc_u32 s35, s11, s35
	s_load_dword s36, s[34:35], 0x0
	s_mul_i32 s29, s28, s19
	s_mov_b64 s[34:35], 0
	v_mov_b32_e32 v7, v0
	s_waitcnt lgkmcnt(0)
	s_sub_i32 s38, s36, s12
	s_mul_i32 s38, s38, s19
	s_branch .LBB75_15
.LBB75_14:                              ;   in Loop: Header=BB75_15 Depth=3
	v_ashrrev_i32_e32 v5, 31, v4
	v_lshl_add_u64 v[4:5], v[4:5], 2, s[8:9]
	global_load_dword v8, v[4:5], off
	v_add_u32_e32 v4, s38, v7
	v_ashrrev_i32_e32 v5, 31, v4
	v_lshl_add_u64 v[4:5], v[4:5], 2, s[20:21]
	global_load_dword v4, v[4:5], off
	v_add_u32_e32 v7, 32, v7
	v_cmp_le_i32_e32 vcc, s19, v7
	s_or_b64 s[34:35], vcc, s[34:35]
	s_waitcnt vmcnt(0)
	v_fmac_f32_e32 v3, v8, v4
	s_andn2_b64 exec, exec, s[34:35]
	s_cbranch_execz .LBB75_10
.LBB75_15:                              ;   Parent Loop BB75_8 Depth=1
                                        ;     Parent Loop BB75_12 Depth=2
                                        ; =>    This Inner Loop Header: Depth=3
	s_and_b64 vcc, exec, s[24:25]
	s_cbranch_vccz .LBB75_17
; %bb.16:                               ;   in Loop: Header=BB75_15 Depth=3
	v_add_u32_e32 v4, s29, v7
	v_mad_u64_u32 v[4:5], s[36:37], v4, s18, v[2:3]
	s_cbranch_execnz .LBB75_14
	s_branch .LBB75_18
.LBB75_17:                              ;   in Loop: Header=BB75_15 Depth=3
                                        ; implicit-def: $vgpr4
.LBB75_18:                              ;   in Loop: Header=BB75_15 Depth=3
	v_add_u32_e32 v4, v6, v7
	s_branch .LBB75_14
.LBB75_19:                              ;   in Loop: Header=BB75_8 Depth=1
	s_nop 0
	v_mov_b32_dpp v4, v3 row_shr:1 row_mask:0xf bank_mask:0xf
	v_add_f32_e32 v3, v3, v4
	s_nop 1
	v_mov_b32_dpp v4, v3 row_shr:2 row_mask:0xf bank_mask:0xf
	v_add_f32_e32 v3, v3, v4
	;; [unrolled: 3-line block ×4, first 2 shown]
	s_nop 1
	v_mov_b32_dpp v4, v3 row_bcast:15 row_mask:0xa bank_mask:0xf
	s_and_saveexec_b64 s[28:29], s[6:7]
	s_cbranch_execz .LBB75_7
; %bb.20:                               ;   in Loop: Header=BB75_8 Depth=1
	v_add_f32_e32 v3, v3, v4
	v_add_u32_e32 v4, s17, v2
	s_and_b64 vcc, exec, s[26:27]
	v_mul_f32_e32 v3, s14, v3
	v_ashrrev_i32_e32 v5, 31, v4
	s_cbranch_vccz .LBB75_22
; %bb.21:                               ;   in Loop: Header=BB75_8 Depth=1
	v_lshl_add_u64 v[6:7], v[4:5], 2, s[22:23]
	global_store_dword v[6:7], v3, off
	s_cbranch_execnz .LBB75_7
	s_branch .LBB75_23
.LBB75_22:                              ;   in Loop: Header=BB75_8 Depth=1
.LBB75_23:                              ;   in Loop: Header=BB75_8 Depth=1
	v_lshl_add_u64 v[4:5], v[4:5], 2, s[22:23]
	global_load_dword v6, v[4:5], off
	s_waitcnt vmcnt(0)
	v_fmac_f32_e32 v3, s16, v6
	global_store_dword v[4:5], v3, off
	s_branch .LBB75_7
.LBB75_24:
	s_endpgm
	.section	.rodata,"a",@progbits
	.p2align	6, 0x0
	.amdhsa_kernel _ZN9rocsparseL23gebsrmvn_general_kernelILj32ELj32EfEEvi20rocsparse_direction_NS_24const_host_device_scalarIT1_EEPKiS6_PKS3_iiS8_S4_PS3_21rocsparse_index_base_b
		.amdhsa_group_segment_fixed_size 0
		.amdhsa_private_segment_fixed_size 0
		.amdhsa_kernarg_size 80
		.amdhsa_user_sgpr_count 2
		.amdhsa_user_sgpr_dispatch_ptr 0
		.amdhsa_user_sgpr_queue_ptr 0
		.amdhsa_user_sgpr_kernarg_segment_ptr 1
		.amdhsa_user_sgpr_dispatch_id 0
		.amdhsa_user_sgpr_kernarg_preload_length 0
		.amdhsa_user_sgpr_kernarg_preload_offset 0
		.amdhsa_user_sgpr_private_segment_size 0
		.amdhsa_uses_dynamic_stack 0
		.amdhsa_enable_private_segment 0
		.amdhsa_system_sgpr_workgroup_id_x 1
		.amdhsa_system_sgpr_workgroup_id_y 0
		.amdhsa_system_sgpr_workgroup_id_z 0
		.amdhsa_system_sgpr_workgroup_info 0
		.amdhsa_system_vgpr_workitem_id 0
		.amdhsa_next_free_vgpr 9
		.amdhsa_next_free_sgpr 39
		.amdhsa_accum_offset 12
		.amdhsa_reserve_vcc 1
		.amdhsa_float_round_mode_32 0
		.amdhsa_float_round_mode_16_64 0
		.amdhsa_float_denorm_mode_32 3
		.amdhsa_float_denorm_mode_16_64 3
		.amdhsa_dx10_clamp 1
		.amdhsa_ieee_mode 1
		.amdhsa_fp16_overflow 0
		.amdhsa_tg_split 0
		.amdhsa_exception_fp_ieee_invalid_op 0
		.amdhsa_exception_fp_denorm_src 0
		.amdhsa_exception_fp_ieee_div_zero 0
		.amdhsa_exception_fp_ieee_overflow 0
		.amdhsa_exception_fp_ieee_underflow 0
		.amdhsa_exception_fp_ieee_inexact 0
		.amdhsa_exception_int_div_zero 0
	.end_amdhsa_kernel
	.section	.text._ZN9rocsparseL23gebsrmvn_general_kernelILj32ELj32EfEEvi20rocsparse_direction_NS_24const_host_device_scalarIT1_EEPKiS6_PKS3_iiS8_S4_PS3_21rocsparse_index_base_b,"axG",@progbits,_ZN9rocsparseL23gebsrmvn_general_kernelILj32ELj32EfEEvi20rocsparse_direction_NS_24const_host_device_scalarIT1_EEPKiS6_PKS3_iiS8_S4_PS3_21rocsparse_index_base_b,comdat
.Lfunc_end75:
	.size	_ZN9rocsparseL23gebsrmvn_general_kernelILj32ELj32EfEEvi20rocsparse_direction_NS_24const_host_device_scalarIT1_EEPKiS6_PKS3_iiS8_S4_PS3_21rocsparse_index_base_b, .Lfunc_end75-_ZN9rocsparseL23gebsrmvn_general_kernelILj32ELj32EfEEvi20rocsparse_direction_NS_24const_host_device_scalarIT1_EEPKiS6_PKS3_iiS8_S4_PS3_21rocsparse_index_base_b
                                        ; -- End function
	.section	.AMDGPU.csdata,"",@progbits
; Kernel info:
; codeLenInByte = 720
; NumSgprs: 45
; NumVgprs: 9
; NumAgprs: 0
; TotalNumVgprs: 9
; ScratchSize: 0
; MemoryBound: 0
; FloatMode: 240
; IeeeMode: 1
; LDSByteSize: 0 bytes/workgroup (compile time only)
; SGPRBlocks: 5
; VGPRBlocks: 1
; NumSGPRsForWavesPerEU: 45
; NumVGPRsForWavesPerEU: 9
; AccumOffset: 12
; Occupancy: 8
; WaveLimiterHint : 1
; COMPUTE_PGM_RSRC2:SCRATCH_EN: 0
; COMPUTE_PGM_RSRC2:USER_SGPR: 2
; COMPUTE_PGM_RSRC2:TRAP_HANDLER: 0
; COMPUTE_PGM_RSRC2:TGID_X_EN: 1
; COMPUTE_PGM_RSRC2:TGID_Y_EN: 0
; COMPUTE_PGM_RSRC2:TGID_Z_EN: 0
; COMPUTE_PGM_RSRC2:TIDIG_COMP_CNT: 0
; COMPUTE_PGM_RSRC3_GFX90A:ACCUM_OFFSET: 2
; COMPUTE_PGM_RSRC3_GFX90A:TG_SPLIT: 0
	.section	.text._ZN9rocsparseL19gebsrmvn_2xn_kernelILj128ELj1ELj4EdEEvi20rocsparse_direction_NS_24const_host_device_scalarIT2_EEPKiS6_PKS3_S8_S4_PS3_21rocsparse_index_base_b,"axG",@progbits,_ZN9rocsparseL19gebsrmvn_2xn_kernelILj128ELj1ELj4EdEEvi20rocsparse_direction_NS_24const_host_device_scalarIT2_EEPKiS6_PKS3_S8_S4_PS3_21rocsparse_index_base_b,comdat
	.globl	_ZN9rocsparseL19gebsrmvn_2xn_kernelILj128ELj1ELj4EdEEvi20rocsparse_direction_NS_24const_host_device_scalarIT2_EEPKiS6_PKS3_S8_S4_PS3_21rocsparse_index_base_b ; -- Begin function _ZN9rocsparseL19gebsrmvn_2xn_kernelILj128ELj1ELj4EdEEvi20rocsparse_direction_NS_24const_host_device_scalarIT2_EEPKiS6_PKS3_S8_S4_PS3_21rocsparse_index_base_b
	.p2align	8
	.type	_ZN9rocsparseL19gebsrmvn_2xn_kernelILj128ELj1ELj4EdEEvi20rocsparse_direction_NS_24const_host_device_scalarIT2_EEPKiS6_PKS3_S8_S4_PS3_21rocsparse_index_base_b,@function
_ZN9rocsparseL19gebsrmvn_2xn_kernelILj128ELj1ELj4EdEEvi20rocsparse_direction_NS_24const_host_device_scalarIT2_EEPKiS6_PKS3_S8_S4_PS3_21rocsparse_index_base_b: ; @_ZN9rocsparseL19gebsrmvn_2xn_kernelILj128ELj1ELj4EdEEvi20rocsparse_direction_NS_24const_host_device_scalarIT2_EEPKiS6_PKS3_S8_S4_PS3_21rocsparse_index_base_b
; %bb.0:
	s_load_dwordx2 s[12:13], s[0:1], 0x40
	s_load_dwordx2 s[8:9], s[0:1], 0x8
	s_load_dwordx2 s[4:5], s[0:1], 0x30
	s_waitcnt lgkmcnt(0)
	s_bitcmp1_b32 s13, 0
	s_cselect_b64 s[10:11], -1, 0
	s_xor_b64 s[6:7], s[10:11], -1
	s_and_b64 vcc, exec, s[10:11]
	v_mov_b64_e32 v[2:3], s[8:9]
	s_cbranch_vccnz .LBB76_2
; %bb.1:
	v_mov_b64_e32 v[2:3], s[8:9]
	flat_load_dwordx2 v[2:3], v[2:3]
.LBB76_2:
	s_andn2_b64 vcc, exec, s[6:7]
	v_mov_b64_e32 v[4:5], s[4:5]
	s_cbranch_vccnz .LBB76_4
; %bb.3:
	v_mov_b64_e32 v[4:5], s[4:5]
	flat_load_dwordx2 v[4:5], v[4:5]
.LBB76_4:
	s_waitcnt vmcnt(0) lgkmcnt(0)
	v_cmp_neq_f64_e32 vcc, 0, v[2:3]
	v_cmp_neq_f64_e64 s[4:5], 1.0, v[4:5]
	s_or_b64 s[4:5], vcc, s[4:5]
	s_and_saveexec_b64 s[6:7], s[4:5]
	s_cbranch_execz .LBB76_23
; %bb.5:
	s_load_dwordx2 s[14:15], s[0:1], 0x0
	v_lshrrev_b32_e32 v1, 2, v0
	v_lshl_or_b32 v6, s2, 5, v1
	s_waitcnt lgkmcnt(0)
	v_cmp_gt_i32_e32 vcc, s14, v6
	s_and_b64 exec, exec, vcc
	s_cbranch_execz .LBB76_23
; %bb.6:
	s_load_dwordx8 s[4:11], s[0:1], 0x10
	v_ashrrev_i32_e32 v7, 31, v6
	s_cmp_lg_u32 s15, 0
	s_waitcnt lgkmcnt(0)
	v_lshl_add_u64 v[8:9], v[6:7], 2, s[4:5]
	global_load_dwordx2 v[8:9], v[8:9], off
	v_and_b32_e32 v7, 3, v0
	s_waitcnt vmcnt(0)
	v_subrev_u32_e32 v0, s12, v8
	v_subrev_u32_e32 v16, s12, v9
	v_add_u32_e32 v8, v0, v7
	v_cmp_lt_i32_e64 s[2:3], v8, v16
	s_cbranch_scc0 .LBB76_12
; %bb.7:
	v_mov_b64_e32 v[0:1], 0
	s_mov_b64 s[4:5], 0
	v_mov_b64_e32 v[10:11], v[0:1]
	s_and_saveexec_b64 s[14:15], s[2:3]
	s_cbranch_execz .LBB76_11
; %bb.8:
	v_mov_b64_e32 v[0:1], 0
	v_lshlrev_b32_e32 v12, 1, v8
	s_mov_b64 s[16:17], 0
	v_mov_b32_e32 v13, 0
	v_mov_b32_e32 v14, v8
	v_mov_b64_e32 v[10:11], v[0:1]
.LBB76_9:                               ; =>This Inner Loop Header: Depth=1
	v_ashrrev_i32_e32 v15, 31, v14
	v_lshl_add_u64 v[18:19], v[14:15], 2, s[6:7]
	global_load_dword v9, v[18:19], off
	v_mov_b32_e32 v23, v13
	v_lshl_add_u64 v[18:19], v[12:13], 3, s[8:9]
	global_load_dwordx4 v[18:21], v[18:19], off
	v_add_u32_e32 v14, 4, v14
	v_cmp_ge_i32_e32 vcc, v14, v16
	v_add_u32_e32 v12, 8, v12
	s_or_b64 s[16:17], vcc, s[16:17]
	s_waitcnt vmcnt(1)
	v_subrev_u32_e32 v22, s12, v9
	v_lshl_add_u64 v[22:23], v[22:23], 3, s[10:11]
	global_load_dwordx2 v[22:23], v[22:23], off
	s_waitcnt vmcnt(0)
	v_fmac_f64_e32 v[0:1], v[18:19], v[22:23]
	v_fmac_f64_e32 v[10:11], v[20:21], v[22:23]
	s_andn2_b64 exec, exec, s[16:17]
	s_cbranch_execnz .LBB76_9
; %bb.10:
	s_or_b64 exec, exec, s[16:17]
.LBB76_11:
	s_or_b64 exec, exec, s[14:15]
	s_andn2_b64 vcc, exec, s[4:5]
	s_cbranch_vccz .LBB76_13
	s_branch .LBB76_18
.LBB76_12:
                                        ; implicit-def: $vgpr0_vgpr1
                                        ; implicit-def: $vgpr10_vgpr11
.LBB76_13:
	v_mov_b64_e32 v[0:1], 0
	v_mov_b64_e32 v[10:11], v[0:1]
	s_and_saveexec_b64 s[4:5], s[2:3]
	s_cbranch_execz .LBB76_17
; %bb.14:
	v_mov_b64_e32 v[0:1], 0
	v_lshlrev_b32_e32 v12, 1, v8
	s_mov_b64 s[2:3], 0
	v_mov_b32_e32 v13, 0
	v_mov_b64_e32 v[10:11], v[0:1]
.LBB76_15:                              ; =>This Inner Loop Header: Depth=1
	v_ashrrev_i32_e32 v9, 31, v8
	v_lshl_add_u64 v[14:15], v[8:9], 2, s[6:7]
	global_load_dword v9, v[14:15], off
	v_lshl_add_u64 v[14:15], v[12:13], 3, s[8:9]
	v_mov_b32_e32 v23, v13
	global_load_dwordx4 v[18:21], v[14:15], off
	v_add_u32_e32 v8, 4, v8
	v_cmp_ge_i32_e32 vcc, v8, v16
	v_add_u32_e32 v12, 8, v12
	s_or_b64 s[2:3], vcc, s[2:3]
	s_waitcnt vmcnt(1)
	v_subrev_u32_e32 v22, s12, v9
	v_lshl_add_u64 v[14:15], v[22:23], 3, s[10:11]
	global_load_dwordx2 v[14:15], v[14:15], off
	s_waitcnt vmcnt(0)
	v_fmac_f64_e32 v[0:1], v[18:19], v[14:15]
	v_fmac_f64_e32 v[10:11], v[20:21], v[14:15]
	s_andn2_b64 exec, exec, s[2:3]
	s_cbranch_execnz .LBB76_15
; %bb.16:
	s_or_b64 exec, exec, s[2:3]
.LBB76_17:
	s_or_b64 exec, exec, s[4:5]
.LBB76_18:
	v_mov_b32_dpp v8, v0 row_shr:1 row_mask:0xf bank_mask:0xf
	v_mov_b32_dpp v9, v1 row_shr:1 row_mask:0xf bank_mask:0xf
	;; [unrolled: 1-line block ×4, first 2 shown]
	v_add_f64 v[0:1], v[0:1], v[8:9]
	v_add_f64 v[10:11], v[10:11], v[12:13]
	v_cmp_eq_u32_e32 vcc, 3, v7
	v_mov_b32_dpp v8, v0 row_shr:2 row_mask:0xf bank_mask:0xf
	v_mov_b32_dpp v9, v1 row_shr:2 row_mask:0xf bank_mask:0xf
	;; [unrolled: 1-line block ×4, first 2 shown]
	s_and_b64 exec, exec, vcc
	s_cbranch_execz .LBB76_23
; %bb.19:
	s_load_dwordx2 s[0:1], s[0:1], 0x38
	v_add_f64 v[8:9], v[0:1], v[8:9]
	v_add_f64 v[0:1], v[10:11], v[12:13]
	v_cmp_eq_f64_e32 vcc, 0, v[4:5]
	s_and_saveexec_b64 s[2:3], vcc
	s_xor_b64 s[2:3], exec, s[2:3]
	s_cbranch_execz .LBB76_21
; %bb.20:
	v_lshlrev_b32_e32 v6, 1, v6
	v_ashrrev_i32_e32 v7, 31, v6
	v_mul_f64 v[4:5], v[2:3], v[8:9]
	s_waitcnt lgkmcnt(0)
	v_lshl_add_u64 v[8:9], v[6:7], 3, s[0:1]
	v_mul_f64 v[6:7], v[2:3], v[0:1]
	global_store_dwordx4 v[8:9], v[4:7], off
                                        ; implicit-def: $vgpr6
                                        ; implicit-def: $vgpr2_vgpr3
                                        ; implicit-def: $vgpr8_vgpr9
                                        ; implicit-def: $vgpr4_vgpr5
                                        ; implicit-def: $vgpr0_vgpr1
.LBB76_21:
	s_andn2_saveexec_b64 s[2:3], s[2:3]
	s_cbranch_execz .LBB76_23
; %bb.22:
	v_lshlrev_b32_e32 v6, 1, v6
	v_ashrrev_i32_e32 v7, 31, v6
	s_waitcnt lgkmcnt(0)
	v_lshl_add_u64 v[14:15], v[6:7], 3, s[0:1]
	global_load_dwordx4 v[10:13], v[14:15], off
	v_mul_f64 v[6:7], v[2:3], v[8:9]
	v_mul_f64 v[8:9], v[2:3], v[0:1]
	s_waitcnt vmcnt(0)
	v_fmac_f64_e32 v[6:7], v[4:5], v[10:11]
	v_fmac_f64_e32 v[8:9], v[4:5], v[12:13]
	global_store_dwordx4 v[14:15], v[6:9], off
.LBB76_23:
	s_endpgm
	.section	.rodata,"a",@progbits
	.p2align	6, 0x0
	.amdhsa_kernel _ZN9rocsparseL19gebsrmvn_2xn_kernelILj128ELj1ELj4EdEEvi20rocsparse_direction_NS_24const_host_device_scalarIT2_EEPKiS6_PKS3_S8_S4_PS3_21rocsparse_index_base_b
		.amdhsa_group_segment_fixed_size 0
		.amdhsa_private_segment_fixed_size 0
		.amdhsa_kernarg_size 72
		.amdhsa_user_sgpr_count 2
		.amdhsa_user_sgpr_dispatch_ptr 0
		.amdhsa_user_sgpr_queue_ptr 0
		.amdhsa_user_sgpr_kernarg_segment_ptr 1
		.amdhsa_user_sgpr_dispatch_id 0
		.amdhsa_user_sgpr_kernarg_preload_length 0
		.amdhsa_user_sgpr_kernarg_preload_offset 0
		.amdhsa_user_sgpr_private_segment_size 0
		.amdhsa_uses_dynamic_stack 0
		.amdhsa_enable_private_segment 0
		.amdhsa_system_sgpr_workgroup_id_x 1
		.amdhsa_system_sgpr_workgroup_id_y 0
		.amdhsa_system_sgpr_workgroup_id_z 0
		.amdhsa_system_sgpr_workgroup_info 0
		.amdhsa_system_vgpr_workitem_id 0
		.amdhsa_next_free_vgpr 24
		.amdhsa_next_free_sgpr 18
		.amdhsa_accum_offset 24
		.amdhsa_reserve_vcc 1
		.amdhsa_float_round_mode_32 0
		.amdhsa_float_round_mode_16_64 0
		.amdhsa_float_denorm_mode_32 3
		.amdhsa_float_denorm_mode_16_64 3
		.amdhsa_dx10_clamp 1
		.amdhsa_ieee_mode 1
		.amdhsa_fp16_overflow 0
		.amdhsa_tg_split 0
		.amdhsa_exception_fp_ieee_invalid_op 0
		.amdhsa_exception_fp_denorm_src 0
		.amdhsa_exception_fp_ieee_div_zero 0
		.amdhsa_exception_fp_ieee_overflow 0
		.amdhsa_exception_fp_ieee_underflow 0
		.amdhsa_exception_fp_ieee_inexact 0
		.amdhsa_exception_int_div_zero 0
	.end_amdhsa_kernel
	.section	.text._ZN9rocsparseL19gebsrmvn_2xn_kernelILj128ELj1ELj4EdEEvi20rocsparse_direction_NS_24const_host_device_scalarIT2_EEPKiS6_PKS3_S8_S4_PS3_21rocsparse_index_base_b,"axG",@progbits,_ZN9rocsparseL19gebsrmvn_2xn_kernelILj128ELj1ELj4EdEEvi20rocsparse_direction_NS_24const_host_device_scalarIT2_EEPKiS6_PKS3_S8_S4_PS3_21rocsparse_index_base_b,comdat
.Lfunc_end76:
	.size	_ZN9rocsparseL19gebsrmvn_2xn_kernelILj128ELj1ELj4EdEEvi20rocsparse_direction_NS_24const_host_device_scalarIT2_EEPKiS6_PKS3_S8_S4_PS3_21rocsparse_index_base_b, .Lfunc_end76-_ZN9rocsparseL19gebsrmvn_2xn_kernelILj128ELj1ELj4EdEEvi20rocsparse_direction_NS_24const_host_device_scalarIT2_EEPKiS6_PKS3_S8_S4_PS3_21rocsparse_index_base_b
                                        ; -- End function
	.section	.AMDGPU.csdata,"",@progbits
; Kernel info:
; codeLenInByte = 780
; NumSgprs: 24
; NumVgprs: 24
; NumAgprs: 0
; TotalNumVgprs: 24
; ScratchSize: 0
; MemoryBound: 0
; FloatMode: 240
; IeeeMode: 1
; LDSByteSize: 0 bytes/workgroup (compile time only)
; SGPRBlocks: 2
; VGPRBlocks: 2
; NumSGPRsForWavesPerEU: 24
; NumVGPRsForWavesPerEU: 24
; AccumOffset: 24
; Occupancy: 8
; WaveLimiterHint : 1
; COMPUTE_PGM_RSRC2:SCRATCH_EN: 0
; COMPUTE_PGM_RSRC2:USER_SGPR: 2
; COMPUTE_PGM_RSRC2:TRAP_HANDLER: 0
; COMPUTE_PGM_RSRC2:TGID_X_EN: 1
; COMPUTE_PGM_RSRC2:TGID_Y_EN: 0
; COMPUTE_PGM_RSRC2:TGID_Z_EN: 0
; COMPUTE_PGM_RSRC2:TIDIG_COMP_CNT: 0
; COMPUTE_PGM_RSRC3_GFX90A:ACCUM_OFFSET: 5
; COMPUTE_PGM_RSRC3_GFX90A:TG_SPLIT: 0
	.section	.text._ZN9rocsparseL19gebsrmvn_2xn_kernelILj128ELj1ELj8EdEEvi20rocsparse_direction_NS_24const_host_device_scalarIT2_EEPKiS6_PKS3_S8_S4_PS3_21rocsparse_index_base_b,"axG",@progbits,_ZN9rocsparseL19gebsrmvn_2xn_kernelILj128ELj1ELj8EdEEvi20rocsparse_direction_NS_24const_host_device_scalarIT2_EEPKiS6_PKS3_S8_S4_PS3_21rocsparse_index_base_b,comdat
	.globl	_ZN9rocsparseL19gebsrmvn_2xn_kernelILj128ELj1ELj8EdEEvi20rocsparse_direction_NS_24const_host_device_scalarIT2_EEPKiS6_PKS3_S8_S4_PS3_21rocsparse_index_base_b ; -- Begin function _ZN9rocsparseL19gebsrmvn_2xn_kernelILj128ELj1ELj8EdEEvi20rocsparse_direction_NS_24const_host_device_scalarIT2_EEPKiS6_PKS3_S8_S4_PS3_21rocsparse_index_base_b
	.p2align	8
	.type	_ZN9rocsparseL19gebsrmvn_2xn_kernelILj128ELj1ELj8EdEEvi20rocsparse_direction_NS_24const_host_device_scalarIT2_EEPKiS6_PKS3_S8_S4_PS3_21rocsparse_index_base_b,@function
_ZN9rocsparseL19gebsrmvn_2xn_kernelILj128ELj1ELj8EdEEvi20rocsparse_direction_NS_24const_host_device_scalarIT2_EEPKiS6_PKS3_S8_S4_PS3_21rocsparse_index_base_b: ; @_ZN9rocsparseL19gebsrmvn_2xn_kernelILj128ELj1ELj8EdEEvi20rocsparse_direction_NS_24const_host_device_scalarIT2_EEPKiS6_PKS3_S8_S4_PS3_21rocsparse_index_base_b
; %bb.0:
	s_load_dwordx2 s[12:13], s[0:1], 0x40
	s_load_dwordx2 s[8:9], s[0:1], 0x8
	;; [unrolled: 1-line block ×3, first 2 shown]
	s_waitcnt lgkmcnt(0)
	s_bitcmp1_b32 s13, 0
	s_cselect_b64 s[10:11], -1, 0
	s_xor_b64 s[6:7], s[10:11], -1
	s_and_b64 vcc, exec, s[10:11]
	v_mov_b64_e32 v[2:3], s[8:9]
	s_cbranch_vccnz .LBB77_2
; %bb.1:
	v_mov_b64_e32 v[2:3], s[8:9]
	flat_load_dwordx2 v[2:3], v[2:3]
.LBB77_2:
	s_andn2_b64 vcc, exec, s[6:7]
	v_mov_b64_e32 v[4:5], s[4:5]
	s_cbranch_vccnz .LBB77_4
; %bb.3:
	v_mov_b64_e32 v[4:5], s[4:5]
	flat_load_dwordx2 v[4:5], v[4:5]
.LBB77_4:
	s_waitcnt vmcnt(0) lgkmcnt(0)
	v_cmp_neq_f64_e32 vcc, 0, v[2:3]
	v_cmp_neq_f64_e64 s[4:5], 1.0, v[4:5]
	s_or_b64 s[4:5], vcc, s[4:5]
	s_and_saveexec_b64 s[6:7], s[4:5]
	s_cbranch_execz .LBB77_23
; %bb.5:
	s_load_dwordx2 s[14:15], s[0:1], 0x0
	v_lshrrev_b32_e32 v1, 3, v0
	v_lshl_or_b32 v6, s2, 4, v1
	s_waitcnt lgkmcnt(0)
	v_cmp_gt_i32_e32 vcc, s14, v6
	s_and_b64 exec, exec, vcc
	s_cbranch_execz .LBB77_23
; %bb.6:
	s_load_dwordx8 s[4:11], s[0:1], 0x10
	v_ashrrev_i32_e32 v7, 31, v6
	s_cmp_lg_u32 s15, 0
	s_waitcnt lgkmcnt(0)
	v_lshl_add_u64 v[8:9], v[6:7], 2, s[4:5]
	global_load_dwordx2 v[8:9], v[8:9], off
	v_and_b32_e32 v7, 7, v0
	s_waitcnt vmcnt(0)
	v_subrev_u32_e32 v0, s12, v8
	v_subrev_u32_e32 v16, s12, v9
	v_add_u32_e32 v8, v0, v7
	v_cmp_lt_i32_e64 s[2:3], v8, v16
	s_cbranch_scc0 .LBB77_12
; %bb.7:
	v_mov_b64_e32 v[0:1], 0
	s_mov_b64 s[4:5], 0
	v_mov_b64_e32 v[10:11], v[0:1]
	s_and_saveexec_b64 s[14:15], s[2:3]
	s_cbranch_execz .LBB77_11
; %bb.8:
	v_mov_b64_e32 v[0:1], 0
	v_lshlrev_b32_e32 v12, 1, v8
	s_mov_b64 s[16:17], 0
	v_mov_b32_e32 v13, 0
	v_mov_b32_e32 v14, v8
	v_mov_b64_e32 v[10:11], v[0:1]
.LBB77_9:                               ; =>This Inner Loop Header: Depth=1
	v_ashrrev_i32_e32 v15, 31, v14
	v_lshl_add_u64 v[18:19], v[14:15], 2, s[6:7]
	global_load_dword v9, v[18:19], off
	v_mov_b32_e32 v23, v13
	v_lshl_add_u64 v[18:19], v[12:13], 3, s[8:9]
	global_load_dwordx4 v[18:21], v[18:19], off
	v_add_u32_e32 v14, 8, v14
	v_cmp_ge_i32_e32 vcc, v14, v16
	v_add_u32_e32 v12, 16, v12
	s_or_b64 s[16:17], vcc, s[16:17]
	s_waitcnt vmcnt(1)
	v_subrev_u32_e32 v22, s12, v9
	v_lshl_add_u64 v[22:23], v[22:23], 3, s[10:11]
	global_load_dwordx2 v[22:23], v[22:23], off
	s_waitcnt vmcnt(0)
	v_fmac_f64_e32 v[0:1], v[18:19], v[22:23]
	v_fmac_f64_e32 v[10:11], v[20:21], v[22:23]
	s_andn2_b64 exec, exec, s[16:17]
	s_cbranch_execnz .LBB77_9
; %bb.10:
	s_or_b64 exec, exec, s[16:17]
.LBB77_11:
	s_or_b64 exec, exec, s[14:15]
	s_andn2_b64 vcc, exec, s[4:5]
	s_cbranch_vccz .LBB77_13
	s_branch .LBB77_18
.LBB77_12:
                                        ; implicit-def: $vgpr0_vgpr1
                                        ; implicit-def: $vgpr10_vgpr11
.LBB77_13:
	v_mov_b64_e32 v[0:1], 0
	v_mov_b64_e32 v[10:11], v[0:1]
	s_and_saveexec_b64 s[4:5], s[2:3]
	s_cbranch_execz .LBB77_17
; %bb.14:
	v_mov_b64_e32 v[0:1], 0
	v_lshlrev_b32_e32 v12, 1, v8
	s_mov_b64 s[2:3], 0
	v_mov_b32_e32 v13, 0
	v_mov_b64_e32 v[10:11], v[0:1]
.LBB77_15:                              ; =>This Inner Loop Header: Depth=1
	v_ashrrev_i32_e32 v9, 31, v8
	v_lshl_add_u64 v[14:15], v[8:9], 2, s[6:7]
	global_load_dword v9, v[14:15], off
	v_lshl_add_u64 v[14:15], v[12:13], 3, s[8:9]
	v_mov_b32_e32 v23, v13
	global_load_dwordx4 v[18:21], v[14:15], off
	v_add_u32_e32 v8, 8, v8
	v_cmp_ge_i32_e32 vcc, v8, v16
	v_add_u32_e32 v12, 16, v12
	s_or_b64 s[2:3], vcc, s[2:3]
	s_waitcnt vmcnt(1)
	v_subrev_u32_e32 v22, s12, v9
	v_lshl_add_u64 v[14:15], v[22:23], 3, s[10:11]
	global_load_dwordx2 v[14:15], v[14:15], off
	s_waitcnt vmcnt(0)
	v_fmac_f64_e32 v[0:1], v[18:19], v[14:15]
	v_fmac_f64_e32 v[10:11], v[20:21], v[14:15]
	s_andn2_b64 exec, exec, s[2:3]
	s_cbranch_execnz .LBB77_15
; %bb.16:
	s_or_b64 exec, exec, s[2:3]
.LBB77_17:
	s_or_b64 exec, exec, s[4:5]
.LBB77_18:
	v_mov_b32_dpp v8, v0 row_shr:1 row_mask:0xf bank_mask:0xf
	v_mov_b32_dpp v9, v1 row_shr:1 row_mask:0xf bank_mask:0xf
	;; [unrolled: 1-line block ×4, first 2 shown]
	v_add_f64 v[0:1], v[0:1], v[8:9]
	v_add_f64 v[10:11], v[10:11], v[12:13]
	v_cmp_eq_u32_e32 vcc, 7, v7
	v_mov_b32_dpp v8, v0 row_shr:2 row_mask:0xf bank_mask:0xf
	v_mov_b32_dpp v9, v1 row_shr:2 row_mask:0xf bank_mask:0xf
	;; [unrolled: 1-line block ×4, first 2 shown]
	v_add_f64 v[0:1], v[0:1], v[8:9]
	v_add_f64 v[10:11], v[10:11], v[12:13]
	s_nop 0
	v_mov_b32_dpp v8, v0 row_shr:4 row_mask:0xf bank_mask:0xe
	v_mov_b32_dpp v9, v1 row_shr:4 row_mask:0xf bank_mask:0xe
	;; [unrolled: 1-line block ×4, first 2 shown]
	s_and_b64 exec, exec, vcc
	s_cbranch_execz .LBB77_23
; %bb.19:
	s_load_dwordx2 s[0:1], s[0:1], 0x38
	v_add_f64 v[8:9], v[0:1], v[8:9]
	v_add_f64 v[0:1], v[10:11], v[12:13]
	v_cmp_eq_f64_e32 vcc, 0, v[4:5]
	s_and_saveexec_b64 s[2:3], vcc
	s_xor_b64 s[2:3], exec, s[2:3]
	s_cbranch_execz .LBB77_21
; %bb.20:
	v_lshlrev_b32_e32 v6, 1, v6
	v_ashrrev_i32_e32 v7, 31, v6
	v_mul_f64 v[4:5], v[2:3], v[8:9]
	s_waitcnt lgkmcnt(0)
	v_lshl_add_u64 v[8:9], v[6:7], 3, s[0:1]
	v_mul_f64 v[6:7], v[2:3], v[0:1]
	global_store_dwordx4 v[8:9], v[4:7], off
                                        ; implicit-def: $vgpr6
                                        ; implicit-def: $vgpr2_vgpr3
                                        ; implicit-def: $vgpr8_vgpr9
                                        ; implicit-def: $vgpr4_vgpr5
                                        ; implicit-def: $vgpr0_vgpr1
.LBB77_21:
	s_andn2_saveexec_b64 s[2:3], s[2:3]
	s_cbranch_execz .LBB77_23
; %bb.22:
	v_lshlrev_b32_e32 v6, 1, v6
	v_ashrrev_i32_e32 v7, 31, v6
	s_waitcnt lgkmcnt(0)
	v_lshl_add_u64 v[14:15], v[6:7], 3, s[0:1]
	global_load_dwordx4 v[10:13], v[14:15], off
	v_mul_f64 v[6:7], v[2:3], v[8:9]
	v_mul_f64 v[8:9], v[2:3], v[0:1]
	s_waitcnt vmcnt(0)
	v_fmac_f64_e32 v[6:7], v[4:5], v[10:11]
	v_fmac_f64_e32 v[8:9], v[4:5], v[12:13]
	global_store_dwordx4 v[14:15], v[6:9], off
.LBB77_23:
	s_endpgm
	.section	.rodata,"a",@progbits
	.p2align	6, 0x0
	.amdhsa_kernel _ZN9rocsparseL19gebsrmvn_2xn_kernelILj128ELj1ELj8EdEEvi20rocsparse_direction_NS_24const_host_device_scalarIT2_EEPKiS6_PKS3_S8_S4_PS3_21rocsparse_index_base_b
		.amdhsa_group_segment_fixed_size 0
		.amdhsa_private_segment_fixed_size 0
		.amdhsa_kernarg_size 72
		.amdhsa_user_sgpr_count 2
		.amdhsa_user_sgpr_dispatch_ptr 0
		.amdhsa_user_sgpr_queue_ptr 0
		.amdhsa_user_sgpr_kernarg_segment_ptr 1
		.amdhsa_user_sgpr_dispatch_id 0
		.amdhsa_user_sgpr_kernarg_preload_length 0
		.amdhsa_user_sgpr_kernarg_preload_offset 0
		.amdhsa_user_sgpr_private_segment_size 0
		.amdhsa_uses_dynamic_stack 0
		.amdhsa_enable_private_segment 0
		.amdhsa_system_sgpr_workgroup_id_x 1
		.amdhsa_system_sgpr_workgroup_id_y 0
		.amdhsa_system_sgpr_workgroup_id_z 0
		.amdhsa_system_sgpr_workgroup_info 0
		.amdhsa_system_vgpr_workitem_id 0
		.amdhsa_next_free_vgpr 24
		.amdhsa_next_free_sgpr 18
		.amdhsa_accum_offset 24
		.amdhsa_reserve_vcc 1
		.amdhsa_float_round_mode_32 0
		.amdhsa_float_round_mode_16_64 0
		.amdhsa_float_denorm_mode_32 3
		.amdhsa_float_denorm_mode_16_64 3
		.amdhsa_dx10_clamp 1
		.amdhsa_ieee_mode 1
		.amdhsa_fp16_overflow 0
		.amdhsa_tg_split 0
		.amdhsa_exception_fp_ieee_invalid_op 0
		.amdhsa_exception_fp_denorm_src 0
		.amdhsa_exception_fp_ieee_div_zero 0
		.amdhsa_exception_fp_ieee_overflow 0
		.amdhsa_exception_fp_ieee_underflow 0
		.amdhsa_exception_fp_ieee_inexact 0
		.amdhsa_exception_int_div_zero 0
	.end_amdhsa_kernel
	.section	.text._ZN9rocsparseL19gebsrmvn_2xn_kernelILj128ELj1ELj8EdEEvi20rocsparse_direction_NS_24const_host_device_scalarIT2_EEPKiS6_PKS3_S8_S4_PS3_21rocsparse_index_base_b,"axG",@progbits,_ZN9rocsparseL19gebsrmvn_2xn_kernelILj128ELj1ELj8EdEEvi20rocsparse_direction_NS_24const_host_device_scalarIT2_EEPKiS6_PKS3_S8_S4_PS3_21rocsparse_index_base_b,comdat
.Lfunc_end77:
	.size	_ZN9rocsparseL19gebsrmvn_2xn_kernelILj128ELj1ELj8EdEEvi20rocsparse_direction_NS_24const_host_device_scalarIT2_EEPKiS6_PKS3_S8_S4_PS3_21rocsparse_index_base_b, .Lfunc_end77-_ZN9rocsparseL19gebsrmvn_2xn_kernelILj128ELj1ELj8EdEEvi20rocsparse_direction_NS_24const_host_device_scalarIT2_EEPKiS6_PKS3_S8_S4_PS3_21rocsparse_index_base_b
                                        ; -- End function
	.section	.AMDGPU.csdata,"",@progbits
; Kernel info:
; codeLenInByte = 832
; NumSgprs: 24
; NumVgprs: 24
; NumAgprs: 0
; TotalNumVgprs: 24
; ScratchSize: 0
; MemoryBound: 0
; FloatMode: 240
; IeeeMode: 1
; LDSByteSize: 0 bytes/workgroup (compile time only)
; SGPRBlocks: 2
; VGPRBlocks: 2
; NumSGPRsForWavesPerEU: 24
; NumVGPRsForWavesPerEU: 24
; AccumOffset: 24
; Occupancy: 8
; WaveLimiterHint : 1
; COMPUTE_PGM_RSRC2:SCRATCH_EN: 0
; COMPUTE_PGM_RSRC2:USER_SGPR: 2
; COMPUTE_PGM_RSRC2:TRAP_HANDLER: 0
; COMPUTE_PGM_RSRC2:TGID_X_EN: 1
; COMPUTE_PGM_RSRC2:TGID_Y_EN: 0
; COMPUTE_PGM_RSRC2:TGID_Z_EN: 0
; COMPUTE_PGM_RSRC2:TIDIG_COMP_CNT: 0
; COMPUTE_PGM_RSRC3_GFX90A:ACCUM_OFFSET: 5
; COMPUTE_PGM_RSRC3_GFX90A:TG_SPLIT: 0
	.section	.text._ZN9rocsparseL19gebsrmvn_2xn_kernelILj128ELj1ELj16EdEEvi20rocsparse_direction_NS_24const_host_device_scalarIT2_EEPKiS6_PKS3_S8_S4_PS3_21rocsparse_index_base_b,"axG",@progbits,_ZN9rocsparseL19gebsrmvn_2xn_kernelILj128ELj1ELj16EdEEvi20rocsparse_direction_NS_24const_host_device_scalarIT2_EEPKiS6_PKS3_S8_S4_PS3_21rocsparse_index_base_b,comdat
	.globl	_ZN9rocsparseL19gebsrmvn_2xn_kernelILj128ELj1ELj16EdEEvi20rocsparse_direction_NS_24const_host_device_scalarIT2_EEPKiS6_PKS3_S8_S4_PS3_21rocsparse_index_base_b ; -- Begin function _ZN9rocsparseL19gebsrmvn_2xn_kernelILj128ELj1ELj16EdEEvi20rocsparse_direction_NS_24const_host_device_scalarIT2_EEPKiS6_PKS3_S8_S4_PS3_21rocsparse_index_base_b
	.p2align	8
	.type	_ZN9rocsparseL19gebsrmvn_2xn_kernelILj128ELj1ELj16EdEEvi20rocsparse_direction_NS_24const_host_device_scalarIT2_EEPKiS6_PKS3_S8_S4_PS3_21rocsparse_index_base_b,@function
_ZN9rocsparseL19gebsrmvn_2xn_kernelILj128ELj1ELj16EdEEvi20rocsparse_direction_NS_24const_host_device_scalarIT2_EEPKiS6_PKS3_S8_S4_PS3_21rocsparse_index_base_b: ; @_ZN9rocsparseL19gebsrmvn_2xn_kernelILj128ELj1ELj16EdEEvi20rocsparse_direction_NS_24const_host_device_scalarIT2_EEPKiS6_PKS3_S8_S4_PS3_21rocsparse_index_base_b
; %bb.0:
	s_load_dwordx2 s[12:13], s[0:1], 0x40
	s_load_dwordx2 s[8:9], s[0:1], 0x8
	;; [unrolled: 1-line block ×3, first 2 shown]
	s_waitcnt lgkmcnt(0)
	s_bitcmp1_b32 s13, 0
	s_cselect_b64 s[10:11], -1, 0
	s_xor_b64 s[6:7], s[10:11], -1
	s_and_b64 vcc, exec, s[10:11]
	v_mov_b64_e32 v[2:3], s[8:9]
	s_cbranch_vccnz .LBB78_2
; %bb.1:
	v_mov_b64_e32 v[2:3], s[8:9]
	flat_load_dwordx2 v[2:3], v[2:3]
.LBB78_2:
	s_andn2_b64 vcc, exec, s[6:7]
	v_mov_b64_e32 v[4:5], s[4:5]
	s_cbranch_vccnz .LBB78_4
; %bb.3:
	v_mov_b64_e32 v[4:5], s[4:5]
	flat_load_dwordx2 v[4:5], v[4:5]
.LBB78_4:
	s_waitcnt vmcnt(0) lgkmcnt(0)
	v_cmp_neq_f64_e32 vcc, 0, v[2:3]
	v_cmp_neq_f64_e64 s[4:5], 1.0, v[4:5]
	s_or_b64 s[4:5], vcc, s[4:5]
	s_and_saveexec_b64 s[6:7], s[4:5]
	s_cbranch_execz .LBB78_23
; %bb.5:
	s_load_dwordx2 s[14:15], s[0:1], 0x0
	v_lshrrev_b32_e32 v1, 4, v0
	v_lshl_or_b32 v6, s2, 3, v1
	s_waitcnt lgkmcnt(0)
	v_cmp_gt_i32_e32 vcc, s14, v6
	s_and_b64 exec, exec, vcc
	s_cbranch_execz .LBB78_23
; %bb.6:
	s_load_dwordx8 s[4:11], s[0:1], 0x10
	v_ashrrev_i32_e32 v7, 31, v6
	s_cmp_lg_u32 s15, 0
	s_waitcnt lgkmcnt(0)
	v_lshl_add_u64 v[8:9], v[6:7], 2, s[4:5]
	global_load_dwordx2 v[8:9], v[8:9], off
	v_and_b32_e32 v7, 15, v0
	s_waitcnt vmcnt(0)
	v_subrev_u32_e32 v0, s12, v8
	v_subrev_u32_e32 v16, s12, v9
	v_add_u32_e32 v10, v0, v7
	v_cmp_lt_i32_e64 s[2:3], v10, v16
	s_cbranch_scc0 .LBB78_12
; %bb.7:
	v_mov_b64_e32 v[0:1], 0
	s_mov_b64 s[4:5], 0
	v_mov_b64_e32 v[8:9], v[0:1]
	s_and_saveexec_b64 s[14:15], s[2:3]
	s_cbranch_execz .LBB78_11
; %bb.8:
	v_mov_b64_e32 v[0:1], 0
	v_lshlrev_b32_e32 v12, 1, v10
	s_mov_b64 s[16:17], 0
	v_mov_b32_e32 v13, 0
	v_mov_b32_e32 v14, v10
	v_mov_b64_e32 v[8:9], v[0:1]
.LBB78_9:                               ; =>This Inner Loop Header: Depth=1
	v_ashrrev_i32_e32 v15, 31, v14
	v_lshl_add_u64 v[18:19], v[14:15], 2, s[6:7]
	global_load_dword v11, v[18:19], off
	v_mov_b32_e32 v23, v13
	v_lshl_add_u64 v[18:19], v[12:13], 3, s[8:9]
	global_load_dwordx4 v[18:21], v[18:19], off
	v_add_u32_e32 v14, 16, v14
	v_cmp_ge_i32_e32 vcc, v14, v16
	v_add_u32_e32 v12, 32, v12
	s_or_b64 s[16:17], vcc, s[16:17]
	s_waitcnt vmcnt(1)
	v_subrev_u32_e32 v22, s12, v11
	v_lshl_add_u64 v[22:23], v[22:23], 3, s[10:11]
	global_load_dwordx2 v[22:23], v[22:23], off
	s_waitcnt vmcnt(0)
	v_fmac_f64_e32 v[0:1], v[18:19], v[22:23]
	v_fmac_f64_e32 v[8:9], v[20:21], v[22:23]
	s_andn2_b64 exec, exec, s[16:17]
	s_cbranch_execnz .LBB78_9
; %bb.10:
	s_or_b64 exec, exec, s[16:17]
.LBB78_11:
	s_or_b64 exec, exec, s[14:15]
	s_andn2_b64 vcc, exec, s[4:5]
	s_cbranch_vccz .LBB78_13
	s_branch .LBB78_18
.LBB78_12:
                                        ; implicit-def: $vgpr0_vgpr1
                                        ; implicit-def: $vgpr8_vgpr9
.LBB78_13:
	v_mov_b64_e32 v[0:1], 0
	v_mov_b64_e32 v[8:9], v[0:1]
	s_and_saveexec_b64 s[4:5], s[2:3]
	s_cbranch_execz .LBB78_17
; %bb.14:
	v_mov_b64_e32 v[0:1], 0
	v_lshlrev_b32_e32 v12, 1, v10
	s_mov_b64 s[2:3], 0
	v_mov_b32_e32 v13, 0
	v_mov_b64_e32 v[8:9], v[0:1]
.LBB78_15:                              ; =>This Inner Loop Header: Depth=1
	v_ashrrev_i32_e32 v11, 31, v10
	v_lshl_add_u64 v[14:15], v[10:11], 2, s[6:7]
	global_load_dword v11, v[14:15], off
	v_lshl_add_u64 v[14:15], v[12:13], 3, s[8:9]
	v_mov_b32_e32 v23, v13
	global_load_dwordx4 v[18:21], v[14:15], off
	v_add_u32_e32 v10, 16, v10
	v_cmp_ge_i32_e32 vcc, v10, v16
	v_add_u32_e32 v12, 32, v12
	s_or_b64 s[2:3], vcc, s[2:3]
	s_waitcnt vmcnt(1)
	v_subrev_u32_e32 v22, s12, v11
	v_lshl_add_u64 v[14:15], v[22:23], 3, s[10:11]
	global_load_dwordx2 v[14:15], v[14:15], off
	s_waitcnt vmcnt(0)
	v_fmac_f64_e32 v[0:1], v[18:19], v[14:15]
	v_fmac_f64_e32 v[8:9], v[20:21], v[14:15]
	s_andn2_b64 exec, exec, s[2:3]
	s_cbranch_execnz .LBB78_15
; %bb.16:
	s_or_b64 exec, exec, s[2:3]
.LBB78_17:
	s_or_b64 exec, exec, s[4:5]
.LBB78_18:
	v_mov_b32_dpp v10, v0 row_shr:1 row_mask:0xf bank_mask:0xf
	v_mov_b32_dpp v11, v1 row_shr:1 row_mask:0xf bank_mask:0xf
	;; [unrolled: 1-line block ×4, first 2 shown]
	v_add_f64 v[0:1], v[0:1], v[10:11]
	v_add_f64 v[8:9], v[8:9], v[12:13]
	v_cmp_eq_u32_e32 vcc, 15, v7
	v_mov_b32_dpp v10, v0 row_shr:2 row_mask:0xf bank_mask:0xf
	v_mov_b32_dpp v11, v1 row_shr:2 row_mask:0xf bank_mask:0xf
	;; [unrolled: 1-line block ×4, first 2 shown]
	v_add_f64 v[0:1], v[0:1], v[10:11]
	v_add_f64 v[8:9], v[8:9], v[12:13]
	s_nop 0
	v_mov_b32_dpp v10, v0 row_shr:4 row_mask:0xf bank_mask:0xe
	v_mov_b32_dpp v11, v1 row_shr:4 row_mask:0xf bank_mask:0xe
	;; [unrolled: 1-line block ×4, first 2 shown]
	v_add_f64 v[0:1], v[0:1], v[10:11]
	v_add_f64 v[12:13], v[8:9], v[12:13]
	s_nop 0
	v_mov_b32_dpp v10, v0 row_shr:8 row_mask:0xf bank_mask:0xc
	v_mov_b32_dpp v11, v1 row_shr:8 row_mask:0xf bank_mask:0xc
	v_mov_b32_dpp v14, v12 row_shr:8 row_mask:0xf bank_mask:0xc
	v_mov_b32_dpp v15, v13 row_shr:8 row_mask:0xf bank_mask:0xc
	s_and_b64 exec, exec, vcc
	s_cbranch_execz .LBB78_23
; %bb.19:
	s_load_dwordx2 s[0:1], s[0:1], 0x38
	v_add_f64 v[8:9], v[0:1], v[10:11]
	v_add_f64 v[0:1], v[12:13], v[14:15]
	v_cmp_eq_f64_e32 vcc, 0, v[4:5]
	s_and_saveexec_b64 s[2:3], vcc
	s_xor_b64 s[2:3], exec, s[2:3]
	s_cbranch_execz .LBB78_21
; %bb.20:
	v_lshlrev_b32_e32 v6, 1, v6
	v_ashrrev_i32_e32 v7, 31, v6
	v_mul_f64 v[4:5], v[2:3], v[8:9]
	s_waitcnt lgkmcnt(0)
	v_lshl_add_u64 v[8:9], v[6:7], 3, s[0:1]
	v_mul_f64 v[6:7], v[2:3], v[0:1]
	global_store_dwordx4 v[8:9], v[4:7], off
                                        ; implicit-def: $vgpr6
                                        ; implicit-def: $vgpr2_vgpr3
                                        ; implicit-def: $vgpr8_vgpr9
                                        ; implicit-def: $vgpr4_vgpr5
                                        ; implicit-def: $vgpr0_vgpr1
.LBB78_21:
	s_andn2_saveexec_b64 s[2:3], s[2:3]
	s_cbranch_execz .LBB78_23
; %bb.22:
	v_lshlrev_b32_e32 v6, 1, v6
	v_ashrrev_i32_e32 v7, 31, v6
	s_waitcnt lgkmcnt(0)
	v_lshl_add_u64 v[14:15], v[6:7], 3, s[0:1]
	global_load_dwordx4 v[10:13], v[14:15], off
	v_mul_f64 v[6:7], v[2:3], v[8:9]
	v_mul_f64 v[8:9], v[2:3], v[0:1]
	s_waitcnt vmcnt(0)
	v_fmac_f64_e32 v[6:7], v[4:5], v[10:11]
	v_fmac_f64_e32 v[8:9], v[4:5], v[12:13]
	global_store_dwordx4 v[14:15], v[6:9], off
.LBB78_23:
	s_endpgm
	.section	.rodata,"a",@progbits
	.p2align	6, 0x0
	.amdhsa_kernel _ZN9rocsparseL19gebsrmvn_2xn_kernelILj128ELj1ELj16EdEEvi20rocsparse_direction_NS_24const_host_device_scalarIT2_EEPKiS6_PKS3_S8_S4_PS3_21rocsparse_index_base_b
		.amdhsa_group_segment_fixed_size 0
		.amdhsa_private_segment_fixed_size 0
		.amdhsa_kernarg_size 72
		.amdhsa_user_sgpr_count 2
		.amdhsa_user_sgpr_dispatch_ptr 0
		.amdhsa_user_sgpr_queue_ptr 0
		.amdhsa_user_sgpr_kernarg_segment_ptr 1
		.amdhsa_user_sgpr_dispatch_id 0
		.amdhsa_user_sgpr_kernarg_preload_length 0
		.amdhsa_user_sgpr_kernarg_preload_offset 0
		.amdhsa_user_sgpr_private_segment_size 0
		.amdhsa_uses_dynamic_stack 0
		.amdhsa_enable_private_segment 0
		.amdhsa_system_sgpr_workgroup_id_x 1
		.amdhsa_system_sgpr_workgroup_id_y 0
		.amdhsa_system_sgpr_workgroup_id_z 0
		.amdhsa_system_sgpr_workgroup_info 0
		.amdhsa_system_vgpr_workitem_id 0
		.amdhsa_next_free_vgpr 24
		.amdhsa_next_free_sgpr 18
		.amdhsa_accum_offset 24
		.amdhsa_reserve_vcc 1
		.amdhsa_float_round_mode_32 0
		.amdhsa_float_round_mode_16_64 0
		.amdhsa_float_denorm_mode_32 3
		.amdhsa_float_denorm_mode_16_64 3
		.amdhsa_dx10_clamp 1
		.amdhsa_ieee_mode 1
		.amdhsa_fp16_overflow 0
		.amdhsa_tg_split 0
		.amdhsa_exception_fp_ieee_invalid_op 0
		.amdhsa_exception_fp_denorm_src 0
		.amdhsa_exception_fp_ieee_div_zero 0
		.amdhsa_exception_fp_ieee_overflow 0
		.amdhsa_exception_fp_ieee_underflow 0
		.amdhsa_exception_fp_ieee_inexact 0
		.amdhsa_exception_int_div_zero 0
	.end_amdhsa_kernel
	.section	.text._ZN9rocsparseL19gebsrmvn_2xn_kernelILj128ELj1ELj16EdEEvi20rocsparse_direction_NS_24const_host_device_scalarIT2_EEPKiS6_PKS3_S8_S4_PS3_21rocsparse_index_base_b,"axG",@progbits,_ZN9rocsparseL19gebsrmvn_2xn_kernelILj128ELj1ELj16EdEEvi20rocsparse_direction_NS_24const_host_device_scalarIT2_EEPKiS6_PKS3_S8_S4_PS3_21rocsparse_index_base_b,comdat
.Lfunc_end78:
	.size	_ZN9rocsparseL19gebsrmvn_2xn_kernelILj128ELj1ELj16EdEEvi20rocsparse_direction_NS_24const_host_device_scalarIT2_EEPKiS6_PKS3_S8_S4_PS3_21rocsparse_index_base_b, .Lfunc_end78-_ZN9rocsparseL19gebsrmvn_2xn_kernelILj128ELj1ELj16EdEEvi20rocsparse_direction_NS_24const_host_device_scalarIT2_EEPKiS6_PKS3_S8_S4_PS3_21rocsparse_index_base_b
                                        ; -- End function
	.section	.AMDGPU.csdata,"",@progbits
; Kernel info:
; codeLenInByte = 884
; NumSgprs: 24
; NumVgprs: 24
; NumAgprs: 0
; TotalNumVgprs: 24
; ScratchSize: 0
; MemoryBound: 0
; FloatMode: 240
; IeeeMode: 1
; LDSByteSize: 0 bytes/workgroup (compile time only)
; SGPRBlocks: 2
; VGPRBlocks: 2
; NumSGPRsForWavesPerEU: 24
; NumVGPRsForWavesPerEU: 24
; AccumOffset: 24
; Occupancy: 8
; WaveLimiterHint : 1
; COMPUTE_PGM_RSRC2:SCRATCH_EN: 0
; COMPUTE_PGM_RSRC2:USER_SGPR: 2
; COMPUTE_PGM_RSRC2:TRAP_HANDLER: 0
; COMPUTE_PGM_RSRC2:TGID_X_EN: 1
; COMPUTE_PGM_RSRC2:TGID_Y_EN: 0
; COMPUTE_PGM_RSRC2:TGID_Z_EN: 0
; COMPUTE_PGM_RSRC2:TIDIG_COMP_CNT: 0
; COMPUTE_PGM_RSRC3_GFX90A:ACCUM_OFFSET: 5
; COMPUTE_PGM_RSRC3_GFX90A:TG_SPLIT: 0
	.section	.text._ZN9rocsparseL19gebsrmvn_2xn_kernelILj128ELj1ELj32EdEEvi20rocsparse_direction_NS_24const_host_device_scalarIT2_EEPKiS6_PKS3_S8_S4_PS3_21rocsparse_index_base_b,"axG",@progbits,_ZN9rocsparseL19gebsrmvn_2xn_kernelILj128ELj1ELj32EdEEvi20rocsparse_direction_NS_24const_host_device_scalarIT2_EEPKiS6_PKS3_S8_S4_PS3_21rocsparse_index_base_b,comdat
	.globl	_ZN9rocsparseL19gebsrmvn_2xn_kernelILj128ELj1ELj32EdEEvi20rocsparse_direction_NS_24const_host_device_scalarIT2_EEPKiS6_PKS3_S8_S4_PS3_21rocsparse_index_base_b ; -- Begin function _ZN9rocsparseL19gebsrmvn_2xn_kernelILj128ELj1ELj32EdEEvi20rocsparse_direction_NS_24const_host_device_scalarIT2_EEPKiS6_PKS3_S8_S4_PS3_21rocsparse_index_base_b
	.p2align	8
	.type	_ZN9rocsparseL19gebsrmvn_2xn_kernelILj128ELj1ELj32EdEEvi20rocsparse_direction_NS_24const_host_device_scalarIT2_EEPKiS6_PKS3_S8_S4_PS3_21rocsparse_index_base_b,@function
_ZN9rocsparseL19gebsrmvn_2xn_kernelILj128ELj1ELj32EdEEvi20rocsparse_direction_NS_24const_host_device_scalarIT2_EEPKiS6_PKS3_S8_S4_PS3_21rocsparse_index_base_b: ; @_ZN9rocsparseL19gebsrmvn_2xn_kernelILj128ELj1ELj32EdEEvi20rocsparse_direction_NS_24const_host_device_scalarIT2_EEPKiS6_PKS3_S8_S4_PS3_21rocsparse_index_base_b
; %bb.0:
	s_load_dwordx2 s[12:13], s[0:1], 0x40
	s_load_dwordx2 s[8:9], s[0:1], 0x8
	;; [unrolled: 1-line block ×3, first 2 shown]
	s_waitcnt lgkmcnt(0)
	s_bitcmp1_b32 s13, 0
	s_cselect_b64 s[10:11], -1, 0
	s_xor_b64 s[6:7], s[10:11], -1
	s_and_b64 vcc, exec, s[10:11]
	v_mov_b64_e32 v[2:3], s[8:9]
	s_cbranch_vccnz .LBB79_2
; %bb.1:
	v_mov_b64_e32 v[2:3], s[8:9]
	flat_load_dwordx2 v[2:3], v[2:3]
.LBB79_2:
	s_andn2_b64 vcc, exec, s[6:7]
	v_mov_b64_e32 v[4:5], s[4:5]
	s_cbranch_vccnz .LBB79_4
; %bb.3:
	v_mov_b64_e32 v[4:5], s[4:5]
	flat_load_dwordx2 v[4:5], v[4:5]
.LBB79_4:
	s_waitcnt vmcnt(0) lgkmcnt(0)
	v_cmp_neq_f64_e32 vcc, 0, v[2:3]
	v_cmp_neq_f64_e64 s[4:5], 1.0, v[4:5]
	s_or_b64 s[4:5], vcc, s[4:5]
	s_and_saveexec_b64 s[6:7], s[4:5]
	s_cbranch_execz .LBB79_23
; %bb.5:
	s_load_dwordx2 s[14:15], s[0:1], 0x0
	v_lshrrev_b32_e32 v1, 5, v0
	v_lshl_or_b32 v6, s2, 2, v1
	s_waitcnt lgkmcnt(0)
	v_cmp_gt_i32_e32 vcc, s14, v6
	s_and_b64 exec, exec, vcc
	s_cbranch_execz .LBB79_23
; %bb.6:
	s_load_dwordx8 s[4:11], s[0:1], 0x10
	v_ashrrev_i32_e32 v7, 31, v6
	s_cmp_lg_u32 s15, 0
	s_waitcnt lgkmcnt(0)
	v_lshl_add_u64 v[8:9], v[6:7], 2, s[4:5]
	global_load_dwordx2 v[8:9], v[8:9], off
	v_and_b32_e32 v7, 31, v0
	s_waitcnt vmcnt(0)
	v_subrev_u32_e32 v0, s12, v8
	v_subrev_u32_e32 v16, s12, v9
	v_add_u32_e32 v10, v0, v7
	v_cmp_lt_i32_e64 s[2:3], v10, v16
	s_cbranch_scc0 .LBB79_12
; %bb.7:
	v_mov_b64_e32 v[8:9], 0
	s_mov_b64 s[4:5], 0
	v_mov_b64_e32 v[0:1], v[8:9]
	s_and_saveexec_b64 s[14:15], s[2:3]
	s_cbranch_execz .LBB79_11
; %bb.8:
	v_mov_b64_e32 v[8:9], 0
	v_lshlrev_b32_e32 v12, 1, v10
	s_mov_b64 s[16:17], 0
	v_mov_b32_e32 v13, 0
	v_mov_b32_e32 v14, v10
	v_mov_b64_e32 v[0:1], v[8:9]
.LBB79_9:                               ; =>This Inner Loop Header: Depth=1
	v_ashrrev_i32_e32 v15, 31, v14
	v_lshl_add_u64 v[18:19], v[14:15], 2, s[6:7]
	global_load_dword v11, v[18:19], off
	v_mov_b32_e32 v23, v13
	v_lshl_add_u64 v[18:19], v[12:13], 3, s[8:9]
	global_load_dwordx4 v[18:21], v[18:19], off
	v_add_u32_e32 v14, 32, v14
	v_cmp_ge_i32_e32 vcc, v14, v16
	v_add_u32_e32 v12, 64, v12
	s_or_b64 s[16:17], vcc, s[16:17]
	s_waitcnt vmcnt(1)
	v_subrev_u32_e32 v22, s12, v11
	v_lshl_add_u64 v[22:23], v[22:23], 3, s[10:11]
	global_load_dwordx2 v[22:23], v[22:23], off
	s_waitcnt vmcnt(0)
	v_fmac_f64_e32 v[8:9], v[18:19], v[22:23]
	v_fmac_f64_e32 v[0:1], v[20:21], v[22:23]
	s_andn2_b64 exec, exec, s[16:17]
	s_cbranch_execnz .LBB79_9
; %bb.10:
	s_or_b64 exec, exec, s[16:17]
.LBB79_11:
	s_or_b64 exec, exec, s[14:15]
	s_andn2_b64 vcc, exec, s[4:5]
	s_cbranch_vccz .LBB79_13
	s_branch .LBB79_18
.LBB79_12:
                                        ; implicit-def: $vgpr8_vgpr9
                                        ; implicit-def: $vgpr0_vgpr1
.LBB79_13:
	v_mov_b64_e32 v[8:9], 0
	v_mov_b64_e32 v[0:1], v[8:9]
	s_and_saveexec_b64 s[4:5], s[2:3]
	s_cbranch_execz .LBB79_17
; %bb.14:
	v_mov_b64_e32 v[8:9], 0
	v_lshlrev_b32_e32 v12, 1, v10
	s_mov_b64 s[2:3], 0
	v_mov_b32_e32 v13, 0
	v_mov_b64_e32 v[0:1], v[8:9]
.LBB79_15:                              ; =>This Inner Loop Header: Depth=1
	v_ashrrev_i32_e32 v11, 31, v10
	v_lshl_add_u64 v[14:15], v[10:11], 2, s[6:7]
	global_load_dword v11, v[14:15], off
	v_lshl_add_u64 v[14:15], v[12:13], 3, s[8:9]
	v_mov_b32_e32 v23, v13
	global_load_dwordx4 v[18:21], v[14:15], off
	v_add_u32_e32 v10, 32, v10
	v_cmp_ge_i32_e32 vcc, v10, v16
	v_add_u32_e32 v12, 64, v12
	s_or_b64 s[2:3], vcc, s[2:3]
	s_waitcnt vmcnt(1)
	v_subrev_u32_e32 v22, s12, v11
	v_lshl_add_u64 v[14:15], v[22:23], 3, s[10:11]
	global_load_dwordx2 v[14:15], v[14:15], off
	s_waitcnt vmcnt(0)
	v_fmac_f64_e32 v[8:9], v[18:19], v[14:15]
	v_fmac_f64_e32 v[0:1], v[20:21], v[14:15]
	s_andn2_b64 exec, exec, s[2:3]
	s_cbranch_execnz .LBB79_15
; %bb.16:
	s_or_b64 exec, exec, s[2:3]
.LBB79_17:
	s_or_b64 exec, exec, s[4:5]
.LBB79_18:
	v_mov_b32_dpp v10, v8 row_shr:1 row_mask:0xf bank_mask:0xf
	v_mov_b32_dpp v11, v9 row_shr:1 row_mask:0xf bank_mask:0xf
	;; [unrolled: 1-line block ×4, first 2 shown]
	v_add_f64 v[8:9], v[8:9], v[10:11]
	v_add_f64 v[0:1], v[0:1], v[12:13]
	v_cmp_eq_u32_e32 vcc, 31, v7
	v_mov_b32_dpp v10, v8 row_shr:2 row_mask:0xf bank_mask:0xf
	v_mov_b32_dpp v11, v9 row_shr:2 row_mask:0xf bank_mask:0xf
	v_mov_b32_dpp v12, v0 row_shr:2 row_mask:0xf bank_mask:0xf
	v_mov_b32_dpp v13, v1 row_shr:2 row_mask:0xf bank_mask:0xf
	v_add_f64 v[8:9], v[8:9], v[10:11]
	v_add_f64 v[0:1], v[0:1], v[12:13]
	s_nop 0
	v_mov_b32_dpp v10, v8 row_shr:4 row_mask:0xf bank_mask:0xe
	v_mov_b32_dpp v11, v9 row_shr:4 row_mask:0xf bank_mask:0xe
	v_mov_b32_dpp v12, v0 row_shr:4 row_mask:0xf bank_mask:0xe
	v_mov_b32_dpp v13, v1 row_shr:4 row_mask:0xf bank_mask:0xe
	v_add_f64 v[8:9], v[8:9], v[10:11]
	v_add_f64 v[0:1], v[0:1], v[12:13]
	s_nop 0
	;; [unrolled: 7-line block ×3, first 2 shown]
	v_mov_b32_dpp v10, v8 row_bcast:15 row_mask:0xa bank_mask:0xf
	v_mov_b32_dpp v11, v9 row_bcast:15 row_mask:0xa bank_mask:0xf
	;; [unrolled: 1-line block ×4, first 2 shown]
	s_and_b64 exec, exec, vcc
	s_cbranch_execz .LBB79_23
; %bb.19:
	s_load_dwordx2 s[0:1], s[0:1], 0x38
	v_add_f64 v[8:9], v[8:9], v[10:11]
	v_add_f64 v[0:1], v[0:1], v[12:13]
	v_cmp_eq_f64_e32 vcc, 0, v[4:5]
	s_and_saveexec_b64 s[2:3], vcc
	s_xor_b64 s[2:3], exec, s[2:3]
	s_cbranch_execz .LBB79_21
; %bb.20:
	v_lshlrev_b32_e32 v6, 1, v6
	v_ashrrev_i32_e32 v7, 31, v6
	v_mul_f64 v[4:5], v[2:3], v[8:9]
	s_waitcnt lgkmcnt(0)
	v_lshl_add_u64 v[8:9], v[6:7], 3, s[0:1]
	v_mul_f64 v[6:7], v[2:3], v[0:1]
	global_store_dwordx4 v[8:9], v[4:7], off
                                        ; implicit-def: $vgpr6
                                        ; implicit-def: $vgpr2_vgpr3
                                        ; implicit-def: $vgpr8_vgpr9
                                        ; implicit-def: $vgpr4_vgpr5
                                        ; implicit-def: $vgpr0_vgpr1
.LBB79_21:
	s_andn2_saveexec_b64 s[2:3], s[2:3]
	s_cbranch_execz .LBB79_23
; %bb.22:
	v_lshlrev_b32_e32 v6, 1, v6
	v_ashrrev_i32_e32 v7, 31, v6
	s_waitcnt lgkmcnt(0)
	v_lshl_add_u64 v[14:15], v[6:7], 3, s[0:1]
	global_load_dwordx4 v[10:13], v[14:15], off
	v_mul_f64 v[6:7], v[2:3], v[8:9]
	v_mul_f64 v[8:9], v[2:3], v[0:1]
	s_waitcnt vmcnt(0)
	v_fmac_f64_e32 v[6:7], v[4:5], v[10:11]
	v_fmac_f64_e32 v[8:9], v[4:5], v[12:13]
	global_store_dwordx4 v[14:15], v[6:9], off
.LBB79_23:
	s_endpgm
	.section	.rodata,"a",@progbits
	.p2align	6, 0x0
	.amdhsa_kernel _ZN9rocsparseL19gebsrmvn_2xn_kernelILj128ELj1ELj32EdEEvi20rocsparse_direction_NS_24const_host_device_scalarIT2_EEPKiS6_PKS3_S8_S4_PS3_21rocsparse_index_base_b
		.amdhsa_group_segment_fixed_size 0
		.amdhsa_private_segment_fixed_size 0
		.amdhsa_kernarg_size 72
		.amdhsa_user_sgpr_count 2
		.amdhsa_user_sgpr_dispatch_ptr 0
		.amdhsa_user_sgpr_queue_ptr 0
		.amdhsa_user_sgpr_kernarg_segment_ptr 1
		.amdhsa_user_sgpr_dispatch_id 0
		.amdhsa_user_sgpr_kernarg_preload_length 0
		.amdhsa_user_sgpr_kernarg_preload_offset 0
		.amdhsa_user_sgpr_private_segment_size 0
		.amdhsa_uses_dynamic_stack 0
		.amdhsa_enable_private_segment 0
		.amdhsa_system_sgpr_workgroup_id_x 1
		.amdhsa_system_sgpr_workgroup_id_y 0
		.amdhsa_system_sgpr_workgroup_id_z 0
		.amdhsa_system_sgpr_workgroup_info 0
		.amdhsa_system_vgpr_workitem_id 0
		.amdhsa_next_free_vgpr 24
		.amdhsa_next_free_sgpr 18
		.amdhsa_accum_offset 24
		.amdhsa_reserve_vcc 1
		.amdhsa_float_round_mode_32 0
		.amdhsa_float_round_mode_16_64 0
		.amdhsa_float_denorm_mode_32 3
		.amdhsa_float_denorm_mode_16_64 3
		.amdhsa_dx10_clamp 1
		.amdhsa_ieee_mode 1
		.amdhsa_fp16_overflow 0
		.amdhsa_tg_split 0
		.amdhsa_exception_fp_ieee_invalid_op 0
		.amdhsa_exception_fp_denorm_src 0
		.amdhsa_exception_fp_ieee_div_zero 0
		.amdhsa_exception_fp_ieee_overflow 0
		.amdhsa_exception_fp_ieee_underflow 0
		.amdhsa_exception_fp_ieee_inexact 0
		.amdhsa_exception_int_div_zero 0
	.end_amdhsa_kernel
	.section	.text._ZN9rocsparseL19gebsrmvn_2xn_kernelILj128ELj1ELj32EdEEvi20rocsparse_direction_NS_24const_host_device_scalarIT2_EEPKiS6_PKS3_S8_S4_PS3_21rocsparse_index_base_b,"axG",@progbits,_ZN9rocsparseL19gebsrmvn_2xn_kernelILj128ELj1ELj32EdEEvi20rocsparse_direction_NS_24const_host_device_scalarIT2_EEPKiS6_PKS3_S8_S4_PS3_21rocsparse_index_base_b,comdat
.Lfunc_end79:
	.size	_ZN9rocsparseL19gebsrmvn_2xn_kernelILj128ELj1ELj32EdEEvi20rocsparse_direction_NS_24const_host_device_scalarIT2_EEPKiS6_PKS3_S8_S4_PS3_21rocsparse_index_base_b, .Lfunc_end79-_ZN9rocsparseL19gebsrmvn_2xn_kernelILj128ELj1ELj32EdEEvi20rocsparse_direction_NS_24const_host_device_scalarIT2_EEPKiS6_PKS3_S8_S4_PS3_21rocsparse_index_base_b
                                        ; -- End function
	.section	.AMDGPU.csdata,"",@progbits
; Kernel info:
; codeLenInByte = 936
; NumSgprs: 24
; NumVgprs: 24
; NumAgprs: 0
; TotalNumVgprs: 24
; ScratchSize: 0
; MemoryBound: 0
; FloatMode: 240
; IeeeMode: 1
; LDSByteSize: 0 bytes/workgroup (compile time only)
; SGPRBlocks: 2
; VGPRBlocks: 2
; NumSGPRsForWavesPerEU: 24
; NumVGPRsForWavesPerEU: 24
; AccumOffset: 24
; Occupancy: 8
; WaveLimiterHint : 1
; COMPUTE_PGM_RSRC2:SCRATCH_EN: 0
; COMPUTE_PGM_RSRC2:USER_SGPR: 2
; COMPUTE_PGM_RSRC2:TRAP_HANDLER: 0
; COMPUTE_PGM_RSRC2:TGID_X_EN: 1
; COMPUTE_PGM_RSRC2:TGID_Y_EN: 0
; COMPUTE_PGM_RSRC2:TGID_Z_EN: 0
; COMPUTE_PGM_RSRC2:TIDIG_COMP_CNT: 0
; COMPUTE_PGM_RSRC3_GFX90A:ACCUM_OFFSET: 5
; COMPUTE_PGM_RSRC3_GFX90A:TG_SPLIT: 0
	.section	.text._ZN9rocsparseL19gebsrmvn_2xn_kernelILj128ELj1ELj64EdEEvi20rocsparse_direction_NS_24const_host_device_scalarIT2_EEPKiS6_PKS3_S8_S4_PS3_21rocsparse_index_base_b,"axG",@progbits,_ZN9rocsparseL19gebsrmvn_2xn_kernelILj128ELj1ELj64EdEEvi20rocsparse_direction_NS_24const_host_device_scalarIT2_EEPKiS6_PKS3_S8_S4_PS3_21rocsparse_index_base_b,comdat
	.globl	_ZN9rocsparseL19gebsrmvn_2xn_kernelILj128ELj1ELj64EdEEvi20rocsparse_direction_NS_24const_host_device_scalarIT2_EEPKiS6_PKS3_S8_S4_PS3_21rocsparse_index_base_b ; -- Begin function _ZN9rocsparseL19gebsrmvn_2xn_kernelILj128ELj1ELj64EdEEvi20rocsparse_direction_NS_24const_host_device_scalarIT2_EEPKiS6_PKS3_S8_S4_PS3_21rocsparse_index_base_b
	.p2align	8
	.type	_ZN9rocsparseL19gebsrmvn_2xn_kernelILj128ELj1ELj64EdEEvi20rocsparse_direction_NS_24const_host_device_scalarIT2_EEPKiS6_PKS3_S8_S4_PS3_21rocsparse_index_base_b,@function
_ZN9rocsparseL19gebsrmvn_2xn_kernelILj128ELj1ELj64EdEEvi20rocsparse_direction_NS_24const_host_device_scalarIT2_EEPKiS6_PKS3_S8_S4_PS3_21rocsparse_index_base_b: ; @_ZN9rocsparseL19gebsrmvn_2xn_kernelILj128ELj1ELj64EdEEvi20rocsparse_direction_NS_24const_host_device_scalarIT2_EEPKiS6_PKS3_S8_S4_PS3_21rocsparse_index_base_b
; %bb.0:
	s_load_dwordx2 s[12:13], s[0:1], 0x40
	s_load_dwordx2 s[8:9], s[0:1], 0x8
	;; [unrolled: 1-line block ×3, first 2 shown]
	s_waitcnt lgkmcnt(0)
	s_bitcmp1_b32 s13, 0
	s_cselect_b64 s[10:11], -1, 0
	s_xor_b64 s[6:7], s[10:11], -1
	s_and_b64 vcc, exec, s[10:11]
	v_mov_b64_e32 v[2:3], s[8:9]
	s_cbranch_vccnz .LBB80_2
; %bb.1:
	v_mov_b64_e32 v[2:3], s[8:9]
	flat_load_dwordx2 v[2:3], v[2:3]
.LBB80_2:
	s_andn2_b64 vcc, exec, s[6:7]
	v_mov_b64_e32 v[4:5], s[4:5]
	s_cbranch_vccnz .LBB80_4
; %bb.3:
	v_mov_b64_e32 v[4:5], s[4:5]
	flat_load_dwordx2 v[4:5], v[4:5]
.LBB80_4:
	s_waitcnt vmcnt(0) lgkmcnt(0)
	v_cmp_neq_f64_e32 vcc, 0, v[2:3]
	v_cmp_neq_f64_e64 s[4:5], 1.0, v[4:5]
	s_or_b64 s[4:5], vcc, s[4:5]
	s_and_saveexec_b64 s[6:7], s[4:5]
	s_cbranch_execz .LBB80_23
; %bb.5:
	s_load_dwordx2 s[14:15], s[0:1], 0x0
	v_lshrrev_b32_e32 v1, 6, v0
	v_lshl_or_b32 v6, s2, 1, v1
	s_waitcnt lgkmcnt(0)
	v_cmp_gt_i32_e32 vcc, s14, v6
	s_and_b64 exec, exec, vcc
	s_cbranch_execz .LBB80_23
; %bb.6:
	s_load_dwordx8 s[4:11], s[0:1], 0x10
	v_ashrrev_i32_e32 v7, 31, v6
	s_cmp_lg_u32 s15, 0
	s_waitcnt lgkmcnt(0)
	v_lshl_add_u64 v[8:9], v[6:7], 2, s[4:5]
	global_load_dwordx2 v[8:9], v[8:9], off
	v_and_b32_e32 v7, 63, v0
	s_waitcnt vmcnt(0)
	v_subrev_u32_e32 v0, s12, v8
	v_subrev_u32_e32 v16, s12, v9
	v_add_u32_e32 v10, v0, v7
	v_cmp_lt_i32_e64 s[2:3], v10, v16
	s_cbranch_scc0 .LBB80_12
; %bb.7:
	v_mov_b64_e32 v[8:9], 0
	s_mov_b64 s[4:5], 0
	v_mov_b64_e32 v[0:1], v[8:9]
	s_and_saveexec_b64 s[14:15], s[2:3]
	s_cbranch_execz .LBB80_11
; %bb.8:
	v_mov_b64_e32 v[8:9], 0
	v_lshlrev_b32_e32 v12, 1, v10
	s_mov_b64 s[16:17], 0
	v_mov_b32_e32 v13, 0
	v_mov_b32_e32 v14, v10
	v_mov_b64_e32 v[0:1], v[8:9]
.LBB80_9:                               ; =>This Inner Loop Header: Depth=1
	v_ashrrev_i32_e32 v15, 31, v14
	v_lshl_add_u64 v[18:19], v[14:15], 2, s[6:7]
	global_load_dword v11, v[18:19], off
	v_mov_b32_e32 v23, v13
	v_lshl_add_u64 v[18:19], v[12:13], 3, s[8:9]
	global_load_dwordx4 v[18:21], v[18:19], off
	v_add_u32_e32 v14, 64, v14
	v_cmp_ge_i32_e32 vcc, v14, v16
	v_add_u32_e32 v12, 0x80, v12
	s_or_b64 s[16:17], vcc, s[16:17]
	s_waitcnt vmcnt(1)
	v_subrev_u32_e32 v22, s12, v11
	v_lshl_add_u64 v[22:23], v[22:23], 3, s[10:11]
	global_load_dwordx2 v[22:23], v[22:23], off
	s_waitcnt vmcnt(0)
	v_fmac_f64_e32 v[8:9], v[18:19], v[22:23]
	v_fmac_f64_e32 v[0:1], v[20:21], v[22:23]
	s_andn2_b64 exec, exec, s[16:17]
	s_cbranch_execnz .LBB80_9
; %bb.10:
	s_or_b64 exec, exec, s[16:17]
.LBB80_11:
	s_or_b64 exec, exec, s[14:15]
	s_andn2_b64 vcc, exec, s[4:5]
	s_cbranch_vccz .LBB80_13
	s_branch .LBB80_18
.LBB80_12:
                                        ; implicit-def: $vgpr8_vgpr9
                                        ; implicit-def: $vgpr0_vgpr1
.LBB80_13:
	v_mov_b64_e32 v[8:9], 0
	v_mov_b64_e32 v[0:1], v[8:9]
	s_and_saveexec_b64 s[4:5], s[2:3]
	s_cbranch_execz .LBB80_17
; %bb.14:
	v_mov_b64_e32 v[8:9], 0
	v_lshlrev_b32_e32 v12, 1, v10
	s_mov_b64 s[2:3], 0
	v_mov_b32_e32 v13, 0
	v_mov_b64_e32 v[0:1], v[8:9]
.LBB80_15:                              ; =>This Inner Loop Header: Depth=1
	v_ashrrev_i32_e32 v11, 31, v10
	v_lshl_add_u64 v[14:15], v[10:11], 2, s[6:7]
	global_load_dword v11, v[14:15], off
	v_lshl_add_u64 v[14:15], v[12:13], 3, s[8:9]
	v_mov_b32_e32 v23, v13
	global_load_dwordx4 v[18:21], v[14:15], off
	v_add_u32_e32 v10, 64, v10
	v_cmp_ge_i32_e32 vcc, v10, v16
	v_add_u32_e32 v12, 0x80, v12
	s_or_b64 s[2:3], vcc, s[2:3]
	s_waitcnt vmcnt(1)
	v_subrev_u32_e32 v22, s12, v11
	v_lshl_add_u64 v[14:15], v[22:23], 3, s[10:11]
	global_load_dwordx2 v[14:15], v[14:15], off
	s_waitcnt vmcnt(0)
	v_fmac_f64_e32 v[8:9], v[18:19], v[14:15]
	v_fmac_f64_e32 v[0:1], v[20:21], v[14:15]
	s_andn2_b64 exec, exec, s[2:3]
	s_cbranch_execnz .LBB80_15
; %bb.16:
	s_or_b64 exec, exec, s[2:3]
.LBB80_17:
	s_or_b64 exec, exec, s[4:5]
.LBB80_18:
	v_mov_b32_dpp v10, v8 row_shr:1 row_mask:0xf bank_mask:0xf
	v_mov_b32_dpp v11, v9 row_shr:1 row_mask:0xf bank_mask:0xf
	;; [unrolled: 1-line block ×4, first 2 shown]
	v_add_f64 v[8:9], v[8:9], v[10:11]
	v_add_f64 v[0:1], v[0:1], v[12:13]
	v_cmp_eq_u32_e32 vcc, 63, v7
	v_mov_b32_dpp v10, v8 row_shr:2 row_mask:0xf bank_mask:0xf
	v_mov_b32_dpp v11, v9 row_shr:2 row_mask:0xf bank_mask:0xf
	v_mov_b32_dpp v12, v0 row_shr:2 row_mask:0xf bank_mask:0xf
	v_mov_b32_dpp v13, v1 row_shr:2 row_mask:0xf bank_mask:0xf
	v_add_f64 v[8:9], v[8:9], v[10:11]
	v_add_f64 v[0:1], v[0:1], v[12:13]
	s_nop 0
	v_mov_b32_dpp v10, v8 row_shr:4 row_mask:0xf bank_mask:0xe
	v_mov_b32_dpp v11, v9 row_shr:4 row_mask:0xf bank_mask:0xe
	v_mov_b32_dpp v12, v0 row_shr:4 row_mask:0xf bank_mask:0xe
	v_mov_b32_dpp v13, v1 row_shr:4 row_mask:0xf bank_mask:0xe
	v_add_f64 v[8:9], v[8:9], v[10:11]
	v_add_f64 v[0:1], v[0:1], v[12:13]
	s_nop 0
	;; [unrolled: 7-line block ×3, first 2 shown]
	v_mov_b32_dpp v10, v8 row_bcast:15 row_mask:0xa bank_mask:0xf
	v_mov_b32_dpp v11, v9 row_bcast:15 row_mask:0xa bank_mask:0xf
	;; [unrolled: 1-line block ×4, first 2 shown]
	v_add_f64 v[8:9], v[8:9], v[10:11]
	v_add_f64 v[0:1], v[0:1], v[12:13]
	s_nop 0
	v_mov_b32_dpp v10, v8 row_bcast:31 row_mask:0xc bank_mask:0xf
	v_mov_b32_dpp v11, v9 row_bcast:31 row_mask:0xc bank_mask:0xf
	;; [unrolled: 1-line block ×4, first 2 shown]
	s_and_b64 exec, exec, vcc
	s_cbranch_execz .LBB80_23
; %bb.19:
	s_load_dwordx2 s[0:1], s[0:1], 0x38
	v_add_f64 v[8:9], v[8:9], v[10:11]
	v_add_f64 v[0:1], v[0:1], v[12:13]
	v_cmp_eq_f64_e32 vcc, 0, v[4:5]
	s_and_saveexec_b64 s[2:3], vcc
	s_xor_b64 s[2:3], exec, s[2:3]
	s_cbranch_execz .LBB80_21
; %bb.20:
	v_lshlrev_b32_e32 v6, 1, v6
	v_ashrrev_i32_e32 v7, 31, v6
	v_mul_f64 v[4:5], v[2:3], v[8:9]
	s_waitcnt lgkmcnt(0)
	v_lshl_add_u64 v[8:9], v[6:7], 3, s[0:1]
	v_mul_f64 v[6:7], v[2:3], v[0:1]
	global_store_dwordx4 v[8:9], v[4:7], off
                                        ; implicit-def: $vgpr6
                                        ; implicit-def: $vgpr2_vgpr3
                                        ; implicit-def: $vgpr8_vgpr9
                                        ; implicit-def: $vgpr4_vgpr5
                                        ; implicit-def: $vgpr0_vgpr1
.LBB80_21:
	s_andn2_saveexec_b64 s[2:3], s[2:3]
	s_cbranch_execz .LBB80_23
; %bb.22:
	v_lshlrev_b32_e32 v6, 1, v6
	v_ashrrev_i32_e32 v7, 31, v6
	s_waitcnt lgkmcnt(0)
	v_lshl_add_u64 v[14:15], v[6:7], 3, s[0:1]
	global_load_dwordx4 v[10:13], v[14:15], off
	v_mul_f64 v[6:7], v[2:3], v[8:9]
	v_mul_f64 v[8:9], v[2:3], v[0:1]
	s_waitcnt vmcnt(0)
	v_fmac_f64_e32 v[6:7], v[4:5], v[10:11]
	v_fmac_f64_e32 v[8:9], v[4:5], v[12:13]
	global_store_dwordx4 v[14:15], v[6:9], off
.LBB80_23:
	s_endpgm
	.section	.rodata,"a",@progbits
	.p2align	6, 0x0
	.amdhsa_kernel _ZN9rocsparseL19gebsrmvn_2xn_kernelILj128ELj1ELj64EdEEvi20rocsparse_direction_NS_24const_host_device_scalarIT2_EEPKiS6_PKS3_S8_S4_PS3_21rocsparse_index_base_b
		.amdhsa_group_segment_fixed_size 0
		.amdhsa_private_segment_fixed_size 0
		.amdhsa_kernarg_size 72
		.amdhsa_user_sgpr_count 2
		.amdhsa_user_sgpr_dispatch_ptr 0
		.amdhsa_user_sgpr_queue_ptr 0
		.amdhsa_user_sgpr_kernarg_segment_ptr 1
		.amdhsa_user_sgpr_dispatch_id 0
		.amdhsa_user_sgpr_kernarg_preload_length 0
		.amdhsa_user_sgpr_kernarg_preload_offset 0
		.amdhsa_user_sgpr_private_segment_size 0
		.amdhsa_uses_dynamic_stack 0
		.amdhsa_enable_private_segment 0
		.amdhsa_system_sgpr_workgroup_id_x 1
		.amdhsa_system_sgpr_workgroup_id_y 0
		.amdhsa_system_sgpr_workgroup_id_z 0
		.amdhsa_system_sgpr_workgroup_info 0
		.amdhsa_system_vgpr_workitem_id 0
		.amdhsa_next_free_vgpr 24
		.amdhsa_next_free_sgpr 18
		.amdhsa_accum_offset 24
		.amdhsa_reserve_vcc 1
		.amdhsa_float_round_mode_32 0
		.amdhsa_float_round_mode_16_64 0
		.amdhsa_float_denorm_mode_32 3
		.amdhsa_float_denorm_mode_16_64 3
		.amdhsa_dx10_clamp 1
		.amdhsa_ieee_mode 1
		.amdhsa_fp16_overflow 0
		.amdhsa_tg_split 0
		.amdhsa_exception_fp_ieee_invalid_op 0
		.amdhsa_exception_fp_denorm_src 0
		.amdhsa_exception_fp_ieee_div_zero 0
		.amdhsa_exception_fp_ieee_overflow 0
		.amdhsa_exception_fp_ieee_underflow 0
		.amdhsa_exception_fp_ieee_inexact 0
		.amdhsa_exception_int_div_zero 0
	.end_amdhsa_kernel
	.section	.text._ZN9rocsparseL19gebsrmvn_2xn_kernelILj128ELj1ELj64EdEEvi20rocsparse_direction_NS_24const_host_device_scalarIT2_EEPKiS6_PKS3_S8_S4_PS3_21rocsparse_index_base_b,"axG",@progbits,_ZN9rocsparseL19gebsrmvn_2xn_kernelILj128ELj1ELj64EdEEvi20rocsparse_direction_NS_24const_host_device_scalarIT2_EEPKiS6_PKS3_S8_S4_PS3_21rocsparse_index_base_b,comdat
.Lfunc_end80:
	.size	_ZN9rocsparseL19gebsrmvn_2xn_kernelILj128ELj1ELj64EdEEvi20rocsparse_direction_NS_24const_host_device_scalarIT2_EEPKiS6_PKS3_S8_S4_PS3_21rocsparse_index_base_b, .Lfunc_end80-_ZN9rocsparseL19gebsrmvn_2xn_kernelILj128ELj1ELj64EdEEvi20rocsparse_direction_NS_24const_host_device_scalarIT2_EEPKiS6_PKS3_S8_S4_PS3_21rocsparse_index_base_b
                                        ; -- End function
	.section	.AMDGPU.csdata,"",@progbits
; Kernel info:
; codeLenInByte = 996
; NumSgprs: 24
; NumVgprs: 24
; NumAgprs: 0
; TotalNumVgprs: 24
; ScratchSize: 0
; MemoryBound: 0
; FloatMode: 240
; IeeeMode: 1
; LDSByteSize: 0 bytes/workgroup (compile time only)
; SGPRBlocks: 2
; VGPRBlocks: 2
; NumSGPRsForWavesPerEU: 24
; NumVGPRsForWavesPerEU: 24
; AccumOffset: 24
; Occupancy: 8
; WaveLimiterHint : 1
; COMPUTE_PGM_RSRC2:SCRATCH_EN: 0
; COMPUTE_PGM_RSRC2:USER_SGPR: 2
; COMPUTE_PGM_RSRC2:TRAP_HANDLER: 0
; COMPUTE_PGM_RSRC2:TGID_X_EN: 1
; COMPUTE_PGM_RSRC2:TGID_Y_EN: 0
; COMPUTE_PGM_RSRC2:TGID_Z_EN: 0
; COMPUTE_PGM_RSRC2:TIDIG_COMP_CNT: 0
; COMPUTE_PGM_RSRC3_GFX90A:ACCUM_OFFSET: 5
; COMPUTE_PGM_RSRC3_GFX90A:TG_SPLIT: 0
	.section	.text._ZN9rocsparseL19gebsrmvn_2xn_kernelILj128ELj3ELj4EdEEvi20rocsparse_direction_NS_24const_host_device_scalarIT2_EEPKiS6_PKS3_S8_S4_PS3_21rocsparse_index_base_b,"axG",@progbits,_ZN9rocsparseL19gebsrmvn_2xn_kernelILj128ELj3ELj4EdEEvi20rocsparse_direction_NS_24const_host_device_scalarIT2_EEPKiS6_PKS3_S8_S4_PS3_21rocsparse_index_base_b,comdat
	.globl	_ZN9rocsparseL19gebsrmvn_2xn_kernelILj128ELj3ELj4EdEEvi20rocsparse_direction_NS_24const_host_device_scalarIT2_EEPKiS6_PKS3_S8_S4_PS3_21rocsparse_index_base_b ; -- Begin function _ZN9rocsparseL19gebsrmvn_2xn_kernelILj128ELj3ELj4EdEEvi20rocsparse_direction_NS_24const_host_device_scalarIT2_EEPKiS6_PKS3_S8_S4_PS3_21rocsparse_index_base_b
	.p2align	8
	.type	_ZN9rocsparseL19gebsrmvn_2xn_kernelILj128ELj3ELj4EdEEvi20rocsparse_direction_NS_24const_host_device_scalarIT2_EEPKiS6_PKS3_S8_S4_PS3_21rocsparse_index_base_b,@function
_ZN9rocsparseL19gebsrmvn_2xn_kernelILj128ELj3ELj4EdEEvi20rocsparse_direction_NS_24const_host_device_scalarIT2_EEPKiS6_PKS3_S8_S4_PS3_21rocsparse_index_base_b: ; @_ZN9rocsparseL19gebsrmvn_2xn_kernelILj128ELj3ELj4EdEEvi20rocsparse_direction_NS_24const_host_device_scalarIT2_EEPKiS6_PKS3_S8_S4_PS3_21rocsparse_index_base_b
; %bb.0:
	s_load_dwordx2 s[12:13], s[0:1], 0x40
	s_load_dwordx2 s[8:9], s[0:1], 0x8
	;; [unrolled: 1-line block ×3, first 2 shown]
	s_waitcnt lgkmcnt(0)
	s_bitcmp1_b32 s13, 0
	s_cselect_b64 s[10:11], -1, 0
	s_xor_b64 s[6:7], s[10:11], -1
	s_and_b64 vcc, exec, s[10:11]
	v_mov_b64_e32 v[2:3], s[8:9]
	s_cbranch_vccnz .LBB81_2
; %bb.1:
	v_mov_b64_e32 v[2:3], s[8:9]
	flat_load_dwordx2 v[2:3], v[2:3]
.LBB81_2:
	s_andn2_b64 vcc, exec, s[6:7]
	v_mov_b64_e32 v[4:5], s[4:5]
	s_cbranch_vccnz .LBB81_4
; %bb.3:
	v_mov_b64_e32 v[4:5], s[4:5]
	flat_load_dwordx2 v[4:5], v[4:5]
.LBB81_4:
	s_waitcnt vmcnt(0) lgkmcnt(0)
	v_cmp_neq_f64_e32 vcc, 0, v[2:3]
	v_cmp_neq_f64_e64 s[4:5], 1.0, v[4:5]
	s_or_b64 s[4:5], vcc, s[4:5]
	s_and_saveexec_b64 s[6:7], s[4:5]
	s_cbranch_execz .LBB81_23
; %bb.5:
	s_load_dwordx2 s[14:15], s[0:1], 0x0
	v_lshrrev_b32_e32 v1, 2, v0
	v_lshl_or_b32 v6, s2, 5, v1
	s_waitcnt lgkmcnt(0)
	v_cmp_gt_i32_e32 vcc, s14, v6
	s_and_b64 exec, exec, vcc
	s_cbranch_execz .LBB81_23
; %bb.6:
	s_load_dwordx8 s[4:11], s[0:1], 0x10
	v_ashrrev_i32_e32 v7, 31, v6
	s_cmp_lg_u32 s15, 0
	s_waitcnt lgkmcnt(0)
	v_lshl_add_u64 v[8:9], v[6:7], 2, s[4:5]
	global_load_dwordx2 v[8:9], v[8:9], off
	v_and_b32_e32 v7, 3, v0
	s_waitcnt vmcnt(0)
	v_subrev_u32_e32 v0, s12, v8
	v_subrev_u32_e32 v16, s12, v9
	v_add_u32_e32 v8, v0, v7
	v_cmp_lt_i32_e64 s[2:3], v8, v16
	s_cbranch_scc0 .LBB81_12
; %bb.7:
	v_mov_b64_e32 v[0:1], 0
	s_mov_b64 s[4:5], 0
	v_mov_b64_e32 v[10:11], v[0:1]
	s_and_saveexec_b64 s[14:15], s[2:3]
	s_cbranch_execz .LBB81_11
; %bb.8:
	v_mov_b64_e32 v[0:1], 0
	v_mul_lo_u32 v12, v8, 6
	s_mov_b64 s[16:17], 0
	v_mov_b32_e32 v13, 0
	v_mov_b32_e32 v14, v8
	v_mov_b64_e32 v[10:11], v[0:1]
.LBB81_9:                               ; =>This Inner Loop Header: Depth=1
	v_ashrrev_i32_e32 v15, 31, v14
	v_lshl_add_u64 v[18:19], v[14:15], 2, s[6:7]
	global_load_dword v9, v[18:19], off
	v_add_u32_e32 v22, 2, v12
	v_mov_b32_e32 v23, v13
	v_lshl_add_u64 v[18:19], v[12:13], 3, s[8:9]
	v_mov_b32_e32 v31, v13
	v_add_u32_e32 v24, 4, v12
	v_mov_b32_e32 v25, v13
	v_lshl_add_u64 v[36:37], v[22:23], 3, s[8:9]
	global_load_dwordx4 v[18:21], v[18:19], off
	v_lshl_add_u64 v[38:39], v[24:25], 3, s[8:9]
	global_load_dwordx4 v[22:25], v[36:37], off
	global_load_dwordx4 v[26:29], v[38:39], off
	v_mov_b32_e32 v33, v13
	v_mov_b32_e32 v35, v13
	v_add_u32_e32 v14, 4, v14
	v_cmp_ge_i32_e32 vcc, v14, v16
	v_add_u32_e32 v12, 24, v12
	s_or_b64 s[16:17], vcc, s[16:17]
	s_waitcnt vmcnt(3)
	v_subrev_u32_e32 v9, s12, v9
	v_lshl_add_u32 v30, v9, 1, v9
	v_lshl_add_u64 v[36:37], v[30:31], 3, s[10:11]
	v_add_u32_e32 v32, 1, v30
	v_add_u32_e32 v34, 2, v30
	global_load_dwordx2 v[30:31], v[36:37], off
	v_lshl_add_u64 v[32:33], v[32:33], 3, s[10:11]
	v_lshl_add_u64 v[34:35], v[34:35], 3, s[10:11]
	global_load_dwordx2 v[36:37], v[32:33], off
	global_load_dwordx2 v[38:39], v[34:35], off
	s_waitcnt vmcnt(2)
	v_fmac_f64_e32 v[0:1], v[18:19], v[30:31]
	v_fmac_f64_e32 v[10:11], v[20:21], v[30:31]
	s_waitcnt vmcnt(1)
	v_fmac_f64_e32 v[0:1], v[22:23], v[36:37]
	v_fmac_f64_e32 v[10:11], v[24:25], v[36:37]
	;; [unrolled: 3-line block ×3, first 2 shown]
	s_andn2_b64 exec, exec, s[16:17]
	s_cbranch_execnz .LBB81_9
; %bb.10:
	s_or_b64 exec, exec, s[16:17]
.LBB81_11:
	s_or_b64 exec, exec, s[14:15]
	s_andn2_b64 vcc, exec, s[4:5]
	s_cbranch_vccz .LBB81_13
	s_branch .LBB81_18
.LBB81_12:
                                        ; implicit-def: $vgpr0_vgpr1
                                        ; implicit-def: $vgpr10_vgpr11
.LBB81_13:
	v_mov_b64_e32 v[0:1], 0
	v_mov_b64_e32 v[10:11], v[0:1]
	s_and_saveexec_b64 s[4:5], s[2:3]
	s_cbranch_execz .LBB81_17
; %bb.14:
	v_mad_u64_u32 v[12:13], s[2:3], v8, 6, 5
	v_mov_b64_e32 v[0:1], 0
	s_mov_b64 s[2:3], 0
	v_mov_b32_e32 v15, 0
	v_mov_b64_e32 v[10:11], v[0:1]
.LBB81_15:                              ; =>This Inner Loop Header: Depth=1
	v_ashrrev_i32_e32 v9, 31, v8
	v_lshl_add_u64 v[18:19], v[8:9], 2, s[6:7]
	global_load_dword v9, v[18:19], off
	v_add_u32_e32 v14, -5, v12
	v_add_u32_e32 v18, -2, v12
	v_mov_b32_e32 v19, v15
	v_mov_b32_e32 v13, v15
	v_lshl_add_u64 v[24:25], v[14:15], 3, s[8:9]
	v_lshl_add_u64 v[26:27], v[18:19], 3, s[8:9]
	v_mov_b32_e32 v23, v15
	v_lshl_add_u64 v[28:29], v[12:13], 3, s[8:9]
	global_load_dwordx4 v[18:21], v[24:25], off
	global_load_dwordx2 v[30:31], v[26:27], off
	global_load_dwordx2 v[32:33], v[28:29], off
	v_add_u32_e32 v8, 4, v8
	v_cmp_ge_i32_e32 vcc, v8, v16
	s_or_b64 s[2:3], vcc, s[2:3]
	s_waitcnt vmcnt(3)
	v_subrev_u32_e32 v9, s12, v9
	v_lshl_add_u32 v22, v9, 1, v9
	v_add_u32_e32 v14, 1, v22
	v_lshl_add_u64 v[26:27], v[14:15], 3, s[10:11]
	v_add_u32_e32 v14, -1, v12
	v_lshl_add_u64 v[24:25], v[22:23], 3, s[10:11]
	v_lshl_add_u64 v[28:29], v[14:15], 3, s[8:9]
	v_add_u32_e32 v14, -3, v12
	global_load_dwordx2 v[24:25], v[24:25], off
	v_lshl_add_u64 v[34:35], v[14:15], 3, s[8:9]
	global_load_dwordx2 v[26:27], v[26:27], off
	v_add_u32_e32 v14, 2, v22
	global_load_dwordx2 v[22:23], v[28:29], off
	global_load_dwordx2 v[36:37], v[34:35], off
	v_lshl_add_u64 v[28:29], v[14:15], 3, s[10:11]
	global_load_dwordx2 v[28:29], v[28:29], off
	v_add_u32_e32 v12, 24, v12
	s_waitcnt vmcnt(4)
	v_fmac_f64_e32 v[0:1], v[18:19], v[24:25]
	v_fmac_f64_e32 v[10:11], v[30:31], v[24:25]
	s_waitcnt vmcnt(3)
	v_fmac_f64_e32 v[0:1], v[20:21], v[26:27]
	s_waitcnt vmcnt(2)
	;; [unrolled: 2-line block ×3, first 2 shown]
	v_fmac_f64_e32 v[0:1], v[36:37], v[28:29]
	v_fmac_f64_e32 v[10:11], v[32:33], v[28:29]
	s_andn2_b64 exec, exec, s[2:3]
	s_cbranch_execnz .LBB81_15
; %bb.16:
	s_or_b64 exec, exec, s[2:3]
.LBB81_17:
	s_or_b64 exec, exec, s[4:5]
.LBB81_18:
	v_mov_b32_dpp v8, v0 row_shr:1 row_mask:0xf bank_mask:0xf
	v_mov_b32_dpp v9, v1 row_shr:1 row_mask:0xf bank_mask:0xf
	;; [unrolled: 1-line block ×4, first 2 shown]
	v_add_f64 v[0:1], v[0:1], v[8:9]
	v_add_f64 v[10:11], v[10:11], v[12:13]
	v_cmp_eq_u32_e32 vcc, 3, v7
	v_mov_b32_dpp v8, v0 row_shr:2 row_mask:0xf bank_mask:0xf
	v_mov_b32_dpp v9, v1 row_shr:2 row_mask:0xf bank_mask:0xf
	;; [unrolled: 1-line block ×4, first 2 shown]
	s_and_b64 exec, exec, vcc
	s_cbranch_execz .LBB81_23
; %bb.19:
	s_load_dwordx2 s[0:1], s[0:1], 0x38
	v_add_f64 v[8:9], v[0:1], v[8:9]
	v_add_f64 v[0:1], v[10:11], v[12:13]
	v_cmp_eq_f64_e32 vcc, 0, v[4:5]
	s_and_saveexec_b64 s[2:3], vcc
	s_xor_b64 s[2:3], exec, s[2:3]
	s_cbranch_execz .LBB81_21
; %bb.20:
	v_lshlrev_b32_e32 v6, 1, v6
	v_ashrrev_i32_e32 v7, 31, v6
	v_mul_f64 v[4:5], v[2:3], v[8:9]
	s_waitcnt lgkmcnt(0)
	v_lshl_add_u64 v[8:9], v[6:7], 3, s[0:1]
	v_mul_f64 v[6:7], v[2:3], v[0:1]
	global_store_dwordx4 v[8:9], v[4:7], off
                                        ; implicit-def: $vgpr6
                                        ; implicit-def: $vgpr2_vgpr3
                                        ; implicit-def: $vgpr8_vgpr9
                                        ; implicit-def: $vgpr4_vgpr5
                                        ; implicit-def: $vgpr0_vgpr1
.LBB81_21:
	s_andn2_saveexec_b64 s[2:3], s[2:3]
	s_cbranch_execz .LBB81_23
; %bb.22:
	v_lshlrev_b32_e32 v6, 1, v6
	v_ashrrev_i32_e32 v7, 31, v6
	s_waitcnt lgkmcnt(0)
	v_lshl_add_u64 v[14:15], v[6:7], 3, s[0:1]
	global_load_dwordx4 v[10:13], v[14:15], off
	v_mul_f64 v[6:7], v[2:3], v[8:9]
	v_mul_f64 v[8:9], v[2:3], v[0:1]
	s_waitcnt vmcnt(0)
	v_fmac_f64_e32 v[6:7], v[4:5], v[10:11]
	v_fmac_f64_e32 v[8:9], v[4:5], v[12:13]
	global_store_dwordx4 v[14:15], v[6:9], off
.LBB81_23:
	s_endpgm
	.section	.rodata,"a",@progbits
	.p2align	6, 0x0
	.amdhsa_kernel _ZN9rocsparseL19gebsrmvn_2xn_kernelILj128ELj3ELj4EdEEvi20rocsparse_direction_NS_24const_host_device_scalarIT2_EEPKiS6_PKS3_S8_S4_PS3_21rocsparse_index_base_b
		.amdhsa_group_segment_fixed_size 0
		.amdhsa_private_segment_fixed_size 0
		.amdhsa_kernarg_size 72
		.amdhsa_user_sgpr_count 2
		.amdhsa_user_sgpr_dispatch_ptr 0
		.amdhsa_user_sgpr_queue_ptr 0
		.amdhsa_user_sgpr_kernarg_segment_ptr 1
		.amdhsa_user_sgpr_dispatch_id 0
		.amdhsa_user_sgpr_kernarg_preload_length 0
		.amdhsa_user_sgpr_kernarg_preload_offset 0
		.amdhsa_user_sgpr_private_segment_size 0
		.amdhsa_uses_dynamic_stack 0
		.amdhsa_enable_private_segment 0
		.amdhsa_system_sgpr_workgroup_id_x 1
		.amdhsa_system_sgpr_workgroup_id_y 0
		.amdhsa_system_sgpr_workgroup_id_z 0
		.amdhsa_system_sgpr_workgroup_info 0
		.amdhsa_system_vgpr_workitem_id 0
		.amdhsa_next_free_vgpr 40
		.amdhsa_next_free_sgpr 18
		.amdhsa_accum_offset 40
		.amdhsa_reserve_vcc 1
		.amdhsa_float_round_mode_32 0
		.amdhsa_float_round_mode_16_64 0
		.amdhsa_float_denorm_mode_32 3
		.amdhsa_float_denorm_mode_16_64 3
		.amdhsa_dx10_clamp 1
		.amdhsa_ieee_mode 1
		.amdhsa_fp16_overflow 0
		.amdhsa_tg_split 0
		.amdhsa_exception_fp_ieee_invalid_op 0
		.amdhsa_exception_fp_denorm_src 0
		.amdhsa_exception_fp_ieee_div_zero 0
		.amdhsa_exception_fp_ieee_overflow 0
		.amdhsa_exception_fp_ieee_underflow 0
		.amdhsa_exception_fp_ieee_inexact 0
		.amdhsa_exception_int_div_zero 0
	.end_amdhsa_kernel
	.section	.text._ZN9rocsparseL19gebsrmvn_2xn_kernelILj128ELj3ELj4EdEEvi20rocsparse_direction_NS_24const_host_device_scalarIT2_EEPKiS6_PKS3_S8_S4_PS3_21rocsparse_index_base_b,"axG",@progbits,_ZN9rocsparseL19gebsrmvn_2xn_kernelILj128ELj3ELj4EdEEvi20rocsparse_direction_NS_24const_host_device_scalarIT2_EEPKiS6_PKS3_S8_S4_PS3_21rocsparse_index_base_b,comdat
.Lfunc_end81:
	.size	_ZN9rocsparseL19gebsrmvn_2xn_kernelILj128ELj3ELj4EdEEvi20rocsparse_direction_NS_24const_host_device_scalarIT2_EEPKiS6_PKS3_S8_S4_PS3_21rocsparse_index_base_b, .Lfunc_end81-_ZN9rocsparseL19gebsrmvn_2xn_kernelILj128ELj3ELj4EdEEvi20rocsparse_direction_NS_24const_host_device_scalarIT2_EEPKiS6_PKS3_S8_S4_PS3_21rocsparse_index_base_b
                                        ; -- End function
	.section	.AMDGPU.csdata,"",@progbits
; Kernel info:
; codeLenInByte = 1080
; NumSgprs: 24
; NumVgprs: 40
; NumAgprs: 0
; TotalNumVgprs: 40
; ScratchSize: 0
; MemoryBound: 0
; FloatMode: 240
; IeeeMode: 1
; LDSByteSize: 0 bytes/workgroup (compile time only)
; SGPRBlocks: 2
; VGPRBlocks: 4
; NumSGPRsForWavesPerEU: 24
; NumVGPRsForWavesPerEU: 40
; AccumOffset: 40
; Occupancy: 8
; WaveLimiterHint : 1
; COMPUTE_PGM_RSRC2:SCRATCH_EN: 0
; COMPUTE_PGM_RSRC2:USER_SGPR: 2
; COMPUTE_PGM_RSRC2:TRAP_HANDLER: 0
; COMPUTE_PGM_RSRC2:TGID_X_EN: 1
; COMPUTE_PGM_RSRC2:TGID_Y_EN: 0
; COMPUTE_PGM_RSRC2:TGID_Z_EN: 0
; COMPUTE_PGM_RSRC2:TIDIG_COMP_CNT: 0
; COMPUTE_PGM_RSRC3_GFX90A:ACCUM_OFFSET: 9
; COMPUTE_PGM_RSRC3_GFX90A:TG_SPLIT: 0
	.section	.text._ZN9rocsparseL19gebsrmvn_2xn_kernelILj128ELj3ELj8EdEEvi20rocsparse_direction_NS_24const_host_device_scalarIT2_EEPKiS6_PKS3_S8_S4_PS3_21rocsparse_index_base_b,"axG",@progbits,_ZN9rocsparseL19gebsrmvn_2xn_kernelILj128ELj3ELj8EdEEvi20rocsparse_direction_NS_24const_host_device_scalarIT2_EEPKiS6_PKS3_S8_S4_PS3_21rocsparse_index_base_b,comdat
	.globl	_ZN9rocsparseL19gebsrmvn_2xn_kernelILj128ELj3ELj8EdEEvi20rocsparse_direction_NS_24const_host_device_scalarIT2_EEPKiS6_PKS3_S8_S4_PS3_21rocsparse_index_base_b ; -- Begin function _ZN9rocsparseL19gebsrmvn_2xn_kernelILj128ELj3ELj8EdEEvi20rocsparse_direction_NS_24const_host_device_scalarIT2_EEPKiS6_PKS3_S8_S4_PS3_21rocsparse_index_base_b
	.p2align	8
	.type	_ZN9rocsparseL19gebsrmvn_2xn_kernelILj128ELj3ELj8EdEEvi20rocsparse_direction_NS_24const_host_device_scalarIT2_EEPKiS6_PKS3_S8_S4_PS3_21rocsparse_index_base_b,@function
_ZN9rocsparseL19gebsrmvn_2xn_kernelILj128ELj3ELj8EdEEvi20rocsparse_direction_NS_24const_host_device_scalarIT2_EEPKiS6_PKS3_S8_S4_PS3_21rocsparse_index_base_b: ; @_ZN9rocsparseL19gebsrmvn_2xn_kernelILj128ELj3ELj8EdEEvi20rocsparse_direction_NS_24const_host_device_scalarIT2_EEPKiS6_PKS3_S8_S4_PS3_21rocsparse_index_base_b
; %bb.0:
	s_load_dwordx2 s[12:13], s[0:1], 0x40
	s_load_dwordx2 s[8:9], s[0:1], 0x8
	;; [unrolled: 1-line block ×3, first 2 shown]
	s_waitcnt lgkmcnt(0)
	s_bitcmp1_b32 s13, 0
	s_cselect_b64 s[10:11], -1, 0
	s_xor_b64 s[6:7], s[10:11], -1
	s_and_b64 vcc, exec, s[10:11]
	v_mov_b64_e32 v[2:3], s[8:9]
	s_cbranch_vccnz .LBB82_2
; %bb.1:
	v_mov_b64_e32 v[2:3], s[8:9]
	flat_load_dwordx2 v[2:3], v[2:3]
.LBB82_2:
	s_andn2_b64 vcc, exec, s[6:7]
	v_mov_b64_e32 v[4:5], s[4:5]
	s_cbranch_vccnz .LBB82_4
; %bb.3:
	v_mov_b64_e32 v[4:5], s[4:5]
	flat_load_dwordx2 v[4:5], v[4:5]
.LBB82_4:
	s_waitcnt vmcnt(0) lgkmcnt(0)
	v_cmp_neq_f64_e32 vcc, 0, v[2:3]
	v_cmp_neq_f64_e64 s[4:5], 1.0, v[4:5]
	s_or_b64 s[4:5], vcc, s[4:5]
	s_and_saveexec_b64 s[6:7], s[4:5]
	s_cbranch_execz .LBB82_23
; %bb.5:
	s_load_dwordx2 s[14:15], s[0:1], 0x0
	v_lshrrev_b32_e32 v1, 3, v0
	v_lshl_or_b32 v6, s2, 4, v1
	s_waitcnt lgkmcnt(0)
	v_cmp_gt_i32_e32 vcc, s14, v6
	s_and_b64 exec, exec, vcc
	s_cbranch_execz .LBB82_23
; %bb.6:
	s_load_dwordx8 s[4:11], s[0:1], 0x10
	v_ashrrev_i32_e32 v7, 31, v6
	s_cmp_lg_u32 s15, 0
	s_waitcnt lgkmcnt(0)
	v_lshl_add_u64 v[8:9], v[6:7], 2, s[4:5]
	global_load_dwordx2 v[8:9], v[8:9], off
	v_and_b32_e32 v7, 7, v0
	s_waitcnt vmcnt(0)
	v_subrev_u32_e32 v0, s12, v8
	v_subrev_u32_e32 v16, s12, v9
	v_add_u32_e32 v8, v0, v7
	v_cmp_lt_i32_e64 s[2:3], v8, v16
	s_cbranch_scc0 .LBB82_12
; %bb.7:
	v_mov_b64_e32 v[0:1], 0
	s_mov_b64 s[4:5], 0
	v_mov_b64_e32 v[10:11], v[0:1]
	s_and_saveexec_b64 s[14:15], s[2:3]
	s_cbranch_execz .LBB82_11
; %bb.8:
	v_mov_b64_e32 v[0:1], 0
	v_mul_lo_u32 v12, v8, 6
	s_mov_b64 s[16:17], 0
	v_mov_b32_e32 v13, 0
	v_mov_b32_e32 v14, v8
	v_mov_b64_e32 v[10:11], v[0:1]
.LBB82_9:                               ; =>This Inner Loop Header: Depth=1
	v_ashrrev_i32_e32 v15, 31, v14
	v_lshl_add_u64 v[18:19], v[14:15], 2, s[6:7]
	global_load_dword v9, v[18:19], off
	v_add_u32_e32 v22, 2, v12
	v_mov_b32_e32 v23, v13
	v_lshl_add_u64 v[18:19], v[12:13], 3, s[8:9]
	v_mov_b32_e32 v31, v13
	v_add_u32_e32 v24, 4, v12
	v_mov_b32_e32 v25, v13
	v_lshl_add_u64 v[36:37], v[22:23], 3, s[8:9]
	global_load_dwordx4 v[18:21], v[18:19], off
	v_lshl_add_u64 v[38:39], v[24:25], 3, s[8:9]
	global_load_dwordx4 v[22:25], v[36:37], off
	global_load_dwordx4 v[26:29], v[38:39], off
	v_mov_b32_e32 v33, v13
	v_mov_b32_e32 v35, v13
	v_add_u32_e32 v14, 8, v14
	v_cmp_ge_i32_e32 vcc, v14, v16
	v_add_u32_e32 v12, 48, v12
	s_or_b64 s[16:17], vcc, s[16:17]
	s_waitcnt vmcnt(3)
	v_subrev_u32_e32 v9, s12, v9
	v_lshl_add_u32 v30, v9, 1, v9
	v_lshl_add_u64 v[36:37], v[30:31], 3, s[10:11]
	v_add_u32_e32 v32, 1, v30
	v_add_u32_e32 v34, 2, v30
	global_load_dwordx2 v[30:31], v[36:37], off
	v_lshl_add_u64 v[32:33], v[32:33], 3, s[10:11]
	v_lshl_add_u64 v[34:35], v[34:35], 3, s[10:11]
	global_load_dwordx2 v[36:37], v[32:33], off
	global_load_dwordx2 v[38:39], v[34:35], off
	s_waitcnt vmcnt(2)
	v_fmac_f64_e32 v[0:1], v[18:19], v[30:31]
	v_fmac_f64_e32 v[10:11], v[20:21], v[30:31]
	s_waitcnt vmcnt(1)
	v_fmac_f64_e32 v[0:1], v[22:23], v[36:37]
	v_fmac_f64_e32 v[10:11], v[24:25], v[36:37]
	;; [unrolled: 3-line block ×3, first 2 shown]
	s_andn2_b64 exec, exec, s[16:17]
	s_cbranch_execnz .LBB82_9
; %bb.10:
	s_or_b64 exec, exec, s[16:17]
.LBB82_11:
	s_or_b64 exec, exec, s[14:15]
	s_andn2_b64 vcc, exec, s[4:5]
	s_cbranch_vccz .LBB82_13
	s_branch .LBB82_18
.LBB82_12:
                                        ; implicit-def: $vgpr0_vgpr1
                                        ; implicit-def: $vgpr10_vgpr11
.LBB82_13:
	v_mov_b64_e32 v[0:1], 0
	v_mov_b64_e32 v[10:11], v[0:1]
	s_and_saveexec_b64 s[4:5], s[2:3]
	s_cbranch_execz .LBB82_17
; %bb.14:
	v_mad_u64_u32 v[12:13], s[2:3], v8, 6, 5
	v_mov_b64_e32 v[0:1], 0
	s_mov_b64 s[2:3], 0
	v_mov_b32_e32 v15, 0
	v_mov_b64_e32 v[10:11], v[0:1]
.LBB82_15:                              ; =>This Inner Loop Header: Depth=1
	v_ashrrev_i32_e32 v9, 31, v8
	v_lshl_add_u64 v[18:19], v[8:9], 2, s[6:7]
	global_load_dword v9, v[18:19], off
	v_add_u32_e32 v14, -5, v12
	v_add_u32_e32 v18, -2, v12
	v_mov_b32_e32 v19, v15
	v_mov_b32_e32 v13, v15
	v_lshl_add_u64 v[24:25], v[14:15], 3, s[8:9]
	v_lshl_add_u64 v[26:27], v[18:19], 3, s[8:9]
	v_mov_b32_e32 v23, v15
	v_lshl_add_u64 v[28:29], v[12:13], 3, s[8:9]
	global_load_dwordx4 v[18:21], v[24:25], off
	global_load_dwordx2 v[30:31], v[26:27], off
	global_load_dwordx2 v[32:33], v[28:29], off
	v_add_u32_e32 v8, 8, v8
	v_cmp_ge_i32_e32 vcc, v8, v16
	s_or_b64 s[2:3], vcc, s[2:3]
	s_waitcnt vmcnt(3)
	v_subrev_u32_e32 v9, s12, v9
	v_lshl_add_u32 v22, v9, 1, v9
	v_add_u32_e32 v14, 1, v22
	v_lshl_add_u64 v[26:27], v[14:15], 3, s[10:11]
	v_add_u32_e32 v14, -1, v12
	v_lshl_add_u64 v[24:25], v[22:23], 3, s[10:11]
	v_lshl_add_u64 v[28:29], v[14:15], 3, s[8:9]
	v_add_u32_e32 v14, -3, v12
	global_load_dwordx2 v[24:25], v[24:25], off
	v_lshl_add_u64 v[34:35], v[14:15], 3, s[8:9]
	global_load_dwordx2 v[26:27], v[26:27], off
	v_add_u32_e32 v14, 2, v22
	global_load_dwordx2 v[22:23], v[28:29], off
	global_load_dwordx2 v[36:37], v[34:35], off
	v_lshl_add_u64 v[28:29], v[14:15], 3, s[10:11]
	global_load_dwordx2 v[28:29], v[28:29], off
	v_add_u32_e32 v12, 48, v12
	s_waitcnt vmcnt(4)
	v_fmac_f64_e32 v[0:1], v[18:19], v[24:25]
	v_fmac_f64_e32 v[10:11], v[30:31], v[24:25]
	s_waitcnt vmcnt(3)
	v_fmac_f64_e32 v[0:1], v[20:21], v[26:27]
	s_waitcnt vmcnt(2)
	;; [unrolled: 2-line block ×3, first 2 shown]
	v_fmac_f64_e32 v[0:1], v[36:37], v[28:29]
	v_fmac_f64_e32 v[10:11], v[32:33], v[28:29]
	s_andn2_b64 exec, exec, s[2:3]
	s_cbranch_execnz .LBB82_15
; %bb.16:
	s_or_b64 exec, exec, s[2:3]
.LBB82_17:
	s_or_b64 exec, exec, s[4:5]
.LBB82_18:
	v_mov_b32_dpp v8, v0 row_shr:1 row_mask:0xf bank_mask:0xf
	v_mov_b32_dpp v9, v1 row_shr:1 row_mask:0xf bank_mask:0xf
	;; [unrolled: 1-line block ×4, first 2 shown]
	v_add_f64 v[0:1], v[0:1], v[8:9]
	v_add_f64 v[10:11], v[10:11], v[12:13]
	v_cmp_eq_u32_e32 vcc, 7, v7
	v_mov_b32_dpp v8, v0 row_shr:2 row_mask:0xf bank_mask:0xf
	v_mov_b32_dpp v9, v1 row_shr:2 row_mask:0xf bank_mask:0xf
	;; [unrolled: 1-line block ×4, first 2 shown]
	v_add_f64 v[0:1], v[0:1], v[8:9]
	v_add_f64 v[10:11], v[10:11], v[12:13]
	s_nop 0
	v_mov_b32_dpp v8, v0 row_shr:4 row_mask:0xf bank_mask:0xe
	v_mov_b32_dpp v9, v1 row_shr:4 row_mask:0xf bank_mask:0xe
	;; [unrolled: 1-line block ×4, first 2 shown]
	s_and_b64 exec, exec, vcc
	s_cbranch_execz .LBB82_23
; %bb.19:
	s_load_dwordx2 s[0:1], s[0:1], 0x38
	v_add_f64 v[8:9], v[0:1], v[8:9]
	v_add_f64 v[0:1], v[10:11], v[12:13]
	v_cmp_eq_f64_e32 vcc, 0, v[4:5]
	s_and_saveexec_b64 s[2:3], vcc
	s_xor_b64 s[2:3], exec, s[2:3]
	s_cbranch_execz .LBB82_21
; %bb.20:
	v_lshlrev_b32_e32 v6, 1, v6
	v_ashrrev_i32_e32 v7, 31, v6
	v_mul_f64 v[4:5], v[2:3], v[8:9]
	s_waitcnt lgkmcnt(0)
	v_lshl_add_u64 v[8:9], v[6:7], 3, s[0:1]
	v_mul_f64 v[6:7], v[2:3], v[0:1]
	global_store_dwordx4 v[8:9], v[4:7], off
                                        ; implicit-def: $vgpr6
                                        ; implicit-def: $vgpr2_vgpr3
                                        ; implicit-def: $vgpr8_vgpr9
                                        ; implicit-def: $vgpr4_vgpr5
                                        ; implicit-def: $vgpr0_vgpr1
.LBB82_21:
	s_andn2_saveexec_b64 s[2:3], s[2:3]
	s_cbranch_execz .LBB82_23
; %bb.22:
	v_lshlrev_b32_e32 v6, 1, v6
	v_ashrrev_i32_e32 v7, 31, v6
	s_waitcnt lgkmcnt(0)
	v_lshl_add_u64 v[14:15], v[6:7], 3, s[0:1]
	global_load_dwordx4 v[10:13], v[14:15], off
	v_mul_f64 v[6:7], v[2:3], v[8:9]
	v_mul_f64 v[8:9], v[2:3], v[0:1]
	s_waitcnt vmcnt(0)
	v_fmac_f64_e32 v[6:7], v[4:5], v[10:11]
	v_fmac_f64_e32 v[8:9], v[4:5], v[12:13]
	global_store_dwordx4 v[14:15], v[6:9], off
.LBB82_23:
	s_endpgm
	.section	.rodata,"a",@progbits
	.p2align	6, 0x0
	.amdhsa_kernel _ZN9rocsparseL19gebsrmvn_2xn_kernelILj128ELj3ELj8EdEEvi20rocsparse_direction_NS_24const_host_device_scalarIT2_EEPKiS6_PKS3_S8_S4_PS3_21rocsparse_index_base_b
		.amdhsa_group_segment_fixed_size 0
		.amdhsa_private_segment_fixed_size 0
		.amdhsa_kernarg_size 72
		.amdhsa_user_sgpr_count 2
		.amdhsa_user_sgpr_dispatch_ptr 0
		.amdhsa_user_sgpr_queue_ptr 0
		.amdhsa_user_sgpr_kernarg_segment_ptr 1
		.amdhsa_user_sgpr_dispatch_id 0
		.amdhsa_user_sgpr_kernarg_preload_length 0
		.amdhsa_user_sgpr_kernarg_preload_offset 0
		.amdhsa_user_sgpr_private_segment_size 0
		.amdhsa_uses_dynamic_stack 0
		.amdhsa_enable_private_segment 0
		.amdhsa_system_sgpr_workgroup_id_x 1
		.amdhsa_system_sgpr_workgroup_id_y 0
		.amdhsa_system_sgpr_workgroup_id_z 0
		.amdhsa_system_sgpr_workgroup_info 0
		.amdhsa_system_vgpr_workitem_id 0
		.amdhsa_next_free_vgpr 40
		.amdhsa_next_free_sgpr 18
		.amdhsa_accum_offset 40
		.amdhsa_reserve_vcc 1
		.amdhsa_float_round_mode_32 0
		.amdhsa_float_round_mode_16_64 0
		.amdhsa_float_denorm_mode_32 3
		.amdhsa_float_denorm_mode_16_64 3
		.amdhsa_dx10_clamp 1
		.amdhsa_ieee_mode 1
		.amdhsa_fp16_overflow 0
		.amdhsa_tg_split 0
		.amdhsa_exception_fp_ieee_invalid_op 0
		.amdhsa_exception_fp_denorm_src 0
		.amdhsa_exception_fp_ieee_div_zero 0
		.amdhsa_exception_fp_ieee_overflow 0
		.amdhsa_exception_fp_ieee_underflow 0
		.amdhsa_exception_fp_ieee_inexact 0
		.amdhsa_exception_int_div_zero 0
	.end_amdhsa_kernel
	.section	.text._ZN9rocsparseL19gebsrmvn_2xn_kernelILj128ELj3ELj8EdEEvi20rocsparse_direction_NS_24const_host_device_scalarIT2_EEPKiS6_PKS3_S8_S4_PS3_21rocsparse_index_base_b,"axG",@progbits,_ZN9rocsparseL19gebsrmvn_2xn_kernelILj128ELj3ELj8EdEEvi20rocsparse_direction_NS_24const_host_device_scalarIT2_EEPKiS6_PKS3_S8_S4_PS3_21rocsparse_index_base_b,comdat
.Lfunc_end82:
	.size	_ZN9rocsparseL19gebsrmvn_2xn_kernelILj128ELj3ELj8EdEEvi20rocsparse_direction_NS_24const_host_device_scalarIT2_EEPKiS6_PKS3_S8_S4_PS3_21rocsparse_index_base_b, .Lfunc_end82-_ZN9rocsparseL19gebsrmvn_2xn_kernelILj128ELj3ELj8EdEEvi20rocsparse_direction_NS_24const_host_device_scalarIT2_EEPKiS6_PKS3_S8_S4_PS3_21rocsparse_index_base_b
                                        ; -- End function
	.section	.AMDGPU.csdata,"",@progbits
; Kernel info:
; codeLenInByte = 1132
; NumSgprs: 24
; NumVgprs: 40
; NumAgprs: 0
; TotalNumVgprs: 40
; ScratchSize: 0
; MemoryBound: 0
; FloatMode: 240
; IeeeMode: 1
; LDSByteSize: 0 bytes/workgroup (compile time only)
; SGPRBlocks: 2
; VGPRBlocks: 4
; NumSGPRsForWavesPerEU: 24
; NumVGPRsForWavesPerEU: 40
; AccumOffset: 40
; Occupancy: 8
; WaveLimiterHint : 1
; COMPUTE_PGM_RSRC2:SCRATCH_EN: 0
; COMPUTE_PGM_RSRC2:USER_SGPR: 2
; COMPUTE_PGM_RSRC2:TRAP_HANDLER: 0
; COMPUTE_PGM_RSRC2:TGID_X_EN: 1
; COMPUTE_PGM_RSRC2:TGID_Y_EN: 0
; COMPUTE_PGM_RSRC2:TGID_Z_EN: 0
; COMPUTE_PGM_RSRC2:TIDIG_COMP_CNT: 0
; COMPUTE_PGM_RSRC3_GFX90A:ACCUM_OFFSET: 9
; COMPUTE_PGM_RSRC3_GFX90A:TG_SPLIT: 0
	.section	.text._ZN9rocsparseL19gebsrmvn_2xn_kernelILj128ELj3ELj16EdEEvi20rocsparse_direction_NS_24const_host_device_scalarIT2_EEPKiS6_PKS3_S8_S4_PS3_21rocsparse_index_base_b,"axG",@progbits,_ZN9rocsparseL19gebsrmvn_2xn_kernelILj128ELj3ELj16EdEEvi20rocsparse_direction_NS_24const_host_device_scalarIT2_EEPKiS6_PKS3_S8_S4_PS3_21rocsparse_index_base_b,comdat
	.globl	_ZN9rocsparseL19gebsrmvn_2xn_kernelILj128ELj3ELj16EdEEvi20rocsparse_direction_NS_24const_host_device_scalarIT2_EEPKiS6_PKS3_S8_S4_PS3_21rocsparse_index_base_b ; -- Begin function _ZN9rocsparseL19gebsrmvn_2xn_kernelILj128ELj3ELj16EdEEvi20rocsparse_direction_NS_24const_host_device_scalarIT2_EEPKiS6_PKS3_S8_S4_PS3_21rocsparse_index_base_b
	.p2align	8
	.type	_ZN9rocsparseL19gebsrmvn_2xn_kernelILj128ELj3ELj16EdEEvi20rocsparse_direction_NS_24const_host_device_scalarIT2_EEPKiS6_PKS3_S8_S4_PS3_21rocsparse_index_base_b,@function
_ZN9rocsparseL19gebsrmvn_2xn_kernelILj128ELj3ELj16EdEEvi20rocsparse_direction_NS_24const_host_device_scalarIT2_EEPKiS6_PKS3_S8_S4_PS3_21rocsparse_index_base_b: ; @_ZN9rocsparseL19gebsrmvn_2xn_kernelILj128ELj3ELj16EdEEvi20rocsparse_direction_NS_24const_host_device_scalarIT2_EEPKiS6_PKS3_S8_S4_PS3_21rocsparse_index_base_b
; %bb.0:
	s_load_dwordx2 s[12:13], s[0:1], 0x40
	s_load_dwordx2 s[8:9], s[0:1], 0x8
	;; [unrolled: 1-line block ×3, first 2 shown]
	s_waitcnt lgkmcnt(0)
	s_bitcmp1_b32 s13, 0
	s_cselect_b64 s[10:11], -1, 0
	s_xor_b64 s[6:7], s[10:11], -1
	s_and_b64 vcc, exec, s[10:11]
	v_mov_b64_e32 v[2:3], s[8:9]
	s_cbranch_vccnz .LBB83_2
; %bb.1:
	v_mov_b64_e32 v[2:3], s[8:9]
	flat_load_dwordx2 v[2:3], v[2:3]
.LBB83_2:
	s_andn2_b64 vcc, exec, s[6:7]
	v_mov_b64_e32 v[4:5], s[4:5]
	s_cbranch_vccnz .LBB83_4
; %bb.3:
	v_mov_b64_e32 v[4:5], s[4:5]
	flat_load_dwordx2 v[4:5], v[4:5]
.LBB83_4:
	s_waitcnt vmcnt(0) lgkmcnt(0)
	v_cmp_neq_f64_e32 vcc, 0, v[2:3]
	v_cmp_neq_f64_e64 s[4:5], 1.0, v[4:5]
	s_or_b64 s[4:5], vcc, s[4:5]
	s_and_saveexec_b64 s[6:7], s[4:5]
	s_cbranch_execz .LBB83_23
; %bb.5:
	s_load_dwordx2 s[14:15], s[0:1], 0x0
	v_lshrrev_b32_e32 v1, 4, v0
	v_lshl_or_b32 v6, s2, 3, v1
	s_waitcnt lgkmcnt(0)
	v_cmp_gt_i32_e32 vcc, s14, v6
	s_and_b64 exec, exec, vcc
	s_cbranch_execz .LBB83_23
; %bb.6:
	s_load_dwordx8 s[4:11], s[0:1], 0x10
	v_ashrrev_i32_e32 v7, 31, v6
	s_cmp_lg_u32 s15, 0
	s_waitcnt lgkmcnt(0)
	v_lshl_add_u64 v[8:9], v[6:7], 2, s[4:5]
	global_load_dwordx2 v[8:9], v[8:9], off
	v_and_b32_e32 v7, 15, v0
	s_waitcnt vmcnt(0)
	v_subrev_u32_e32 v0, s12, v8
	v_subrev_u32_e32 v16, s12, v9
	v_add_u32_e32 v10, v0, v7
	v_cmp_lt_i32_e64 s[2:3], v10, v16
	s_cbranch_scc0 .LBB83_12
; %bb.7:
	v_mov_b64_e32 v[0:1], 0
	s_mov_b64 s[4:5], 0
	v_mov_b64_e32 v[8:9], v[0:1]
	s_and_saveexec_b64 s[14:15], s[2:3]
	s_cbranch_execz .LBB83_11
; %bb.8:
	v_mov_b64_e32 v[0:1], 0
	v_mul_lo_u32 v12, v10, 6
	s_mov_b64 s[16:17], 0
	v_mov_b32_e32 v13, 0
	v_mov_b32_e32 v14, v10
	v_mov_b64_e32 v[8:9], v[0:1]
.LBB83_9:                               ; =>This Inner Loop Header: Depth=1
	v_ashrrev_i32_e32 v15, 31, v14
	v_lshl_add_u64 v[18:19], v[14:15], 2, s[6:7]
	global_load_dword v11, v[18:19], off
	v_add_u32_e32 v22, 2, v12
	v_mov_b32_e32 v23, v13
	v_lshl_add_u64 v[18:19], v[12:13], 3, s[8:9]
	v_mov_b32_e32 v31, v13
	v_add_u32_e32 v24, 4, v12
	v_mov_b32_e32 v25, v13
	v_lshl_add_u64 v[36:37], v[22:23], 3, s[8:9]
	global_load_dwordx4 v[18:21], v[18:19], off
	v_lshl_add_u64 v[38:39], v[24:25], 3, s[8:9]
	global_load_dwordx4 v[22:25], v[36:37], off
	global_load_dwordx4 v[26:29], v[38:39], off
	v_mov_b32_e32 v33, v13
	v_mov_b32_e32 v35, v13
	v_add_u32_e32 v14, 16, v14
	v_cmp_ge_i32_e32 vcc, v14, v16
	v_add_u32_e32 v12, 0x60, v12
	s_or_b64 s[16:17], vcc, s[16:17]
	s_waitcnt vmcnt(3)
	v_subrev_u32_e32 v11, s12, v11
	v_lshl_add_u32 v30, v11, 1, v11
	v_lshl_add_u64 v[36:37], v[30:31], 3, s[10:11]
	v_add_u32_e32 v32, 1, v30
	v_add_u32_e32 v34, 2, v30
	global_load_dwordx2 v[30:31], v[36:37], off
	v_lshl_add_u64 v[32:33], v[32:33], 3, s[10:11]
	v_lshl_add_u64 v[34:35], v[34:35], 3, s[10:11]
	global_load_dwordx2 v[36:37], v[32:33], off
	global_load_dwordx2 v[38:39], v[34:35], off
	s_waitcnt vmcnt(2)
	v_fmac_f64_e32 v[0:1], v[18:19], v[30:31]
	v_fmac_f64_e32 v[8:9], v[20:21], v[30:31]
	s_waitcnt vmcnt(1)
	v_fmac_f64_e32 v[0:1], v[22:23], v[36:37]
	v_fmac_f64_e32 v[8:9], v[24:25], v[36:37]
	;; [unrolled: 3-line block ×3, first 2 shown]
	s_andn2_b64 exec, exec, s[16:17]
	s_cbranch_execnz .LBB83_9
; %bb.10:
	s_or_b64 exec, exec, s[16:17]
.LBB83_11:
	s_or_b64 exec, exec, s[14:15]
	s_andn2_b64 vcc, exec, s[4:5]
	s_cbranch_vccz .LBB83_13
	s_branch .LBB83_18
.LBB83_12:
                                        ; implicit-def: $vgpr0_vgpr1
                                        ; implicit-def: $vgpr8_vgpr9
.LBB83_13:
	v_mov_b64_e32 v[0:1], 0
	v_mov_b64_e32 v[8:9], v[0:1]
	s_and_saveexec_b64 s[4:5], s[2:3]
	s_cbranch_execz .LBB83_17
; %bb.14:
	v_mad_u64_u32 v[12:13], s[2:3], v10, 6, 5
	v_mov_b64_e32 v[0:1], 0
	s_mov_b64 s[2:3], 0
	v_mov_b32_e32 v15, 0
	v_mov_b64_e32 v[8:9], v[0:1]
.LBB83_15:                              ; =>This Inner Loop Header: Depth=1
	v_ashrrev_i32_e32 v11, 31, v10
	v_lshl_add_u64 v[18:19], v[10:11], 2, s[6:7]
	global_load_dword v11, v[18:19], off
	v_add_u32_e32 v14, -5, v12
	v_add_u32_e32 v18, -2, v12
	v_mov_b32_e32 v19, v15
	v_mov_b32_e32 v13, v15
	v_lshl_add_u64 v[24:25], v[14:15], 3, s[8:9]
	v_lshl_add_u64 v[26:27], v[18:19], 3, s[8:9]
	v_mov_b32_e32 v23, v15
	v_lshl_add_u64 v[28:29], v[12:13], 3, s[8:9]
	global_load_dwordx4 v[18:21], v[24:25], off
	global_load_dwordx2 v[30:31], v[26:27], off
	global_load_dwordx2 v[32:33], v[28:29], off
	v_add_u32_e32 v10, 16, v10
	v_cmp_ge_i32_e32 vcc, v10, v16
	s_or_b64 s[2:3], vcc, s[2:3]
	s_waitcnt vmcnt(3)
	v_subrev_u32_e32 v11, s12, v11
	v_lshl_add_u32 v22, v11, 1, v11
	v_add_u32_e32 v14, 1, v22
	v_lshl_add_u64 v[26:27], v[14:15], 3, s[10:11]
	v_add_u32_e32 v14, -1, v12
	v_lshl_add_u64 v[24:25], v[22:23], 3, s[10:11]
	v_lshl_add_u64 v[28:29], v[14:15], 3, s[8:9]
	v_add_u32_e32 v14, -3, v12
	global_load_dwordx2 v[24:25], v[24:25], off
	v_lshl_add_u64 v[34:35], v[14:15], 3, s[8:9]
	global_load_dwordx2 v[26:27], v[26:27], off
	v_add_u32_e32 v14, 2, v22
	global_load_dwordx2 v[22:23], v[28:29], off
	global_load_dwordx2 v[36:37], v[34:35], off
	v_lshl_add_u64 v[28:29], v[14:15], 3, s[10:11]
	global_load_dwordx2 v[28:29], v[28:29], off
	v_add_u32_e32 v12, 0x60, v12
	s_waitcnt vmcnt(4)
	v_fmac_f64_e32 v[0:1], v[18:19], v[24:25]
	v_fmac_f64_e32 v[8:9], v[30:31], v[24:25]
	s_waitcnt vmcnt(3)
	v_fmac_f64_e32 v[0:1], v[20:21], v[26:27]
	s_waitcnt vmcnt(2)
	;; [unrolled: 2-line block ×3, first 2 shown]
	v_fmac_f64_e32 v[0:1], v[36:37], v[28:29]
	v_fmac_f64_e32 v[8:9], v[32:33], v[28:29]
	s_andn2_b64 exec, exec, s[2:3]
	s_cbranch_execnz .LBB83_15
; %bb.16:
	s_or_b64 exec, exec, s[2:3]
.LBB83_17:
	s_or_b64 exec, exec, s[4:5]
.LBB83_18:
	v_mov_b32_dpp v10, v0 row_shr:1 row_mask:0xf bank_mask:0xf
	v_mov_b32_dpp v11, v1 row_shr:1 row_mask:0xf bank_mask:0xf
	;; [unrolled: 1-line block ×4, first 2 shown]
	v_add_f64 v[0:1], v[0:1], v[10:11]
	v_add_f64 v[8:9], v[8:9], v[12:13]
	v_cmp_eq_u32_e32 vcc, 15, v7
	v_mov_b32_dpp v10, v0 row_shr:2 row_mask:0xf bank_mask:0xf
	v_mov_b32_dpp v11, v1 row_shr:2 row_mask:0xf bank_mask:0xf
	;; [unrolled: 1-line block ×4, first 2 shown]
	v_add_f64 v[0:1], v[0:1], v[10:11]
	v_add_f64 v[8:9], v[8:9], v[12:13]
	s_nop 0
	v_mov_b32_dpp v10, v0 row_shr:4 row_mask:0xf bank_mask:0xe
	v_mov_b32_dpp v11, v1 row_shr:4 row_mask:0xf bank_mask:0xe
	;; [unrolled: 1-line block ×4, first 2 shown]
	v_add_f64 v[0:1], v[0:1], v[10:11]
	v_add_f64 v[12:13], v[8:9], v[12:13]
	s_nop 0
	v_mov_b32_dpp v10, v0 row_shr:8 row_mask:0xf bank_mask:0xc
	v_mov_b32_dpp v11, v1 row_shr:8 row_mask:0xf bank_mask:0xc
	;; [unrolled: 1-line block ×4, first 2 shown]
	s_and_b64 exec, exec, vcc
	s_cbranch_execz .LBB83_23
; %bb.19:
	s_load_dwordx2 s[0:1], s[0:1], 0x38
	v_add_f64 v[8:9], v[0:1], v[10:11]
	v_add_f64 v[0:1], v[12:13], v[14:15]
	v_cmp_eq_f64_e32 vcc, 0, v[4:5]
	s_and_saveexec_b64 s[2:3], vcc
	s_xor_b64 s[2:3], exec, s[2:3]
	s_cbranch_execz .LBB83_21
; %bb.20:
	v_lshlrev_b32_e32 v6, 1, v6
	v_ashrrev_i32_e32 v7, 31, v6
	v_mul_f64 v[4:5], v[2:3], v[8:9]
	s_waitcnt lgkmcnt(0)
	v_lshl_add_u64 v[8:9], v[6:7], 3, s[0:1]
	v_mul_f64 v[6:7], v[2:3], v[0:1]
	global_store_dwordx4 v[8:9], v[4:7], off
                                        ; implicit-def: $vgpr6
                                        ; implicit-def: $vgpr2_vgpr3
                                        ; implicit-def: $vgpr8_vgpr9
                                        ; implicit-def: $vgpr4_vgpr5
                                        ; implicit-def: $vgpr0_vgpr1
.LBB83_21:
	s_andn2_saveexec_b64 s[2:3], s[2:3]
	s_cbranch_execz .LBB83_23
; %bb.22:
	v_lshlrev_b32_e32 v6, 1, v6
	v_ashrrev_i32_e32 v7, 31, v6
	s_waitcnt lgkmcnt(0)
	v_lshl_add_u64 v[14:15], v[6:7], 3, s[0:1]
	global_load_dwordx4 v[10:13], v[14:15], off
	v_mul_f64 v[6:7], v[2:3], v[8:9]
	v_mul_f64 v[8:9], v[2:3], v[0:1]
	s_waitcnt vmcnt(0)
	v_fmac_f64_e32 v[6:7], v[4:5], v[10:11]
	v_fmac_f64_e32 v[8:9], v[4:5], v[12:13]
	global_store_dwordx4 v[14:15], v[6:9], off
.LBB83_23:
	s_endpgm
	.section	.rodata,"a",@progbits
	.p2align	6, 0x0
	.amdhsa_kernel _ZN9rocsparseL19gebsrmvn_2xn_kernelILj128ELj3ELj16EdEEvi20rocsparse_direction_NS_24const_host_device_scalarIT2_EEPKiS6_PKS3_S8_S4_PS3_21rocsparse_index_base_b
		.amdhsa_group_segment_fixed_size 0
		.amdhsa_private_segment_fixed_size 0
		.amdhsa_kernarg_size 72
		.amdhsa_user_sgpr_count 2
		.amdhsa_user_sgpr_dispatch_ptr 0
		.amdhsa_user_sgpr_queue_ptr 0
		.amdhsa_user_sgpr_kernarg_segment_ptr 1
		.amdhsa_user_sgpr_dispatch_id 0
		.amdhsa_user_sgpr_kernarg_preload_length 0
		.amdhsa_user_sgpr_kernarg_preload_offset 0
		.amdhsa_user_sgpr_private_segment_size 0
		.amdhsa_uses_dynamic_stack 0
		.amdhsa_enable_private_segment 0
		.amdhsa_system_sgpr_workgroup_id_x 1
		.amdhsa_system_sgpr_workgroup_id_y 0
		.amdhsa_system_sgpr_workgroup_id_z 0
		.amdhsa_system_sgpr_workgroup_info 0
		.amdhsa_system_vgpr_workitem_id 0
		.amdhsa_next_free_vgpr 40
		.amdhsa_next_free_sgpr 18
		.amdhsa_accum_offset 40
		.amdhsa_reserve_vcc 1
		.amdhsa_float_round_mode_32 0
		.amdhsa_float_round_mode_16_64 0
		.amdhsa_float_denorm_mode_32 3
		.amdhsa_float_denorm_mode_16_64 3
		.amdhsa_dx10_clamp 1
		.amdhsa_ieee_mode 1
		.amdhsa_fp16_overflow 0
		.amdhsa_tg_split 0
		.amdhsa_exception_fp_ieee_invalid_op 0
		.amdhsa_exception_fp_denorm_src 0
		.amdhsa_exception_fp_ieee_div_zero 0
		.amdhsa_exception_fp_ieee_overflow 0
		.amdhsa_exception_fp_ieee_underflow 0
		.amdhsa_exception_fp_ieee_inexact 0
		.amdhsa_exception_int_div_zero 0
	.end_amdhsa_kernel
	.section	.text._ZN9rocsparseL19gebsrmvn_2xn_kernelILj128ELj3ELj16EdEEvi20rocsparse_direction_NS_24const_host_device_scalarIT2_EEPKiS6_PKS3_S8_S4_PS3_21rocsparse_index_base_b,"axG",@progbits,_ZN9rocsparseL19gebsrmvn_2xn_kernelILj128ELj3ELj16EdEEvi20rocsparse_direction_NS_24const_host_device_scalarIT2_EEPKiS6_PKS3_S8_S4_PS3_21rocsparse_index_base_b,comdat
.Lfunc_end83:
	.size	_ZN9rocsparseL19gebsrmvn_2xn_kernelILj128ELj3ELj16EdEEvi20rocsparse_direction_NS_24const_host_device_scalarIT2_EEPKiS6_PKS3_S8_S4_PS3_21rocsparse_index_base_b, .Lfunc_end83-_ZN9rocsparseL19gebsrmvn_2xn_kernelILj128ELj3ELj16EdEEvi20rocsparse_direction_NS_24const_host_device_scalarIT2_EEPKiS6_PKS3_S8_S4_PS3_21rocsparse_index_base_b
                                        ; -- End function
	.section	.AMDGPU.csdata,"",@progbits
; Kernel info:
; codeLenInByte = 1192
; NumSgprs: 24
; NumVgprs: 40
; NumAgprs: 0
; TotalNumVgprs: 40
; ScratchSize: 0
; MemoryBound: 0
; FloatMode: 240
; IeeeMode: 1
; LDSByteSize: 0 bytes/workgroup (compile time only)
; SGPRBlocks: 2
; VGPRBlocks: 4
; NumSGPRsForWavesPerEU: 24
; NumVGPRsForWavesPerEU: 40
; AccumOffset: 40
; Occupancy: 8
; WaveLimiterHint : 1
; COMPUTE_PGM_RSRC2:SCRATCH_EN: 0
; COMPUTE_PGM_RSRC2:USER_SGPR: 2
; COMPUTE_PGM_RSRC2:TRAP_HANDLER: 0
; COMPUTE_PGM_RSRC2:TGID_X_EN: 1
; COMPUTE_PGM_RSRC2:TGID_Y_EN: 0
; COMPUTE_PGM_RSRC2:TGID_Z_EN: 0
; COMPUTE_PGM_RSRC2:TIDIG_COMP_CNT: 0
; COMPUTE_PGM_RSRC3_GFX90A:ACCUM_OFFSET: 9
; COMPUTE_PGM_RSRC3_GFX90A:TG_SPLIT: 0
	.section	.text._ZN9rocsparseL19gebsrmvn_2xn_kernelILj128ELj3ELj32EdEEvi20rocsparse_direction_NS_24const_host_device_scalarIT2_EEPKiS6_PKS3_S8_S4_PS3_21rocsparse_index_base_b,"axG",@progbits,_ZN9rocsparseL19gebsrmvn_2xn_kernelILj128ELj3ELj32EdEEvi20rocsparse_direction_NS_24const_host_device_scalarIT2_EEPKiS6_PKS3_S8_S4_PS3_21rocsparse_index_base_b,comdat
	.globl	_ZN9rocsparseL19gebsrmvn_2xn_kernelILj128ELj3ELj32EdEEvi20rocsparse_direction_NS_24const_host_device_scalarIT2_EEPKiS6_PKS3_S8_S4_PS3_21rocsparse_index_base_b ; -- Begin function _ZN9rocsparseL19gebsrmvn_2xn_kernelILj128ELj3ELj32EdEEvi20rocsparse_direction_NS_24const_host_device_scalarIT2_EEPKiS6_PKS3_S8_S4_PS3_21rocsparse_index_base_b
	.p2align	8
	.type	_ZN9rocsparseL19gebsrmvn_2xn_kernelILj128ELj3ELj32EdEEvi20rocsparse_direction_NS_24const_host_device_scalarIT2_EEPKiS6_PKS3_S8_S4_PS3_21rocsparse_index_base_b,@function
_ZN9rocsparseL19gebsrmvn_2xn_kernelILj128ELj3ELj32EdEEvi20rocsparse_direction_NS_24const_host_device_scalarIT2_EEPKiS6_PKS3_S8_S4_PS3_21rocsparse_index_base_b: ; @_ZN9rocsparseL19gebsrmvn_2xn_kernelILj128ELj3ELj32EdEEvi20rocsparse_direction_NS_24const_host_device_scalarIT2_EEPKiS6_PKS3_S8_S4_PS3_21rocsparse_index_base_b
; %bb.0:
	s_load_dwordx2 s[12:13], s[0:1], 0x40
	s_load_dwordx2 s[8:9], s[0:1], 0x8
	;; [unrolled: 1-line block ×3, first 2 shown]
	s_waitcnt lgkmcnt(0)
	s_bitcmp1_b32 s13, 0
	s_cselect_b64 s[10:11], -1, 0
	s_xor_b64 s[6:7], s[10:11], -1
	s_and_b64 vcc, exec, s[10:11]
	v_mov_b64_e32 v[2:3], s[8:9]
	s_cbranch_vccnz .LBB84_2
; %bb.1:
	v_mov_b64_e32 v[2:3], s[8:9]
	flat_load_dwordx2 v[2:3], v[2:3]
.LBB84_2:
	s_andn2_b64 vcc, exec, s[6:7]
	v_mov_b64_e32 v[4:5], s[4:5]
	s_cbranch_vccnz .LBB84_4
; %bb.3:
	v_mov_b64_e32 v[4:5], s[4:5]
	flat_load_dwordx2 v[4:5], v[4:5]
.LBB84_4:
	s_waitcnt vmcnt(0) lgkmcnt(0)
	v_cmp_neq_f64_e32 vcc, 0, v[2:3]
	v_cmp_neq_f64_e64 s[4:5], 1.0, v[4:5]
	s_or_b64 s[4:5], vcc, s[4:5]
	s_and_saveexec_b64 s[6:7], s[4:5]
	s_cbranch_execz .LBB84_23
; %bb.5:
	s_load_dwordx2 s[14:15], s[0:1], 0x0
	v_lshrrev_b32_e32 v1, 5, v0
	v_lshl_or_b32 v6, s2, 2, v1
	s_waitcnt lgkmcnt(0)
	v_cmp_gt_i32_e32 vcc, s14, v6
	s_and_b64 exec, exec, vcc
	s_cbranch_execz .LBB84_23
; %bb.6:
	s_load_dwordx8 s[4:11], s[0:1], 0x10
	v_ashrrev_i32_e32 v7, 31, v6
	s_cmp_lg_u32 s15, 0
	s_waitcnt lgkmcnt(0)
	v_lshl_add_u64 v[8:9], v[6:7], 2, s[4:5]
	global_load_dwordx2 v[8:9], v[8:9], off
	v_and_b32_e32 v7, 31, v0
	s_waitcnt vmcnt(0)
	v_subrev_u32_e32 v0, s12, v8
	v_subrev_u32_e32 v16, s12, v9
	v_add_u32_e32 v10, v0, v7
	v_cmp_lt_i32_e64 s[2:3], v10, v16
	s_cbranch_scc0 .LBB84_12
; %bb.7:
	v_mov_b64_e32 v[8:9], 0
	s_mov_b64 s[4:5], 0
	v_mov_b64_e32 v[0:1], v[8:9]
	s_and_saveexec_b64 s[14:15], s[2:3]
	s_cbranch_execz .LBB84_11
; %bb.8:
	v_mov_b64_e32 v[8:9], 0
	v_mul_lo_u32 v12, v10, 6
	s_mov_b64 s[16:17], 0
	v_mov_b32_e32 v13, 0
	v_mov_b32_e32 v14, v10
	v_mov_b64_e32 v[0:1], v[8:9]
.LBB84_9:                               ; =>This Inner Loop Header: Depth=1
	v_ashrrev_i32_e32 v15, 31, v14
	v_lshl_add_u64 v[18:19], v[14:15], 2, s[6:7]
	global_load_dword v11, v[18:19], off
	v_add_u32_e32 v22, 2, v12
	v_mov_b32_e32 v23, v13
	v_lshl_add_u64 v[18:19], v[12:13], 3, s[8:9]
	v_mov_b32_e32 v31, v13
	v_add_u32_e32 v24, 4, v12
	v_mov_b32_e32 v25, v13
	v_lshl_add_u64 v[36:37], v[22:23], 3, s[8:9]
	global_load_dwordx4 v[18:21], v[18:19], off
	v_lshl_add_u64 v[38:39], v[24:25], 3, s[8:9]
	global_load_dwordx4 v[22:25], v[36:37], off
	global_load_dwordx4 v[26:29], v[38:39], off
	v_mov_b32_e32 v33, v13
	v_mov_b32_e32 v35, v13
	v_add_u32_e32 v14, 32, v14
	v_cmp_ge_i32_e32 vcc, v14, v16
	v_add_u32_e32 v12, 0xc0, v12
	s_or_b64 s[16:17], vcc, s[16:17]
	s_waitcnt vmcnt(3)
	v_subrev_u32_e32 v11, s12, v11
	v_lshl_add_u32 v30, v11, 1, v11
	v_lshl_add_u64 v[36:37], v[30:31], 3, s[10:11]
	v_add_u32_e32 v32, 1, v30
	v_add_u32_e32 v34, 2, v30
	global_load_dwordx2 v[30:31], v[36:37], off
	v_lshl_add_u64 v[32:33], v[32:33], 3, s[10:11]
	v_lshl_add_u64 v[34:35], v[34:35], 3, s[10:11]
	global_load_dwordx2 v[36:37], v[32:33], off
	global_load_dwordx2 v[38:39], v[34:35], off
	s_waitcnt vmcnt(2)
	v_fmac_f64_e32 v[8:9], v[18:19], v[30:31]
	v_fmac_f64_e32 v[0:1], v[20:21], v[30:31]
	s_waitcnt vmcnt(1)
	v_fmac_f64_e32 v[8:9], v[22:23], v[36:37]
	v_fmac_f64_e32 v[0:1], v[24:25], v[36:37]
	;; [unrolled: 3-line block ×3, first 2 shown]
	s_andn2_b64 exec, exec, s[16:17]
	s_cbranch_execnz .LBB84_9
; %bb.10:
	s_or_b64 exec, exec, s[16:17]
.LBB84_11:
	s_or_b64 exec, exec, s[14:15]
	s_andn2_b64 vcc, exec, s[4:5]
	s_cbranch_vccz .LBB84_13
	s_branch .LBB84_18
.LBB84_12:
                                        ; implicit-def: $vgpr8_vgpr9
                                        ; implicit-def: $vgpr0_vgpr1
.LBB84_13:
	v_mov_b64_e32 v[8:9], 0
	v_mov_b64_e32 v[0:1], v[8:9]
	s_and_saveexec_b64 s[4:5], s[2:3]
	s_cbranch_execz .LBB84_17
; %bb.14:
	v_mad_u64_u32 v[12:13], s[2:3], v10, 6, 5
	v_mov_b64_e32 v[8:9], 0
	s_mov_b64 s[2:3], 0
	v_mov_b32_e32 v15, 0
	v_mov_b64_e32 v[0:1], v[8:9]
.LBB84_15:                              ; =>This Inner Loop Header: Depth=1
	v_ashrrev_i32_e32 v11, 31, v10
	v_lshl_add_u64 v[18:19], v[10:11], 2, s[6:7]
	global_load_dword v11, v[18:19], off
	v_add_u32_e32 v14, -5, v12
	v_add_u32_e32 v18, -2, v12
	v_mov_b32_e32 v19, v15
	v_mov_b32_e32 v13, v15
	v_lshl_add_u64 v[24:25], v[14:15], 3, s[8:9]
	v_lshl_add_u64 v[26:27], v[18:19], 3, s[8:9]
	v_mov_b32_e32 v23, v15
	v_lshl_add_u64 v[28:29], v[12:13], 3, s[8:9]
	global_load_dwordx4 v[18:21], v[24:25], off
	global_load_dwordx2 v[30:31], v[26:27], off
	global_load_dwordx2 v[32:33], v[28:29], off
	v_add_u32_e32 v10, 32, v10
	v_cmp_ge_i32_e32 vcc, v10, v16
	s_or_b64 s[2:3], vcc, s[2:3]
	s_waitcnt vmcnt(3)
	v_subrev_u32_e32 v11, s12, v11
	v_lshl_add_u32 v22, v11, 1, v11
	v_add_u32_e32 v14, 1, v22
	v_lshl_add_u64 v[26:27], v[14:15], 3, s[10:11]
	v_add_u32_e32 v14, -1, v12
	v_lshl_add_u64 v[24:25], v[22:23], 3, s[10:11]
	v_lshl_add_u64 v[28:29], v[14:15], 3, s[8:9]
	v_add_u32_e32 v14, -3, v12
	global_load_dwordx2 v[24:25], v[24:25], off
	v_lshl_add_u64 v[34:35], v[14:15], 3, s[8:9]
	global_load_dwordx2 v[26:27], v[26:27], off
	v_add_u32_e32 v14, 2, v22
	global_load_dwordx2 v[22:23], v[28:29], off
	global_load_dwordx2 v[36:37], v[34:35], off
	v_lshl_add_u64 v[28:29], v[14:15], 3, s[10:11]
	global_load_dwordx2 v[28:29], v[28:29], off
	v_add_u32_e32 v12, 0xc0, v12
	s_waitcnt vmcnt(4)
	v_fmac_f64_e32 v[8:9], v[18:19], v[24:25]
	v_fmac_f64_e32 v[0:1], v[30:31], v[24:25]
	s_waitcnt vmcnt(3)
	v_fmac_f64_e32 v[8:9], v[20:21], v[26:27]
	s_waitcnt vmcnt(2)
	;; [unrolled: 2-line block ×3, first 2 shown]
	v_fmac_f64_e32 v[8:9], v[36:37], v[28:29]
	v_fmac_f64_e32 v[0:1], v[32:33], v[28:29]
	s_andn2_b64 exec, exec, s[2:3]
	s_cbranch_execnz .LBB84_15
; %bb.16:
	s_or_b64 exec, exec, s[2:3]
.LBB84_17:
	s_or_b64 exec, exec, s[4:5]
.LBB84_18:
	v_mov_b32_dpp v10, v8 row_shr:1 row_mask:0xf bank_mask:0xf
	v_mov_b32_dpp v11, v9 row_shr:1 row_mask:0xf bank_mask:0xf
	;; [unrolled: 1-line block ×4, first 2 shown]
	v_add_f64 v[8:9], v[8:9], v[10:11]
	v_add_f64 v[0:1], v[0:1], v[12:13]
	v_cmp_eq_u32_e32 vcc, 31, v7
	v_mov_b32_dpp v10, v8 row_shr:2 row_mask:0xf bank_mask:0xf
	v_mov_b32_dpp v11, v9 row_shr:2 row_mask:0xf bank_mask:0xf
	v_mov_b32_dpp v12, v0 row_shr:2 row_mask:0xf bank_mask:0xf
	v_mov_b32_dpp v13, v1 row_shr:2 row_mask:0xf bank_mask:0xf
	v_add_f64 v[8:9], v[8:9], v[10:11]
	v_add_f64 v[0:1], v[0:1], v[12:13]
	s_nop 0
	v_mov_b32_dpp v10, v8 row_shr:4 row_mask:0xf bank_mask:0xe
	v_mov_b32_dpp v11, v9 row_shr:4 row_mask:0xf bank_mask:0xe
	v_mov_b32_dpp v12, v0 row_shr:4 row_mask:0xf bank_mask:0xe
	v_mov_b32_dpp v13, v1 row_shr:4 row_mask:0xf bank_mask:0xe
	v_add_f64 v[8:9], v[8:9], v[10:11]
	v_add_f64 v[0:1], v[0:1], v[12:13]
	s_nop 0
	v_mov_b32_dpp v10, v8 row_shr:8 row_mask:0xf bank_mask:0xc
	v_mov_b32_dpp v11, v9 row_shr:8 row_mask:0xf bank_mask:0xc
	v_mov_b32_dpp v12, v0 row_shr:8 row_mask:0xf bank_mask:0xc
	v_mov_b32_dpp v13, v1 row_shr:8 row_mask:0xf bank_mask:0xc
	v_add_f64 v[8:9], v[8:9], v[10:11]
	v_add_f64 v[0:1], v[0:1], v[12:13]
	s_nop 0
	v_mov_b32_dpp v10, v8 row_bcast:15 row_mask:0xa bank_mask:0xf
	v_mov_b32_dpp v11, v9 row_bcast:15 row_mask:0xa bank_mask:0xf
	;; [unrolled: 1-line block ×4, first 2 shown]
	s_and_b64 exec, exec, vcc
	s_cbranch_execz .LBB84_23
; %bb.19:
	s_load_dwordx2 s[0:1], s[0:1], 0x38
	v_add_f64 v[8:9], v[8:9], v[10:11]
	v_add_f64 v[0:1], v[0:1], v[12:13]
	v_cmp_eq_f64_e32 vcc, 0, v[4:5]
	s_and_saveexec_b64 s[2:3], vcc
	s_xor_b64 s[2:3], exec, s[2:3]
	s_cbranch_execz .LBB84_21
; %bb.20:
	v_lshlrev_b32_e32 v6, 1, v6
	v_ashrrev_i32_e32 v7, 31, v6
	v_mul_f64 v[4:5], v[2:3], v[8:9]
	s_waitcnt lgkmcnt(0)
	v_lshl_add_u64 v[8:9], v[6:7], 3, s[0:1]
	v_mul_f64 v[6:7], v[2:3], v[0:1]
	global_store_dwordx4 v[8:9], v[4:7], off
                                        ; implicit-def: $vgpr6
                                        ; implicit-def: $vgpr2_vgpr3
                                        ; implicit-def: $vgpr8_vgpr9
                                        ; implicit-def: $vgpr4_vgpr5
                                        ; implicit-def: $vgpr0_vgpr1
.LBB84_21:
	s_andn2_saveexec_b64 s[2:3], s[2:3]
	s_cbranch_execz .LBB84_23
; %bb.22:
	v_lshlrev_b32_e32 v6, 1, v6
	v_ashrrev_i32_e32 v7, 31, v6
	s_waitcnt lgkmcnt(0)
	v_lshl_add_u64 v[14:15], v[6:7], 3, s[0:1]
	global_load_dwordx4 v[10:13], v[14:15], off
	v_mul_f64 v[6:7], v[2:3], v[8:9]
	v_mul_f64 v[8:9], v[2:3], v[0:1]
	s_waitcnt vmcnt(0)
	v_fmac_f64_e32 v[6:7], v[4:5], v[10:11]
	v_fmac_f64_e32 v[8:9], v[4:5], v[12:13]
	global_store_dwordx4 v[14:15], v[6:9], off
.LBB84_23:
	s_endpgm
	.section	.rodata,"a",@progbits
	.p2align	6, 0x0
	.amdhsa_kernel _ZN9rocsparseL19gebsrmvn_2xn_kernelILj128ELj3ELj32EdEEvi20rocsparse_direction_NS_24const_host_device_scalarIT2_EEPKiS6_PKS3_S8_S4_PS3_21rocsparse_index_base_b
		.amdhsa_group_segment_fixed_size 0
		.amdhsa_private_segment_fixed_size 0
		.amdhsa_kernarg_size 72
		.amdhsa_user_sgpr_count 2
		.amdhsa_user_sgpr_dispatch_ptr 0
		.amdhsa_user_sgpr_queue_ptr 0
		.amdhsa_user_sgpr_kernarg_segment_ptr 1
		.amdhsa_user_sgpr_dispatch_id 0
		.amdhsa_user_sgpr_kernarg_preload_length 0
		.amdhsa_user_sgpr_kernarg_preload_offset 0
		.amdhsa_user_sgpr_private_segment_size 0
		.amdhsa_uses_dynamic_stack 0
		.amdhsa_enable_private_segment 0
		.amdhsa_system_sgpr_workgroup_id_x 1
		.amdhsa_system_sgpr_workgroup_id_y 0
		.amdhsa_system_sgpr_workgroup_id_z 0
		.amdhsa_system_sgpr_workgroup_info 0
		.amdhsa_system_vgpr_workitem_id 0
		.amdhsa_next_free_vgpr 40
		.amdhsa_next_free_sgpr 18
		.amdhsa_accum_offset 40
		.amdhsa_reserve_vcc 1
		.amdhsa_float_round_mode_32 0
		.amdhsa_float_round_mode_16_64 0
		.amdhsa_float_denorm_mode_32 3
		.amdhsa_float_denorm_mode_16_64 3
		.amdhsa_dx10_clamp 1
		.amdhsa_ieee_mode 1
		.amdhsa_fp16_overflow 0
		.amdhsa_tg_split 0
		.amdhsa_exception_fp_ieee_invalid_op 0
		.amdhsa_exception_fp_denorm_src 0
		.amdhsa_exception_fp_ieee_div_zero 0
		.amdhsa_exception_fp_ieee_overflow 0
		.amdhsa_exception_fp_ieee_underflow 0
		.amdhsa_exception_fp_ieee_inexact 0
		.amdhsa_exception_int_div_zero 0
	.end_amdhsa_kernel
	.section	.text._ZN9rocsparseL19gebsrmvn_2xn_kernelILj128ELj3ELj32EdEEvi20rocsparse_direction_NS_24const_host_device_scalarIT2_EEPKiS6_PKS3_S8_S4_PS3_21rocsparse_index_base_b,"axG",@progbits,_ZN9rocsparseL19gebsrmvn_2xn_kernelILj128ELj3ELj32EdEEvi20rocsparse_direction_NS_24const_host_device_scalarIT2_EEPKiS6_PKS3_S8_S4_PS3_21rocsparse_index_base_b,comdat
.Lfunc_end84:
	.size	_ZN9rocsparseL19gebsrmvn_2xn_kernelILj128ELj3ELj32EdEEvi20rocsparse_direction_NS_24const_host_device_scalarIT2_EEPKiS6_PKS3_S8_S4_PS3_21rocsparse_index_base_b, .Lfunc_end84-_ZN9rocsparseL19gebsrmvn_2xn_kernelILj128ELj3ELj32EdEEvi20rocsparse_direction_NS_24const_host_device_scalarIT2_EEPKiS6_PKS3_S8_S4_PS3_21rocsparse_index_base_b
                                        ; -- End function
	.section	.AMDGPU.csdata,"",@progbits
; Kernel info:
; codeLenInByte = 1244
; NumSgprs: 24
; NumVgprs: 40
; NumAgprs: 0
; TotalNumVgprs: 40
; ScratchSize: 0
; MemoryBound: 0
; FloatMode: 240
; IeeeMode: 1
; LDSByteSize: 0 bytes/workgroup (compile time only)
; SGPRBlocks: 2
; VGPRBlocks: 4
; NumSGPRsForWavesPerEU: 24
; NumVGPRsForWavesPerEU: 40
; AccumOffset: 40
; Occupancy: 8
; WaveLimiterHint : 1
; COMPUTE_PGM_RSRC2:SCRATCH_EN: 0
; COMPUTE_PGM_RSRC2:USER_SGPR: 2
; COMPUTE_PGM_RSRC2:TRAP_HANDLER: 0
; COMPUTE_PGM_RSRC2:TGID_X_EN: 1
; COMPUTE_PGM_RSRC2:TGID_Y_EN: 0
; COMPUTE_PGM_RSRC2:TGID_Z_EN: 0
; COMPUTE_PGM_RSRC2:TIDIG_COMP_CNT: 0
; COMPUTE_PGM_RSRC3_GFX90A:ACCUM_OFFSET: 9
; COMPUTE_PGM_RSRC3_GFX90A:TG_SPLIT: 0
	.section	.text._ZN9rocsparseL19gebsrmvn_2xn_kernelILj128ELj3ELj64EdEEvi20rocsparse_direction_NS_24const_host_device_scalarIT2_EEPKiS6_PKS3_S8_S4_PS3_21rocsparse_index_base_b,"axG",@progbits,_ZN9rocsparseL19gebsrmvn_2xn_kernelILj128ELj3ELj64EdEEvi20rocsparse_direction_NS_24const_host_device_scalarIT2_EEPKiS6_PKS3_S8_S4_PS3_21rocsparse_index_base_b,comdat
	.globl	_ZN9rocsparseL19gebsrmvn_2xn_kernelILj128ELj3ELj64EdEEvi20rocsparse_direction_NS_24const_host_device_scalarIT2_EEPKiS6_PKS3_S8_S4_PS3_21rocsparse_index_base_b ; -- Begin function _ZN9rocsparseL19gebsrmvn_2xn_kernelILj128ELj3ELj64EdEEvi20rocsparse_direction_NS_24const_host_device_scalarIT2_EEPKiS6_PKS3_S8_S4_PS3_21rocsparse_index_base_b
	.p2align	8
	.type	_ZN9rocsparseL19gebsrmvn_2xn_kernelILj128ELj3ELj64EdEEvi20rocsparse_direction_NS_24const_host_device_scalarIT2_EEPKiS6_PKS3_S8_S4_PS3_21rocsparse_index_base_b,@function
_ZN9rocsparseL19gebsrmvn_2xn_kernelILj128ELj3ELj64EdEEvi20rocsparse_direction_NS_24const_host_device_scalarIT2_EEPKiS6_PKS3_S8_S4_PS3_21rocsparse_index_base_b: ; @_ZN9rocsparseL19gebsrmvn_2xn_kernelILj128ELj3ELj64EdEEvi20rocsparse_direction_NS_24const_host_device_scalarIT2_EEPKiS6_PKS3_S8_S4_PS3_21rocsparse_index_base_b
; %bb.0:
	s_load_dwordx2 s[12:13], s[0:1], 0x40
	s_load_dwordx2 s[8:9], s[0:1], 0x8
	;; [unrolled: 1-line block ×3, first 2 shown]
	s_waitcnt lgkmcnt(0)
	s_bitcmp1_b32 s13, 0
	s_cselect_b64 s[10:11], -1, 0
	s_xor_b64 s[6:7], s[10:11], -1
	s_and_b64 vcc, exec, s[10:11]
	v_mov_b64_e32 v[2:3], s[8:9]
	s_cbranch_vccnz .LBB85_2
; %bb.1:
	v_mov_b64_e32 v[2:3], s[8:9]
	flat_load_dwordx2 v[2:3], v[2:3]
.LBB85_2:
	s_andn2_b64 vcc, exec, s[6:7]
	v_mov_b64_e32 v[4:5], s[4:5]
	s_cbranch_vccnz .LBB85_4
; %bb.3:
	v_mov_b64_e32 v[4:5], s[4:5]
	flat_load_dwordx2 v[4:5], v[4:5]
.LBB85_4:
	s_waitcnt vmcnt(0) lgkmcnt(0)
	v_cmp_neq_f64_e32 vcc, 0, v[2:3]
	v_cmp_neq_f64_e64 s[4:5], 1.0, v[4:5]
	s_or_b64 s[4:5], vcc, s[4:5]
	s_and_saveexec_b64 s[6:7], s[4:5]
	s_cbranch_execz .LBB85_23
; %bb.5:
	s_load_dwordx2 s[14:15], s[0:1], 0x0
	v_lshrrev_b32_e32 v1, 6, v0
	v_lshl_or_b32 v6, s2, 1, v1
	s_waitcnt lgkmcnt(0)
	v_cmp_gt_i32_e32 vcc, s14, v6
	s_and_b64 exec, exec, vcc
	s_cbranch_execz .LBB85_23
; %bb.6:
	s_load_dwordx8 s[4:11], s[0:1], 0x10
	v_ashrrev_i32_e32 v7, 31, v6
	s_cmp_lg_u32 s15, 0
	s_waitcnt lgkmcnt(0)
	v_lshl_add_u64 v[8:9], v[6:7], 2, s[4:5]
	global_load_dwordx2 v[8:9], v[8:9], off
	v_and_b32_e32 v7, 63, v0
	s_waitcnt vmcnt(0)
	v_subrev_u32_e32 v0, s12, v8
	v_subrev_u32_e32 v16, s12, v9
	v_add_u32_e32 v10, v0, v7
	v_cmp_lt_i32_e64 s[2:3], v10, v16
	s_cbranch_scc0 .LBB85_12
; %bb.7:
	v_mov_b64_e32 v[8:9], 0
	s_mov_b64 s[4:5], 0
	v_mov_b64_e32 v[0:1], v[8:9]
	s_and_saveexec_b64 s[14:15], s[2:3]
	s_cbranch_execz .LBB85_11
; %bb.8:
	v_mov_b64_e32 v[8:9], 0
	v_mul_lo_u32 v12, v10, 6
	s_mov_b64 s[16:17], 0
	v_mov_b32_e32 v13, 0
	v_mov_b32_e32 v14, v10
	v_mov_b64_e32 v[0:1], v[8:9]
.LBB85_9:                               ; =>This Inner Loop Header: Depth=1
	v_ashrrev_i32_e32 v15, 31, v14
	v_lshl_add_u64 v[18:19], v[14:15], 2, s[6:7]
	global_load_dword v11, v[18:19], off
	v_add_u32_e32 v22, 2, v12
	v_mov_b32_e32 v23, v13
	v_lshl_add_u64 v[18:19], v[12:13], 3, s[8:9]
	v_mov_b32_e32 v31, v13
	v_add_u32_e32 v24, 4, v12
	v_mov_b32_e32 v25, v13
	v_lshl_add_u64 v[36:37], v[22:23], 3, s[8:9]
	global_load_dwordx4 v[18:21], v[18:19], off
	v_lshl_add_u64 v[38:39], v[24:25], 3, s[8:9]
	global_load_dwordx4 v[22:25], v[36:37], off
	global_load_dwordx4 v[26:29], v[38:39], off
	v_mov_b32_e32 v33, v13
	v_mov_b32_e32 v35, v13
	v_add_u32_e32 v14, 64, v14
	v_cmp_ge_i32_e32 vcc, v14, v16
	v_add_u32_e32 v12, 0x180, v12
	s_or_b64 s[16:17], vcc, s[16:17]
	s_waitcnt vmcnt(3)
	v_subrev_u32_e32 v11, s12, v11
	v_lshl_add_u32 v30, v11, 1, v11
	v_lshl_add_u64 v[36:37], v[30:31], 3, s[10:11]
	v_add_u32_e32 v32, 1, v30
	v_add_u32_e32 v34, 2, v30
	global_load_dwordx2 v[30:31], v[36:37], off
	v_lshl_add_u64 v[32:33], v[32:33], 3, s[10:11]
	v_lshl_add_u64 v[34:35], v[34:35], 3, s[10:11]
	global_load_dwordx2 v[36:37], v[32:33], off
	global_load_dwordx2 v[38:39], v[34:35], off
	s_waitcnt vmcnt(2)
	v_fmac_f64_e32 v[8:9], v[18:19], v[30:31]
	v_fmac_f64_e32 v[0:1], v[20:21], v[30:31]
	s_waitcnt vmcnt(1)
	v_fmac_f64_e32 v[8:9], v[22:23], v[36:37]
	v_fmac_f64_e32 v[0:1], v[24:25], v[36:37]
	;; [unrolled: 3-line block ×3, first 2 shown]
	s_andn2_b64 exec, exec, s[16:17]
	s_cbranch_execnz .LBB85_9
; %bb.10:
	s_or_b64 exec, exec, s[16:17]
.LBB85_11:
	s_or_b64 exec, exec, s[14:15]
	s_andn2_b64 vcc, exec, s[4:5]
	s_cbranch_vccz .LBB85_13
	s_branch .LBB85_18
.LBB85_12:
                                        ; implicit-def: $vgpr8_vgpr9
                                        ; implicit-def: $vgpr0_vgpr1
.LBB85_13:
	v_mov_b64_e32 v[8:9], 0
	v_mov_b64_e32 v[0:1], v[8:9]
	s_and_saveexec_b64 s[4:5], s[2:3]
	s_cbranch_execz .LBB85_17
; %bb.14:
	v_mad_u64_u32 v[12:13], s[2:3], v10, 6, 5
	v_mov_b64_e32 v[8:9], 0
	s_mov_b64 s[2:3], 0
	v_mov_b32_e32 v15, 0
	v_mov_b64_e32 v[0:1], v[8:9]
.LBB85_15:                              ; =>This Inner Loop Header: Depth=1
	v_ashrrev_i32_e32 v11, 31, v10
	v_lshl_add_u64 v[18:19], v[10:11], 2, s[6:7]
	global_load_dword v11, v[18:19], off
	v_add_u32_e32 v14, -5, v12
	v_add_u32_e32 v18, -2, v12
	v_mov_b32_e32 v19, v15
	v_mov_b32_e32 v13, v15
	v_lshl_add_u64 v[24:25], v[14:15], 3, s[8:9]
	v_lshl_add_u64 v[26:27], v[18:19], 3, s[8:9]
	v_mov_b32_e32 v23, v15
	v_lshl_add_u64 v[28:29], v[12:13], 3, s[8:9]
	global_load_dwordx4 v[18:21], v[24:25], off
	global_load_dwordx2 v[30:31], v[26:27], off
	global_load_dwordx2 v[32:33], v[28:29], off
	v_add_u32_e32 v10, 64, v10
	v_cmp_ge_i32_e32 vcc, v10, v16
	s_or_b64 s[2:3], vcc, s[2:3]
	s_waitcnt vmcnt(3)
	v_subrev_u32_e32 v11, s12, v11
	v_lshl_add_u32 v22, v11, 1, v11
	v_add_u32_e32 v14, 1, v22
	v_lshl_add_u64 v[26:27], v[14:15], 3, s[10:11]
	v_add_u32_e32 v14, -1, v12
	v_lshl_add_u64 v[24:25], v[22:23], 3, s[10:11]
	v_lshl_add_u64 v[28:29], v[14:15], 3, s[8:9]
	v_add_u32_e32 v14, -3, v12
	global_load_dwordx2 v[24:25], v[24:25], off
	v_lshl_add_u64 v[34:35], v[14:15], 3, s[8:9]
	global_load_dwordx2 v[26:27], v[26:27], off
	v_add_u32_e32 v14, 2, v22
	global_load_dwordx2 v[22:23], v[28:29], off
	global_load_dwordx2 v[36:37], v[34:35], off
	v_lshl_add_u64 v[28:29], v[14:15], 3, s[10:11]
	global_load_dwordx2 v[28:29], v[28:29], off
	v_add_u32_e32 v12, 0x180, v12
	s_waitcnt vmcnt(4)
	v_fmac_f64_e32 v[8:9], v[18:19], v[24:25]
	v_fmac_f64_e32 v[0:1], v[30:31], v[24:25]
	s_waitcnt vmcnt(3)
	v_fmac_f64_e32 v[8:9], v[20:21], v[26:27]
	s_waitcnt vmcnt(2)
	;; [unrolled: 2-line block ×3, first 2 shown]
	v_fmac_f64_e32 v[8:9], v[36:37], v[28:29]
	v_fmac_f64_e32 v[0:1], v[32:33], v[28:29]
	s_andn2_b64 exec, exec, s[2:3]
	s_cbranch_execnz .LBB85_15
; %bb.16:
	s_or_b64 exec, exec, s[2:3]
.LBB85_17:
	s_or_b64 exec, exec, s[4:5]
.LBB85_18:
	v_mov_b32_dpp v10, v8 row_shr:1 row_mask:0xf bank_mask:0xf
	v_mov_b32_dpp v11, v9 row_shr:1 row_mask:0xf bank_mask:0xf
	v_mov_b32_dpp v12, v0 row_shr:1 row_mask:0xf bank_mask:0xf
	v_mov_b32_dpp v13, v1 row_shr:1 row_mask:0xf bank_mask:0xf
	v_add_f64 v[8:9], v[8:9], v[10:11]
	v_add_f64 v[0:1], v[0:1], v[12:13]
	v_cmp_eq_u32_e32 vcc, 63, v7
	v_mov_b32_dpp v10, v8 row_shr:2 row_mask:0xf bank_mask:0xf
	v_mov_b32_dpp v11, v9 row_shr:2 row_mask:0xf bank_mask:0xf
	v_mov_b32_dpp v12, v0 row_shr:2 row_mask:0xf bank_mask:0xf
	v_mov_b32_dpp v13, v1 row_shr:2 row_mask:0xf bank_mask:0xf
	v_add_f64 v[8:9], v[8:9], v[10:11]
	v_add_f64 v[0:1], v[0:1], v[12:13]
	s_nop 0
	v_mov_b32_dpp v10, v8 row_shr:4 row_mask:0xf bank_mask:0xe
	v_mov_b32_dpp v11, v9 row_shr:4 row_mask:0xf bank_mask:0xe
	v_mov_b32_dpp v12, v0 row_shr:4 row_mask:0xf bank_mask:0xe
	v_mov_b32_dpp v13, v1 row_shr:4 row_mask:0xf bank_mask:0xe
	v_add_f64 v[8:9], v[8:9], v[10:11]
	v_add_f64 v[0:1], v[0:1], v[12:13]
	s_nop 0
	;; [unrolled: 7-line block ×3, first 2 shown]
	v_mov_b32_dpp v10, v8 row_bcast:15 row_mask:0xa bank_mask:0xf
	v_mov_b32_dpp v11, v9 row_bcast:15 row_mask:0xa bank_mask:0xf
	;; [unrolled: 1-line block ×4, first 2 shown]
	v_add_f64 v[8:9], v[8:9], v[10:11]
	v_add_f64 v[0:1], v[0:1], v[12:13]
	s_nop 0
	v_mov_b32_dpp v10, v8 row_bcast:31 row_mask:0xc bank_mask:0xf
	v_mov_b32_dpp v11, v9 row_bcast:31 row_mask:0xc bank_mask:0xf
	;; [unrolled: 1-line block ×4, first 2 shown]
	s_and_b64 exec, exec, vcc
	s_cbranch_execz .LBB85_23
; %bb.19:
	s_load_dwordx2 s[0:1], s[0:1], 0x38
	v_add_f64 v[8:9], v[8:9], v[10:11]
	v_add_f64 v[0:1], v[0:1], v[12:13]
	v_cmp_eq_f64_e32 vcc, 0, v[4:5]
	s_and_saveexec_b64 s[2:3], vcc
	s_xor_b64 s[2:3], exec, s[2:3]
	s_cbranch_execz .LBB85_21
; %bb.20:
	v_lshlrev_b32_e32 v6, 1, v6
	v_ashrrev_i32_e32 v7, 31, v6
	v_mul_f64 v[4:5], v[2:3], v[8:9]
	s_waitcnt lgkmcnt(0)
	v_lshl_add_u64 v[8:9], v[6:7], 3, s[0:1]
	v_mul_f64 v[6:7], v[2:3], v[0:1]
	global_store_dwordx4 v[8:9], v[4:7], off
                                        ; implicit-def: $vgpr6
                                        ; implicit-def: $vgpr2_vgpr3
                                        ; implicit-def: $vgpr8_vgpr9
                                        ; implicit-def: $vgpr4_vgpr5
                                        ; implicit-def: $vgpr0_vgpr1
.LBB85_21:
	s_andn2_saveexec_b64 s[2:3], s[2:3]
	s_cbranch_execz .LBB85_23
; %bb.22:
	v_lshlrev_b32_e32 v6, 1, v6
	v_ashrrev_i32_e32 v7, 31, v6
	s_waitcnt lgkmcnt(0)
	v_lshl_add_u64 v[14:15], v[6:7], 3, s[0:1]
	global_load_dwordx4 v[10:13], v[14:15], off
	v_mul_f64 v[6:7], v[2:3], v[8:9]
	v_mul_f64 v[8:9], v[2:3], v[0:1]
	s_waitcnt vmcnt(0)
	v_fmac_f64_e32 v[6:7], v[4:5], v[10:11]
	v_fmac_f64_e32 v[8:9], v[4:5], v[12:13]
	global_store_dwordx4 v[14:15], v[6:9], off
.LBB85_23:
	s_endpgm
	.section	.rodata,"a",@progbits
	.p2align	6, 0x0
	.amdhsa_kernel _ZN9rocsparseL19gebsrmvn_2xn_kernelILj128ELj3ELj64EdEEvi20rocsparse_direction_NS_24const_host_device_scalarIT2_EEPKiS6_PKS3_S8_S4_PS3_21rocsparse_index_base_b
		.amdhsa_group_segment_fixed_size 0
		.amdhsa_private_segment_fixed_size 0
		.amdhsa_kernarg_size 72
		.amdhsa_user_sgpr_count 2
		.amdhsa_user_sgpr_dispatch_ptr 0
		.amdhsa_user_sgpr_queue_ptr 0
		.amdhsa_user_sgpr_kernarg_segment_ptr 1
		.amdhsa_user_sgpr_dispatch_id 0
		.amdhsa_user_sgpr_kernarg_preload_length 0
		.amdhsa_user_sgpr_kernarg_preload_offset 0
		.amdhsa_user_sgpr_private_segment_size 0
		.amdhsa_uses_dynamic_stack 0
		.amdhsa_enable_private_segment 0
		.amdhsa_system_sgpr_workgroup_id_x 1
		.amdhsa_system_sgpr_workgroup_id_y 0
		.amdhsa_system_sgpr_workgroup_id_z 0
		.amdhsa_system_sgpr_workgroup_info 0
		.amdhsa_system_vgpr_workitem_id 0
		.amdhsa_next_free_vgpr 40
		.amdhsa_next_free_sgpr 18
		.amdhsa_accum_offset 40
		.amdhsa_reserve_vcc 1
		.amdhsa_float_round_mode_32 0
		.amdhsa_float_round_mode_16_64 0
		.amdhsa_float_denorm_mode_32 3
		.amdhsa_float_denorm_mode_16_64 3
		.amdhsa_dx10_clamp 1
		.amdhsa_ieee_mode 1
		.amdhsa_fp16_overflow 0
		.amdhsa_tg_split 0
		.amdhsa_exception_fp_ieee_invalid_op 0
		.amdhsa_exception_fp_denorm_src 0
		.amdhsa_exception_fp_ieee_div_zero 0
		.amdhsa_exception_fp_ieee_overflow 0
		.amdhsa_exception_fp_ieee_underflow 0
		.amdhsa_exception_fp_ieee_inexact 0
		.amdhsa_exception_int_div_zero 0
	.end_amdhsa_kernel
	.section	.text._ZN9rocsparseL19gebsrmvn_2xn_kernelILj128ELj3ELj64EdEEvi20rocsparse_direction_NS_24const_host_device_scalarIT2_EEPKiS6_PKS3_S8_S4_PS3_21rocsparse_index_base_b,"axG",@progbits,_ZN9rocsparseL19gebsrmvn_2xn_kernelILj128ELj3ELj64EdEEvi20rocsparse_direction_NS_24const_host_device_scalarIT2_EEPKiS6_PKS3_S8_S4_PS3_21rocsparse_index_base_b,comdat
.Lfunc_end85:
	.size	_ZN9rocsparseL19gebsrmvn_2xn_kernelILj128ELj3ELj64EdEEvi20rocsparse_direction_NS_24const_host_device_scalarIT2_EEPKiS6_PKS3_S8_S4_PS3_21rocsparse_index_base_b, .Lfunc_end85-_ZN9rocsparseL19gebsrmvn_2xn_kernelILj128ELj3ELj64EdEEvi20rocsparse_direction_NS_24const_host_device_scalarIT2_EEPKiS6_PKS3_S8_S4_PS3_21rocsparse_index_base_b
                                        ; -- End function
	.section	.AMDGPU.csdata,"",@progbits
; Kernel info:
; codeLenInByte = 1296
; NumSgprs: 24
; NumVgprs: 40
; NumAgprs: 0
; TotalNumVgprs: 40
; ScratchSize: 0
; MemoryBound: 0
; FloatMode: 240
; IeeeMode: 1
; LDSByteSize: 0 bytes/workgroup (compile time only)
; SGPRBlocks: 2
; VGPRBlocks: 4
; NumSGPRsForWavesPerEU: 24
; NumVGPRsForWavesPerEU: 40
; AccumOffset: 40
; Occupancy: 8
; WaveLimiterHint : 1
; COMPUTE_PGM_RSRC2:SCRATCH_EN: 0
; COMPUTE_PGM_RSRC2:USER_SGPR: 2
; COMPUTE_PGM_RSRC2:TRAP_HANDLER: 0
; COMPUTE_PGM_RSRC2:TGID_X_EN: 1
; COMPUTE_PGM_RSRC2:TGID_Y_EN: 0
; COMPUTE_PGM_RSRC2:TGID_Z_EN: 0
; COMPUTE_PGM_RSRC2:TIDIG_COMP_CNT: 0
; COMPUTE_PGM_RSRC3_GFX90A:ACCUM_OFFSET: 9
; COMPUTE_PGM_RSRC3_GFX90A:TG_SPLIT: 0
	.section	.text._ZN9rocsparseL19gebsrmvn_2xn_kernelILj128ELj4ELj4EdEEvi20rocsparse_direction_NS_24const_host_device_scalarIT2_EEPKiS6_PKS3_S8_S4_PS3_21rocsparse_index_base_b,"axG",@progbits,_ZN9rocsparseL19gebsrmvn_2xn_kernelILj128ELj4ELj4EdEEvi20rocsparse_direction_NS_24const_host_device_scalarIT2_EEPKiS6_PKS3_S8_S4_PS3_21rocsparse_index_base_b,comdat
	.globl	_ZN9rocsparseL19gebsrmvn_2xn_kernelILj128ELj4ELj4EdEEvi20rocsparse_direction_NS_24const_host_device_scalarIT2_EEPKiS6_PKS3_S8_S4_PS3_21rocsparse_index_base_b ; -- Begin function _ZN9rocsparseL19gebsrmvn_2xn_kernelILj128ELj4ELj4EdEEvi20rocsparse_direction_NS_24const_host_device_scalarIT2_EEPKiS6_PKS3_S8_S4_PS3_21rocsparse_index_base_b
	.p2align	8
	.type	_ZN9rocsparseL19gebsrmvn_2xn_kernelILj128ELj4ELj4EdEEvi20rocsparse_direction_NS_24const_host_device_scalarIT2_EEPKiS6_PKS3_S8_S4_PS3_21rocsparse_index_base_b,@function
_ZN9rocsparseL19gebsrmvn_2xn_kernelILj128ELj4ELj4EdEEvi20rocsparse_direction_NS_24const_host_device_scalarIT2_EEPKiS6_PKS3_S8_S4_PS3_21rocsparse_index_base_b: ; @_ZN9rocsparseL19gebsrmvn_2xn_kernelILj128ELj4ELj4EdEEvi20rocsparse_direction_NS_24const_host_device_scalarIT2_EEPKiS6_PKS3_S8_S4_PS3_21rocsparse_index_base_b
; %bb.0:
	s_load_dwordx2 s[12:13], s[0:1], 0x40
	s_load_dwordx2 s[8:9], s[0:1], 0x8
	;; [unrolled: 1-line block ×3, first 2 shown]
	s_waitcnt lgkmcnt(0)
	s_bitcmp1_b32 s13, 0
	s_cselect_b64 s[10:11], -1, 0
	s_xor_b64 s[6:7], s[10:11], -1
	s_and_b64 vcc, exec, s[10:11]
	v_mov_b64_e32 v[2:3], s[8:9]
	s_cbranch_vccnz .LBB86_2
; %bb.1:
	v_mov_b64_e32 v[2:3], s[8:9]
	flat_load_dwordx2 v[2:3], v[2:3]
.LBB86_2:
	s_andn2_b64 vcc, exec, s[6:7]
	v_mov_b64_e32 v[4:5], s[4:5]
	s_cbranch_vccnz .LBB86_4
; %bb.3:
	v_mov_b64_e32 v[4:5], s[4:5]
	flat_load_dwordx2 v[4:5], v[4:5]
.LBB86_4:
	s_waitcnt vmcnt(0) lgkmcnt(0)
	v_cmp_neq_f64_e32 vcc, 0, v[2:3]
	v_cmp_neq_f64_e64 s[4:5], 1.0, v[4:5]
	s_or_b64 s[4:5], vcc, s[4:5]
	s_and_saveexec_b64 s[6:7], s[4:5]
	s_cbranch_execz .LBB86_23
; %bb.5:
	s_load_dwordx2 s[14:15], s[0:1], 0x0
	v_lshrrev_b32_e32 v1, 2, v0
	v_lshl_or_b32 v6, s2, 5, v1
	s_waitcnt lgkmcnt(0)
	v_cmp_gt_i32_e32 vcc, s14, v6
	s_and_b64 exec, exec, vcc
	s_cbranch_execz .LBB86_23
; %bb.6:
	s_load_dwordx8 s[4:11], s[0:1], 0x10
	v_ashrrev_i32_e32 v7, 31, v6
	s_cmp_lg_u32 s15, 0
	s_waitcnt lgkmcnt(0)
	v_lshl_add_u64 v[8:9], v[6:7], 2, s[4:5]
	global_load_dwordx2 v[8:9], v[8:9], off
	v_and_b32_e32 v7, 3, v0
	s_waitcnt vmcnt(0)
	v_subrev_u32_e32 v0, s12, v8
	v_subrev_u32_e32 v16, s12, v9
	v_add_u32_e32 v8, v0, v7
	v_cmp_lt_i32_e64 s[2:3], v8, v16
	s_cbranch_scc0 .LBB86_12
; %bb.7:
	v_mov_b64_e32 v[0:1], 0
	s_mov_b64 s[4:5], 0
	v_mov_b64_e32 v[10:11], v[0:1]
	s_and_saveexec_b64 s[14:15], s[2:3]
	s_cbranch_execz .LBB86_11
; %bb.8:
	v_mov_b64_e32 v[0:1], 0
	v_lshlrev_b32_e32 v12, 3, v8
	s_mov_b64 s[16:17], 0
	v_mov_b32_e32 v13, 0
	v_mov_b32_e32 v14, v8
	v_mov_b64_e32 v[10:11], v[0:1]
.LBB86_9:                               ; =>This Inner Loop Header: Depth=1
	v_ashrrev_i32_e32 v15, 31, v14
	v_lshl_add_u64 v[18:19], v[14:15], 2, s[6:7]
	global_load_dword v9, v[18:19], off
	v_lshl_add_u64 v[42:43], v[12:13], 3, s[8:9]
	global_load_dwordx4 v[18:21], v[42:43], off offset:16
	global_load_dwordx4 v[22:25], v[42:43], off
	v_mov_b32_e32 v27, v13
	v_add_u32_e32 v14, 4, v14
	v_cmp_ge_i32_e32 vcc, v14, v16
	v_add_u32_e32 v12, 32, v12
	s_or_b64 s[16:17], vcc, s[16:17]
	s_waitcnt vmcnt(2)
	v_subrev_u32_e32 v9, s12, v9
	v_lshlrev_b32_e32 v26, 2, v9
	v_lshl_add_u64 v[44:45], v[26:27], 3, s[10:11]
	global_load_dwordx4 v[26:29], v[44:45], off
	global_load_dwordx4 v[30:33], v[44:45], off offset:16
	global_load_dwordx4 v[34:37], v[42:43], off offset:32
	;; [unrolled: 1-line block ×3, first 2 shown]
	s_waitcnt vmcnt(3)
	v_fmac_f64_e32 v[0:1], v[22:23], v[26:27]
	v_fmac_f64_e32 v[10:11], v[24:25], v[26:27]
	;; [unrolled: 1-line block ×4, first 2 shown]
	s_waitcnt vmcnt(1)
	v_fmac_f64_e32 v[0:1], v[34:35], v[30:31]
	v_fmac_f64_e32 v[10:11], v[36:37], v[30:31]
	s_waitcnt vmcnt(0)
	v_fmac_f64_e32 v[0:1], v[38:39], v[32:33]
	v_fmac_f64_e32 v[10:11], v[40:41], v[32:33]
	s_andn2_b64 exec, exec, s[16:17]
	s_cbranch_execnz .LBB86_9
; %bb.10:
	s_or_b64 exec, exec, s[16:17]
.LBB86_11:
	s_or_b64 exec, exec, s[14:15]
	s_andn2_b64 vcc, exec, s[4:5]
	s_cbranch_vccz .LBB86_13
	s_branch .LBB86_18
.LBB86_12:
                                        ; implicit-def: $vgpr0_vgpr1
                                        ; implicit-def: $vgpr10_vgpr11
.LBB86_13:
	v_mov_b64_e32 v[0:1], 0
	v_mov_b64_e32 v[10:11], v[0:1]
	s_and_saveexec_b64 s[4:5], s[2:3]
	s_cbranch_execz .LBB86_17
; %bb.14:
	v_mov_b64_e32 v[0:1], 0
	v_lshlrev_b32_e32 v12, 3, v8
	s_mov_b64 s[2:3], 0
	v_mov_b32_e32 v13, 0
	v_mov_b64_e32 v[10:11], v[0:1]
.LBB86_15:                              ; =>This Inner Loop Header: Depth=1
	v_ashrrev_i32_e32 v9, 31, v8
	v_lshl_add_u64 v[14:15], v[8:9], 2, s[6:7]
	global_load_dword v9, v[14:15], off
	v_lshl_add_u64 v[14:15], v[12:13], 3, s[8:9]
	v_mov_b32_e32 v35, v13
	global_load_dwordx4 v[18:21], v[14:15], off offset:48
	global_load_dwordx4 v[22:25], v[14:15], off offset:32
	;; [unrolled: 1-line block ×3, first 2 shown]
	global_load_dwordx4 v[30:33], v[14:15], off
	v_add_u32_e32 v8, 4, v8
	v_cmp_ge_i32_e32 vcc, v8, v16
	v_add_u32_e32 v12, 32, v12
	s_or_b64 s[2:3], vcc, s[2:3]
	s_waitcnt vmcnt(4)
	v_subrev_u32_e32 v9, s12, v9
	v_lshlrev_b32_e32 v34, 2, v9
	v_lshl_add_u64 v[14:15], v[34:35], 3, s[10:11]
	global_load_dwordx4 v[34:37], v[14:15], off
	global_load_dwordx4 v[38:41], v[14:15], off offset:16
	s_waitcnt vmcnt(1)
	v_fmac_f64_e32 v[0:1], v[30:31], v[34:35]
	v_fmac_f64_e32 v[10:11], v[22:23], v[34:35]
	;; [unrolled: 1-line block ×4, first 2 shown]
	s_waitcnt vmcnt(0)
	v_fmac_f64_e32 v[0:1], v[26:27], v[38:39]
	v_fmac_f64_e32 v[10:11], v[18:19], v[38:39]
	;; [unrolled: 1-line block ×4, first 2 shown]
	s_andn2_b64 exec, exec, s[2:3]
	s_cbranch_execnz .LBB86_15
; %bb.16:
	s_or_b64 exec, exec, s[2:3]
.LBB86_17:
	s_or_b64 exec, exec, s[4:5]
.LBB86_18:
	v_mov_b32_dpp v8, v0 row_shr:1 row_mask:0xf bank_mask:0xf
	v_mov_b32_dpp v9, v1 row_shr:1 row_mask:0xf bank_mask:0xf
	;; [unrolled: 1-line block ×4, first 2 shown]
	v_add_f64 v[0:1], v[0:1], v[8:9]
	v_add_f64 v[10:11], v[10:11], v[12:13]
	v_cmp_eq_u32_e32 vcc, 3, v7
	v_mov_b32_dpp v8, v0 row_shr:2 row_mask:0xf bank_mask:0xf
	v_mov_b32_dpp v9, v1 row_shr:2 row_mask:0xf bank_mask:0xf
	v_mov_b32_dpp v12, v10 row_shr:2 row_mask:0xf bank_mask:0xf
	v_mov_b32_dpp v13, v11 row_shr:2 row_mask:0xf bank_mask:0xf
	s_and_b64 exec, exec, vcc
	s_cbranch_execz .LBB86_23
; %bb.19:
	s_load_dwordx2 s[0:1], s[0:1], 0x38
	v_add_f64 v[8:9], v[0:1], v[8:9]
	v_add_f64 v[0:1], v[10:11], v[12:13]
	v_cmp_eq_f64_e32 vcc, 0, v[4:5]
	s_and_saveexec_b64 s[2:3], vcc
	s_xor_b64 s[2:3], exec, s[2:3]
	s_cbranch_execz .LBB86_21
; %bb.20:
	v_lshlrev_b32_e32 v6, 1, v6
	v_ashrrev_i32_e32 v7, 31, v6
	v_mul_f64 v[4:5], v[2:3], v[8:9]
	s_waitcnt lgkmcnt(0)
	v_lshl_add_u64 v[8:9], v[6:7], 3, s[0:1]
	v_mul_f64 v[6:7], v[2:3], v[0:1]
	global_store_dwordx4 v[8:9], v[4:7], off
                                        ; implicit-def: $vgpr6
                                        ; implicit-def: $vgpr2_vgpr3
                                        ; implicit-def: $vgpr8_vgpr9
                                        ; implicit-def: $vgpr4_vgpr5
                                        ; implicit-def: $vgpr0_vgpr1
.LBB86_21:
	s_andn2_saveexec_b64 s[2:3], s[2:3]
	s_cbranch_execz .LBB86_23
; %bb.22:
	v_lshlrev_b32_e32 v6, 1, v6
	v_ashrrev_i32_e32 v7, 31, v6
	s_waitcnt lgkmcnt(0)
	v_lshl_add_u64 v[14:15], v[6:7], 3, s[0:1]
	global_load_dwordx4 v[10:13], v[14:15], off
	v_mul_f64 v[6:7], v[2:3], v[8:9]
	v_mul_f64 v[8:9], v[2:3], v[0:1]
	s_waitcnt vmcnt(0)
	v_fmac_f64_e32 v[6:7], v[4:5], v[10:11]
	v_fmac_f64_e32 v[8:9], v[4:5], v[12:13]
	global_store_dwordx4 v[14:15], v[6:9], off
.LBB86_23:
	s_endpgm
	.section	.rodata,"a",@progbits
	.p2align	6, 0x0
	.amdhsa_kernel _ZN9rocsparseL19gebsrmvn_2xn_kernelILj128ELj4ELj4EdEEvi20rocsparse_direction_NS_24const_host_device_scalarIT2_EEPKiS6_PKS3_S8_S4_PS3_21rocsparse_index_base_b
		.amdhsa_group_segment_fixed_size 0
		.amdhsa_private_segment_fixed_size 0
		.amdhsa_kernarg_size 72
		.amdhsa_user_sgpr_count 2
		.amdhsa_user_sgpr_dispatch_ptr 0
		.amdhsa_user_sgpr_queue_ptr 0
		.amdhsa_user_sgpr_kernarg_segment_ptr 1
		.amdhsa_user_sgpr_dispatch_id 0
		.amdhsa_user_sgpr_kernarg_preload_length 0
		.amdhsa_user_sgpr_kernarg_preload_offset 0
		.amdhsa_user_sgpr_private_segment_size 0
		.amdhsa_uses_dynamic_stack 0
		.amdhsa_enable_private_segment 0
		.amdhsa_system_sgpr_workgroup_id_x 1
		.amdhsa_system_sgpr_workgroup_id_y 0
		.amdhsa_system_sgpr_workgroup_id_z 0
		.amdhsa_system_sgpr_workgroup_info 0
		.amdhsa_system_vgpr_workitem_id 0
		.amdhsa_next_free_vgpr 46
		.amdhsa_next_free_sgpr 18
		.amdhsa_accum_offset 48
		.amdhsa_reserve_vcc 1
		.amdhsa_float_round_mode_32 0
		.amdhsa_float_round_mode_16_64 0
		.amdhsa_float_denorm_mode_32 3
		.amdhsa_float_denorm_mode_16_64 3
		.amdhsa_dx10_clamp 1
		.amdhsa_ieee_mode 1
		.amdhsa_fp16_overflow 0
		.amdhsa_tg_split 0
		.amdhsa_exception_fp_ieee_invalid_op 0
		.amdhsa_exception_fp_denorm_src 0
		.amdhsa_exception_fp_ieee_div_zero 0
		.amdhsa_exception_fp_ieee_overflow 0
		.amdhsa_exception_fp_ieee_underflow 0
		.amdhsa_exception_fp_ieee_inexact 0
		.amdhsa_exception_int_div_zero 0
	.end_amdhsa_kernel
	.section	.text._ZN9rocsparseL19gebsrmvn_2xn_kernelILj128ELj4ELj4EdEEvi20rocsparse_direction_NS_24const_host_device_scalarIT2_EEPKiS6_PKS3_S8_S4_PS3_21rocsparse_index_base_b,"axG",@progbits,_ZN9rocsparseL19gebsrmvn_2xn_kernelILj128ELj4ELj4EdEEvi20rocsparse_direction_NS_24const_host_device_scalarIT2_EEPKiS6_PKS3_S8_S4_PS3_21rocsparse_index_base_b,comdat
.Lfunc_end86:
	.size	_ZN9rocsparseL19gebsrmvn_2xn_kernelILj128ELj4ELj4EdEEvi20rocsparse_direction_NS_24const_host_device_scalarIT2_EEPKiS6_PKS3_S8_S4_PS3_21rocsparse_index_base_b, .Lfunc_end86-_ZN9rocsparseL19gebsrmvn_2xn_kernelILj128ELj4ELj4EdEEvi20rocsparse_direction_NS_24const_host_device_scalarIT2_EEPKiS6_PKS3_S8_S4_PS3_21rocsparse_index_base_b
                                        ; -- End function
	.section	.AMDGPU.csdata,"",@progbits
; Kernel info:
; codeLenInByte = 912
; NumSgprs: 24
; NumVgprs: 46
; NumAgprs: 0
; TotalNumVgprs: 46
; ScratchSize: 0
; MemoryBound: 1
; FloatMode: 240
; IeeeMode: 1
; LDSByteSize: 0 bytes/workgroup (compile time only)
; SGPRBlocks: 2
; VGPRBlocks: 5
; NumSGPRsForWavesPerEU: 24
; NumVGPRsForWavesPerEU: 46
; AccumOffset: 48
; Occupancy: 8
; WaveLimiterHint : 1
; COMPUTE_PGM_RSRC2:SCRATCH_EN: 0
; COMPUTE_PGM_RSRC2:USER_SGPR: 2
; COMPUTE_PGM_RSRC2:TRAP_HANDLER: 0
; COMPUTE_PGM_RSRC2:TGID_X_EN: 1
; COMPUTE_PGM_RSRC2:TGID_Y_EN: 0
; COMPUTE_PGM_RSRC2:TGID_Z_EN: 0
; COMPUTE_PGM_RSRC2:TIDIG_COMP_CNT: 0
; COMPUTE_PGM_RSRC3_GFX90A:ACCUM_OFFSET: 11
; COMPUTE_PGM_RSRC3_GFX90A:TG_SPLIT: 0
	.section	.text._ZN9rocsparseL19gebsrmvn_2xn_kernelILj128ELj4ELj8EdEEvi20rocsparse_direction_NS_24const_host_device_scalarIT2_EEPKiS6_PKS3_S8_S4_PS3_21rocsparse_index_base_b,"axG",@progbits,_ZN9rocsparseL19gebsrmvn_2xn_kernelILj128ELj4ELj8EdEEvi20rocsparse_direction_NS_24const_host_device_scalarIT2_EEPKiS6_PKS3_S8_S4_PS3_21rocsparse_index_base_b,comdat
	.globl	_ZN9rocsparseL19gebsrmvn_2xn_kernelILj128ELj4ELj8EdEEvi20rocsparse_direction_NS_24const_host_device_scalarIT2_EEPKiS6_PKS3_S8_S4_PS3_21rocsparse_index_base_b ; -- Begin function _ZN9rocsparseL19gebsrmvn_2xn_kernelILj128ELj4ELj8EdEEvi20rocsparse_direction_NS_24const_host_device_scalarIT2_EEPKiS6_PKS3_S8_S4_PS3_21rocsparse_index_base_b
	.p2align	8
	.type	_ZN9rocsparseL19gebsrmvn_2xn_kernelILj128ELj4ELj8EdEEvi20rocsparse_direction_NS_24const_host_device_scalarIT2_EEPKiS6_PKS3_S8_S4_PS3_21rocsparse_index_base_b,@function
_ZN9rocsparseL19gebsrmvn_2xn_kernelILj128ELj4ELj8EdEEvi20rocsparse_direction_NS_24const_host_device_scalarIT2_EEPKiS6_PKS3_S8_S4_PS3_21rocsparse_index_base_b: ; @_ZN9rocsparseL19gebsrmvn_2xn_kernelILj128ELj4ELj8EdEEvi20rocsparse_direction_NS_24const_host_device_scalarIT2_EEPKiS6_PKS3_S8_S4_PS3_21rocsparse_index_base_b
; %bb.0:
	s_load_dwordx2 s[12:13], s[0:1], 0x40
	s_load_dwordx2 s[8:9], s[0:1], 0x8
	;; [unrolled: 1-line block ×3, first 2 shown]
	s_waitcnt lgkmcnt(0)
	s_bitcmp1_b32 s13, 0
	s_cselect_b64 s[10:11], -1, 0
	s_xor_b64 s[6:7], s[10:11], -1
	s_and_b64 vcc, exec, s[10:11]
	v_mov_b64_e32 v[2:3], s[8:9]
	s_cbranch_vccnz .LBB87_2
; %bb.1:
	v_mov_b64_e32 v[2:3], s[8:9]
	flat_load_dwordx2 v[2:3], v[2:3]
.LBB87_2:
	s_andn2_b64 vcc, exec, s[6:7]
	v_mov_b64_e32 v[4:5], s[4:5]
	s_cbranch_vccnz .LBB87_4
; %bb.3:
	v_mov_b64_e32 v[4:5], s[4:5]
	flat_load_dwordx2 v[4:5], v[4:5]
.LBB87_4:
	s_waitcnt vmcnt(0) lgkmcnt(0)
	v_cmp_neq_f64_e32 vcc, 0, v[2:3]
	v_cmp_neq_f64_e64 s[4:5], 1.0, v[4:5]
	s_or_b64 s[4:5], vcc, s[4:5]
	s_and_saveexec_b64 s[6:7], s[4:5]
	s_cbranch_execz .LBB87_23
; %bb.5:
	s_load_dwordx2 s[14:15], s[0:1], 0x0
	v_lshrrev_b32_e32 v1, 3, v0
	v_lshl_or_b32 v6, s2, 4, v1
	s_waitcnt lgkmcnt(0)
	v_cmp_gt_i32_e32 vcc, s14, v6
	s_and_b64 exec, exec, vcc
	s_cbranch_execz .LBB87_23
; %bb.6:
	s_load_dwordx8 s[4:11], s[0:1], 0x10
	v_ashrrev_i32_e32 v7, 31, v6
	s_cmp_lg_u32 s15, 0
	s_waitcnt lgkmcnt(0)
	v_lshl_add_u64 v[8:9], v[6:7], 2, s[4:5]
	global_load_dwordx2 v[8:9], v[8:9], off
	v_and_b32_e32 v7, 7, v0
	s_waitcnt vmcnt(0)
	v_subrev_u32_e32 v0, s12, v8
	v_subrev_u32_e32 v16, s12, v9
	v_add_u32_e32 v8, v0, v7
	v_cmp_lt_i32_e64 s[2:3], v8, v16
	s_cbranch_scc0 .LBB87_12
; %bb.7:
	v_mov_b64_e32 v[0:1], 0
	s_mov_b64 s[4:5], 0
	v_mov_b64_e32 v[10:11], v[0:1]
	s_and_saveexec_b64 s[14:15], s[2:3]
	s_cbranch_execz .LBB87_11
; %bb.8:
	v_mov_b64_e32 v[0:1], 0
	v_lshlrev_b32_e32 v12, 3, v8
	s_mov_b64 s[16:17], 0
	v_mov_b32_e32 v13, 0
	v_mov_b32_e32 v14, v8
	v_mov_b64_e32 v[10:11], v[0:1]
.LBB87_9:                               ; =>This Inner Loop Header: Depth=1
	v_ashrrev_i32_e32 v15, 31, v14
	v_lshl_add_u64 v[18:19], v[14:15], 2, s[6:7]
	global_load_dword v9, v[18:19], off
	v_lshl_add_u64 v[42:43], v[12:13], 3, s[8:9]
	global_load_dwordx4 v[18:21], v[42:43], off offset:16
	global_load_dwordx4 v[22:25], v[42:43], off
	v_mov_b32_e32 v27, v13
	v_add_u32_e32 v14, 8, v14
	v_cmp_ge_i32_e32 vcc, v14, v16
	v_add_u32_e32 v12, 64, v12
	s_or_b64 s[16:17], vcc, s[16:17]
	s_waitcnt vmcnt(2)
	v_subrev_u32_e32 v9, s12, v9
	v_lshlrev_b32_e32 v26, 2, v9
	v_lshl_add_u64 v[44:45], v[26:27], 3, s[10:11]
	global_load_dwordx4 v[26:29], v[44:45], off
	global_load_dwordx4 v[30:33], v[44:45], off offset:16
	global_load_dwordx4 v[34:37], v[42:43], off offset:32
	;; [unrolled: 1-line block ×3, first 2 shown]
	s_waitcnt vmcnt(3)
	v_fmac_f64_e32 v[0:1], v[22:23], v[26:27]
	v_fmac_f64_e32 v[10:11], v[24:25], v[26:27]
	v_fmac_f64_e32 v[0:1], v[18:19], v[28:29]
	v_fmac_f64_e32 v[10:11], v[20:21], v[28:29]
	s_waitcnt vmcnt(1)
	v_fmac_f64_e32 v[0:1], v[34:35], v[30:31]
	v_fmac_f64_e32 v[10:11], v[36:37], v[30:31]
	s_waitcnt vmcnt(0)
	v_fmac_f64_e32 v[0:1], v[38:39], v[32:33]
	v_fmac_f64_e32 v[10:11], v[40:41], v[32:33]
	s_andn2_b64 exec, exec, s[16:17]
	s_cbranch_execnz .LBB87_9
; %bb.10:
	s_or_b64 exec, exec, s[16:17]
.LBB87_11:
	s_or_b64 exec, exec, s[14:15]
	s_andn2_b64 vcc, exec, s[4:5]
	s_cbranch_vccz .LBB87_13
	s_branch .LBB87_18
.LBB87_12:
                                        ; implicit-def: $vgpr0_vgpr1
                                        ; implicit-def: $vgpr10_vgpr11
.LBB87_13:
	v_mov_b64_e32 v[0:1], 0
	v_mov_b64_e32 v[10:11], v[0:1]
	s_and_saveexec_b64 s[4:5], s[2:3]
	s_cbranch_execz .LBB87_17
; %bb.14:
	v_mov_b64_e32 v[0:1], 0
	v_lshlrev_b32_e32 v12, 3, v8
	s_mov_b64 s[2:3], 0
	v_mov_b32_e32 v13, 0
	v_mov_b64_e32 v[10:11], v[0:1]
.LBB87_15:                              ; =>This Inner Loop Header: Depth=1
	v_ashrrev_i32_e32 v9, 31, v8
	v_lshl_add_u64 v[14:15], v[8:9], 2, s[6:7]
	global_load_dword v9, v[14:15], off
	v_lshl_add_u64 v[14:15], v[12:13], 3, s[8:9]
	v_mov_b32_e32 v35, v13
	global_load_dwordx4 v[18:21], v[14:15], off offset:48
	global_load_dwordx4 v[22:25], v[14:15], off offset:32
	global_load_dwordx4 v[26:29], v[14:15], off offset:16
	global_load_dwordx4 v[30:33], v[14:15], off
	v_add_u32_e32 v8, 8, v8
	v_cmp_ge_i32_e32 vcc, v8, v16
	v_add_u32_e32 v12, 64, v12
	s_or_b64 s[2:3], vcc, s[2:3]
	s_waitcnt vmcnt(4)
	v_subrev_u32_e32 v9, s12, v9
	v_lshlrev_b32_e32 v34, 2, v9
	v_lshl_add_u64 v[14:15], v[34:35], 3, s[10:11]
	global_load_dwordx4 v[34:37], v[14:15], off
	global_load_dwordx4 v[38:41], v[14:15], off offset:16
	s_waitcnt vmcnt(1)
	v_fmac_f64_e32 v[0:1], v[30:31], v[34:35]
	v_fmac_f64_e32 v[10:11], v[22:23], v[34:35]
	;; [unrolled: 1-line block ×4, first 2 shown]
	s_waitcnt vmcnt(0)
	v_fmac_f64_e32 v[0:1], v[26:27], v[38:39]
	v_fmac_f64_e32 v[10:11], v[18:19], v[38:39]
	;; [unrolled: 1-line block ×4, first 2 shown]
	s_andn2_b64 exec, exec, s[2:3]
	s_cbranch_execnz .LBB87_15
; %bb.16:
	s_or_b64 exec, exec, s[2:3]
.LBB87_17:
	s_or_b64 exec, exec, s[4:5]
.LBB87_18:
	v_mov_b32_dpp v8, v0 row_shr:1 row_mask:0xf bank_mask:0xf
	v_mov_b32_dpp v9, v1 row_shr:1 row_mask:0xf bank_mask:0xf
	;; [unrolled: 1-line block ×4, first 2 shown]
	v_add_f64 v[0:1], v[0:1], v[8:9]
	v_add_f64 v[10:11], v[10:11], v[12:13]
	v_cmp_eq_u32_e32 vcc, 7, v7
	v_mov_b32_dpp v8, v0 row_shr:2 row_mask:0xf bank_mask:0xf
	v_mov_b32_dpp v9, v1 row_shr:2 row_mask:0xf bank_mask:0xf
	v_mov_b32_dpp v12, v10 row_shr:2 row_mask:0xf bank_mask:0xf
	v_mov_b32_dpp v13, v11 row_shr:2 row_mask:0xf bank_mask:0xf
	v_add_f64 v[0:1], v[0:1], v[8:9]
	v_add_f64 v[10:11], v[10:11], v[12:13]
	s_nop 0
	v_mov_b32_dpp v8, v0 row_shr:4 row_mask:0xf bank_mask:0xe
	v_mov_b32_dpp v9, v1 row_shr:4 row_mask:0xf bank_mask:0xe
	;; [unrolled: 1-line block ×4, first 2 shown]
	s_and_b64 exec, exec, vcc
	s_cbranch_execz .LBB87_23
; %bb.19:
	s_load_dwordx2 s[0:1], s[0:1], 0x38
	v_add_f64 v[8:9], v[0:1], v[8:9]
	v_add_f64 v[0:1], v[10:11], v[12:13]
	v_cmp_eq_f64_e32 vcc, 0, v[4:5]
	s_and_saveexec_b64 s[2:3], vcc
	s_xor_b64 s[2:3], exec, s[2:3]
	s_cbranch_execz .LBB87_21
; %bb.20:
	v_lshlrev_b32_e32 v6, 1, v6
	v_ashrrev_i32_e32 v7, 31, v6
	v_mul_f64 v[4:5], v[2:3], v[8:9]
	s_waitcnt lgkmcnt(0)
	v_lshl_add_u64 v[8:9], v[6:7], 3, s[0:1]
	v_mul_f64 v[6:7], v[2:3], v[0:1]
	global_store_dwordx4 v[8:9], v[4:7], off
                                        ; implicit-def: $vgpr6
                                        ; implicit-def: $vgpr2_vgpr3
                                        ; implicit-def: $vgpr8_vgpr9
                                        ; implicit-def: $vgpr4_vgpr5
                                        ; implicit-def: $vgpr0_vgpr1
.LBB87_21:
	s_andn2_saveexec_b64 s[2:3], s[2:3]
	s_cbranch_execz .LBB87_23
; %bb.22:
	v_lshlrev_b32_e32 v6, 1, v6
	v_ashrrev_i32_e32 v7, 31, v6
	s_waitcnt lgkmcnt(0)
	v_lshl_add_u64 v[14:15], v[6:7], 3, s[0:1]
	global_load_dwordx4 v[10:13], v[14:15], off
	v_mul_f64 v[6:7], v[2:3], v[8:9]
	v_mul_f64 v[8:9], v[2:3], v[0:1]
	s_waitcnt vmcnt(0)
	v_fmac_f64_e32 v[6:7], v[4:5], v[10:11]
	v_fmac_f64_e32 v[8:9], v[4:5], v[12:13]
	global_store_dwordx4 v[14:15], v[6:9], off
.LBB87_23:
	s_endpgm
	.section	.rodata,"a",@progbits
	.p2align	6, 0x0
	.amdhsa_kernel _ZN9rocsparseL19gebsrmvn_2xn_kernelILj128ELj4ELj8EdEEvi20rocsparse_direction_NS_24const_host_device_scalarIT2_EEPKiS6_PKS3_S8_S4_PS3_21rocsparse_index_base_b
		.amdhsa_group_segment_fixed_size 0
		.amdhsa_private_segment_fixed_size 0
		.amdhsa_kernarg_size 72
		.amdhsa_user_sgpr_count 2
		.amdhsa_user_sgpr_dispatch_ptr 0
		.amdhsa_user_sgpr_queue_ptr 0
		.amdhsa_user_sgpr_kernarg_segment_ptr 1
		.amdhsa_user_sgpr_dispatch_id 0
		.amdhsa_user_sgpr_kernarg_preload_length 0
		.amdhsa_user_sgpr_kernarg_preload_offset 0
		.amdhsa_user_sgpr_private_segment_size 0
		.amdhsa_uses_dynamic_stack 0
		.amdhsa_enable_private_segment 0
		.amdhsa_system_sgpr_workgroup_id_x 1
		.amdhsa_system_sgpr_workgroup_id_y 0
		.amdhsa_system_sgpr_workgroup_id_z 0
		.amdhsa_system_sgpr_workgroup_info 0
		.amdhsa_system_vgpr_workitem_id 0
		.amdhsa_next_free_vgpr 46
		.amdhsa_next_free_sgpr 18
		.amdhsa_accum_offset 48
		.amdhsa_reserve_vcc 1
		.amdhsa_float_round_mode_32 0
		.amdhsa_float_round_mode_16_64 0
		.amdhsa_float_denorm_mode_32 3
		.amdhsa_float_denorm_mode_16_64 3
		.amdhsa_dx10_clamp 1
		.amdhsa_ieee_mode 1
		.amdhsa_fp16_overflow 0
		.amdhsa_tg_split 0
		.amdhsa_exception_fp_ieee_invalid_op 0
		.amdhsa_exception_fp_denorm_src 0
		.amdhsa_exception_fp_ieee_div_zero 0
		.amdhsa_exception_fp_ieee_overflow 0
		.amdhsa_exception_fp_ieee_underflow 0
		.amdhsa_exception_fp_ieee_inexact 0
		.amdhsa_exception_int_div_zero 0
	.end_amdhsa_kernel
	.section	.text._ZN9rocsparseL19gebsrmvn_2xn_kernelILj128ELj4ELj8EdEEvi20rocsparse_direction_NS_24const_host_device_scalarIT2_EEPKiS6_PKS3_S8_S4_PS3_21rocsparse_index_base_b,"axG",@progbits,_ZN9rocsparseL19gebsrmvn_2xn_kernelILj128ELj4ELj8EdEEvi20rocsparse_direction_NS_24const_host_device_scalarIT2_EEPKiS6_PKS3_S8_S4_PS3_21rocsparse_index_base_b,comdat
.Lfunc_end87:
	.size	_ZN9rocsparseL19gebsrmvn_2xn_kernelILj128ELj4ELj8EdEEvi20rocsparse_direction_NS_24const_host_device_scalarIT2_EEPKiS6_PKS3_S8_S4_PS3_21rocsparse_index_base_b, .Lfunc_end87-_ZN9rocsparseL19gebsrmvn_2xn_kernelILj128ELj4ELj8EdEEvi20rocsparse_direction_NS_24const_host_device_scalarIT2_EEPKiS6_PKS3_S8_S4_PS3_21rocsparse_index_base_b
                                        ; -- End function
	.section	.AMDGPU.csdata,"",@progbits
; Kernel info:
; codeLenInByte = 964
; NumSgprs: 24
; NumVgprs: 46
; NumAgprs: 0
; TotalNumVgprs: 46
; ScratchSize: 0
; MemoryBound: 1
; FloatMode: 240
; IeeeMode: 1
; LDSByteSize: 0 bytes/workgroup (compile time only)
; SGPRBlocks: 2
; VGPRBlocks: 5
; NumSGPRsForWavesPerEU: 24
; NumVGPRsForWavesPerEU: 46
; AccumOffset: 48
; Occupancy: 8
; WaveLimiterHint : 1
; COMPUTE_PGM_RSRC2:SCRATCH_EN: 0
; COMPUTE_PGM_RSRC2:USER_SGPR: 2
; COMPUTE_PGM_RSRC2:TRAP_HANDLER: 0
; COMPUTE_PGM_RSRC2:TGID_X_EN: 1
; COMPUTE_PGM_RSRC2:TGID_Y_EN: 0
; COMPUTE_PGM_RSRC2:TGID_Z_EN: 0
; COMPUTE_PGM_RSRC2:TIDIG_COMP_CNT: 0
; COMPUTE_PGM_RSRC3_GFX90A:ACCUM_OFFSET: 11
; COMPUTE_PGM_RSRC3_GFX90A:TG_SPLIT: 0
	.section	.text._ZN9rocsparseL19gebsrmvn_2xn_kernelILj128ELj4ELj16EdEEvi20rocsparse_direction_NS_24const_host_device_scalarIT2_EEPKiS6_PKS3_S8_S4_PS3_21rocsparse_index_base_b,"axG",@progbits,_ZN9rocsparseL19gebsrmvn_2xn_kernelILj128ELj4ELj16EdEEvi20rocsparse_direction_NS_24const_host_device_scalarIT2_EEPKiS6_PKS3_S8_S4_PS3_21rocsparse_index_base_b,comdat
	.globl	_ZN9rocsparseL19gebsrmvn_2xn_kernelILj128ELj4ELj16EdEEvi20rocsparse_direction_NS_24const_host_device_scalarIT2_EEPKiS6_PKS3_S8_S4_PS3_21rocsparse_index_base_b ; -- Begin function _ZN9rocsparseL19gebsrmvn_2xn_kernelILj128ELj4ELj16EdEEvi20rocsparse_direction_NS_24const_host_device_scalarIT2_EEPKiS6_PKS3_S8_S4_PS3_21rocsparse_index_base_b
	.p2align	8
	.type	_ZN9rocsparseL19gebsrmvn_2xn_kernelILj128ELj4ELj16EdEEvi20rocsparse_direction_NS_24const_host_device_scalarIT2_EEPKiS6_PKS3_S8_S4_PS3_21rocsparse_index_base_b,@function
_ZN9rocsparseL19gebsrmvn_2xn_kernelILj128ELj4ELj16EdEEvi20rocsparse_direction_NS_24const_host_device_scalarIT2_EEPKiS6_PKS3_S8_S4_PS3_21rocsparse_index_base_b: ; @_ZN9rocsparseL19gebsrmvn_2xn_kernelILj128ELj4ELj16EdEEvi20rocsparse_direction_NS_24const_host_device_scalarIT2_EEPKiS6_PKS3_S8_S4_PS3_21rocsparse_index_base_b
; %bb.0:
	s_load_dwordx2 s[12:13], s[0:1], 0x40
	s_load_dwordx2 s[8:9], s[0:1], 0x8
	;; [unrolled: 1-line block ×3, first 2 shown]
	s_waitcnt lgkmcnt(0)
	s_bitcmp1_b32 s13, 0
	s_cselect_b64 s[10:11], -1, 0
	s_xor_b64 s[6:7], s[10:11], -1
	s_and_b64 vcc, exec, s[10:11]
	v_mov_b64_e32 v[2:3], s[8:9]
	s_cbranch_vccnz .LBB88_2
; %bb.1:
	v_mov_b64_e32 v[2:3], s[8:9]
	flat_load_dwordx2 v[2:3], v[2:3]
.LBB88_2:
	s_andn2_b64 vcc, exec, s[6:7]
	v_mov_b64_e32 v[4:5], s[4:5]
	s_cbranch_vccnz .LBB88_4
; %bb.3:
	v_mov_b64_e32 v[4:5], s[4:5]
	flat_load_dwordx2 v[4:5], v[4:5]
.LBB88_4:
	s_waitcnt vmcnt(0) lgkmcnt(0)
	v_cmp_neq_f64_e32 vcc, 0, v[2:3]
	v_cmp_neq_f64_e64 s[4:5], 1.0, v[4:5]
	s_or_b64 s[4:5], vcc, s[4:5]
	s_and_saveexec_b64 s[6:7], s[4:5]
	s_cbranch_execz .LBB88_23
; %bb.5:
	s_load_dwordx2 s[14:15], s[0:1], 0x0
	v_lshrrev_b32_e32 v1, 4, v0
	v_lshl_or_b32 v6, s2, 3, v1
	s_waitcnt lgkmcnt(0)
	v_cmp_gt_i32_e32 vcc, s14, v6
	s_and_b64 exec, exec, vcc
	s_cbranch_execz .LBB88_23
; %bb.6:
	s_load_dwordx8 s[4:11], s[0:1], 0x10
	v_ashrrev_i32_e32 v7, 31, v6
	s_cmp_lg_u32 s15, 0
	s_waitcnt lgkmcnt(0)
	v_lshl_add_u64 v[8:9], v[6:7], 2, s[4:5]
	global_load_dwordx2 v[8:9], v[8:9], off
	v_and_b32_e32 v7, 15, v0
	s_waitcnt vmcnt(0)
	v_subrev_u32_e32 v0, s12, v8
	v_subrev_u32_e32 v16, s12, v9
	v_add_u32_e32 v10, v0, v7
	v_cmp_lt_i32_e64 s[2:3], v10, v16
	s_cbranch_scc0 .LBB88_12
; %bb.7:
	v_mov_b64_e32 v[0:1], 0
	s_mov_b64 s[4:5], 0
	v_mov_b64_e32 v[8:9], v[0:1]
	s_and_saveexec_b64 s[14:15], s[2:3]
	s_cbranch_execz .LBB88_11
; %bb.8:
	v_mov_b64_e32 v[0:1], 0
	v_lshlrev_b32_e32 v12, 3, v10
	s_mov_b64 s[16:17], 0
	v_mov_b32_e32 v13, 0
	v_mov_b32_e32 v14, v10
	v_mov_b64_e32 v[8:9], v[0:1]
.LBB88_9:                               ; =>This Inner Loop Header: Depth=1
	v_ashrrev_i32_e32 v15, 31, v14
	v_lshl_add_u64 v[18:19], v[14:15], 2, s[6:7]
	global_load_dword v11, v[18:19], off
	v_lshl_add_u64 v[42:43], v[12:13], 3, s[8:9]
	global_load_dwordx4 v[18:21], v[42:43], off offset:16
	global_load_dwordx4 v[22:25], v[42:43], off
	v_mov_b32_e32 v27, v13
	v_add_u32_e32 v14, 16, v14
	v_cmp_ge_i32_e32 vcc, v14, v16
	v_add_u32_e32 v12, 0x80, v12
	s_or_b64 s[16:17], vcc, s[16:17]
	s_waitcnt vmcnt(2)
	v_subrev_u32_e32 v11, s12, v11
	v_lshlrev_b32_e32 v26, 2, v11
	v_lshl_add_u64 v[44:45], v[26:27], 3, s[10:11]
	global_load_dwordx4 v[26:29], v[44:45], off
	global_load_dwordx4 v[30:33], v[44:45], off offset:16
	global_load_dwordx4 v[34:37], v[42:43], off offset:32
	;; [unrolled: 1-line block ×3, first 2 shown]
	s_waitcnt vmcnt(3)
	v_fmac_f64_e32 v[0:1], v[22:23], v[26:27]
	v_fmac_f64_e32 v[8:9], v[24:25], v[26:27]
	;; [unrolled: 1-line block ×4, first 2 shown]
	s_waitcnt vmcnt(1)
	v_fmac_f64_e32 v[0:1], v[34:35], v[30:31]
	v_fmac_f64_e32 v[8:9], v[36:37], v[30:31]
	s_waitcnt vmcnt(0)
	v_fmac_f64_e32 v[0:1], v[38:39], v[32:33]
	v_fmac_f64_e32 v[8:9], v[40:41], v[32:33]
	s_andn2_b64 exec, exec, s[16:17]
	s_cbranch_execnz .LBB88_9
; %bb.10:
	s_or_b64 exec, exec, s[16:17]
.LBB88_11:
	s_or_b64 exec, exec, s[14:15]
	s_andn2_b64 vcc, exec, s[4:5]
	s_cbranch_vccz .LBB88_13
	s_branch .LBB88_18
.LBB88_12:
                                        ; implicit-def: $vgpr0_vgpr1
                                        ; implicit-def: $vgpr8_vgpr9
.LBB88_13:
	v_mov_b64_e32 v[0:1], 0
	v_mov_b64_e32 v[8:9], v[0:1]
	s_and_saveexec_b64 s[4:5], s[2:3]
	s_cbranch_execz .LBB88_17
; %bb.14:
	v_mov_b64_e32 v[0:1], 0
	v_lshlrev_b32_e32 v12, 3, v10
	s_mov_b64 s[2:3], 0
	v_mov_b32_e32 v13, 0
	v_mov_b64_e32 v[8:9], v[0:1]
.LBB88_15:                              ; =>This Inner Loop Header: Depth=1
	v_ashrrev_i32_e32 v11, 31, v10
	v_lshl_add_u64 v[14:15], v[10:11], 2, s[6:7]
	global_load_dword v11, v[14:15], off
	v_lshl_add_u64 v[14:15], v[12:13], 3, s[8:9]
	v_mov_b32_e32 v35, v13
	global_load_dwordx4 v[18:21], v[14:15], off offset:48
	global_load_dwordx4 v[22:25], v[14:15], off offset:32
	;; [unrolled: 1-line block ×3, first 2 shown]
	global_load_dwordx4 v[30:33], v[14:15], off
	v_add_u32_e32 v10, 16, v10
	v_cmp_ge_i32_e32 vcc, v10, v16
	v_add_u32_e32 v12, 0x80, v12
	s_or_b64 s[2:3], vcc, s[2:3]
	s_waitcnt vmcnt(4)
	v_subrev_u32_e32 v11, s12, v11
	v_lshlrev_b32_e32 v34, 2, v11
	v_lshl_add_u64 v[14:15], v[34:35], 3, s[10:11]
	global_load_dwordx4 v[34:37], v[14:15], off
	global_load_dwordx4 v[38:41], v[14:15], off offset:16
	s_waitcnt vmcnt(1)
	v_fmac_f64_e32 v[0:1], v[30:31], v[34:35]
	v_fmac_f64_e32 v[8:9], v[22:23], v[34:35]
	;; [unrolled: 1-line block ×4, first 2 shown]
	s_waitcnt vmcnt(0)
	v_fmac_f64_e32 v[0:1], v[26:27], v[38:39]
	v_fmac_f64_e32 v[8:9], v[18:19], v[38:39]
	;; [unrolled: 1-line block ×4, first 2 shown]
	s_andn2_b64 exec, exec, s[2:3]
	s_cbranch_execnz .LBB88_15
; %bb.16:
	s_or_b64 exec, exec, s[2:3]
.LBB88_17:
	s_or_b64 exec, exec, s[4:5]
.LBB88_18:
	v_mov_b32_dpp v10, v0 row_shr:1 row_mask:0xf bank_mask:0xf
	v_mov_b32_dpp v11, v1 row_shr:1 row_mask:0xf bank_mask:0xf
	;; [unrolled: 1-line block ×4, first 2 shown]
	v_add_f64 v[0:1], v[0:1], v[10:11]
	v_add_f64 v[8:9], v[8:9], v[12:13]
	v_cmp_eq_u32_e32 vcc, 15, v7
	v_mov_b32_dpp v10, v0 row_shr:2 row_mask:0xf bank_mask:0xf
	v_mov_b32_dpp v11, v1 row_shr:2 row_mask:0xf bank_mask:0xf
	v_mov_b32_dpp v12, v8 row_shr:2 row_mask:0xf bank_mask:0xf
	v_mov_b32_dpp v13, v9 row_shr:2 row_mask:0xf bank_mask:0xf
	v_add_f64 v[0:1], v[0:1], v[10:11]
	v_add_f64 v[8:9], v[8:9], v[12:13]
	s_nop 0
	v_mov_b32_dpp v10, v0 row_shr:4 row_mask:0xf bank_mask:0xe
	v_mov_b32_dpp v11, v1 row_shr:4 row_mask:0xf bank_mask:0xe
	;; [unrolled: 1-line block ×4, first 2 shown]
	v_add_f64 v[0:1], v[0:1], v[10:11]
	v_add_f64 v[12:13], v[8:9], v[12:13]
	s_nop 0
	v_mov_b32_dpp v10, v0 row_shr:8 row_mask:0xf bank_mask:0xc
	v_mov_b32_dpp v11, v1 row_shr:8 row_mask:0xf bank_mask:0xc
	;; [unrolled: 1-line block ×4, first 2 shown]
	s_and_b64 exec, exec, vcc
	s_cbranch_execz .LBB88_23
; %bb.19:
	s_load_dwordx2 s[0:1], s[0:1], 0x38
	v_add_f64 v[8:9], v[0:1], v[10:11]
	v_add_f64 v[0:1], v[12:13], v[14:15]
	v_cmp_eq_f64_e32 vcc, 0, v[4:5]
	s_and_saveexec_b64 s[2:3], vcc
	s_xor_b64 s[2:3], exec, s[2:3]
	s_cbranch_execz .LBB88_21
; %bb.20:
	v_lshlrev_b32_e32 v6, 1, v6
	v_ashrrev_i32_e32 v7, 31, v6
	v_mul_f64 v[4:5], v[2:3], v[8:9]
	s_waitcnt lgkmcnt(0)
	v_lshl_add_u64 v[8:9], v[6:7], 3, s[0:1]
	v_mul_f64 v[6:7], v[2:3], v[0:1]
	global_store_dwordx4 v[8:9], v[4:7], off
                                        ; implicit-def: $vgpr6
                                        ; implicit-def: $vgpr2_vgpr3
                                        ; implicit-def: $vgpr8_vgpr9
                                        ; implicit-def: $vgpr4_vgpr5
                                        ; implicit-def: $vgpr0_vgpr1
.LBB88_21:
	s_andn2_saveexec_b64 s[2:3], s[2:3]
	s_cbranch_execz .LBB88_23
; %bb.22:
	v_lshlrev_b32_e32 v6, 1, v6
	v_ashrrev_i32_e32 v7, 31, v6
	s_waitcnt lgkmcnt(0)
	v_lshl_add_u64 v[14:15], v[6:7], 3, s[0:1]
	global_load_dwordx4 v[10:13], v[14:15], off
	v_mul_f64 v[6:7], v[2:3], v[8:9]
	v_mul_f64 v[8:9], v[2:3], v[0:1]
	s_waitcnt vmcnt(0)
	v_fmac_f64_e32 v[6:7], v[4:5], v[10:11]
	v_fmac_f64_e32 v[8:9], v[4:5], v[12:13]
	global_store_dwordx4 v[14:15], v[6:9], off
.LBB88_23:
	s_endpgm
	.section	.rodata,"a",@progbits
	.p2align	6, 0x0
	.amdhsa_kernel _ZN9rocsparseL19gebsrmvn_2xn_kernelILj128ELj4ELj16EdEEvi20rocsparse_direction_NS_24const_host_device_scalarIT2_EEPKiS6_PKS3_S8_S4_PS3_21rocsparse_index_base_b
		.amdhsa_group_segment_fixed_size 0
		.amdhsa_private_segment_fixed_size 0
		.amdhsa_kernarg_size 72
		.amdhsa_user_sgpr_count 2
		.amdhsa_user_sgpr_dispatch_ptr 0
		.amdhsa_user_sgpr_queue_ptr 0
		.amdhsa_user_sgpr_kernarg_segment_ptr 1
		.amdhsa_user_sgpr_dispatch_id 0
		.amdhsa_user_sgpr_kernarg_preload_length 0
		.amdhsa_user_sgpr_kernarg_preload_offset 0
		.amdhsa_user_sgpr_private_segment_size 0
		.amdhsa_uses_dynamic_stack 0
		.amdhsa_enable_private_segment 0
		.amdhsa_system_sgpr_workgroup_id_x 1
		.amdhsa_system_sgpr_workgroup_id_y 0
		.amdhsa_system_sgpr_workgroup_id_z 0
		.amdhsa_system_sgpr_workgroup_info 0
		.amdhsa_system_vgpr_workitem_id 0
		.amdhsa_next_free_vgpr 46
		.amdhsa_next_free_sgpr 18
		.amdhsa_accum_offset 48
		.amdhsa_reserve_vcc 1
		.amdhsa_float_round_mode_32 0
		.amdhsa_float_round_mode_16_64 0
		.amdhsa_float_denorm_mode_32 3
		.amdhsa_float_denorm_mode_16_64 3
		.amdhsa_dx10_clamp 1
		.amdhsa_ieee_mode 1
		.amdhsa_fp16_overflow 0
		.amdhsa_tg_split 0
		.amdhsa_exception_fp_ieee_invalid_op 0
		.amdhsa_exception_fp_denorm_src 0
		.amdhsa_exception_fp_ieee_div_zero 0
		.amdhsa_exception_fp_ieee_overflow 0
		.amdhsa_exception_fp_ieee_underflow 0
		.amdhsa_exception_fp_ieee_inexact 0
		.amdhsa_exception_int_div_zero 0
	.end_amdhsa_kernel
	.section	.text._ZN9rocsparseL19gebsrmvn_2xn_kernelILj128ELj4ELj16EdEEvi20rocsparse_direction_NS_24const_host_device_scalarIT2_EEPKiS6_PKS3_S8_S4_PS3_21rocsparse_index_base_b,"axG",@progbits,_ZN9rocsparseL19gebsrmvn_2xn_kernelILj128ELj4ELj16EdEEvi20rocsparse_direction_NS_24const_host_device_scalarIT2_EEPKiS6_PKS3_S8_S4_PS3_21rocsparse_index_base_b,comdat
.Lfunc_end88:
	.size	_ZN9rocsparseL19gebsrmvn_2xn_kernelILj128ELj4ELj16EdEEvi20rocsparse_direction_NS_24const_host_device_scalarIT2_EEPKiS6_PKS3_S8_S4_PS3_21rocsparse_index_base_b, .Lfunc_end88-_ZN9rocsparseL19gebsrmvn_2xn_kernelILj128ELj4ELj16EdEEvi20rocsparse_direction_NS_24const_host_device_scalarIT2_EEPKiS6_PKS3_S8_S4_PS3_21rocsparse_index_base_b
                                        ; -- End function
	.section	.AMDGPU.csdata,"",@progbits
; Kernel info:
; codeLenInByte = 1024
; NumSgprs: 24
; NumVgprs: 46
; NumAgprs: 0
; TotalNumVgprs: 46
; ScratchSize: 0
; MemoryBound: 1
; FloatMode: 240
; IeeeMode: 1
; LDSByteSize: 0 bytes/workgroup (compile time only)
; SGPRBlocks: 2
; VGPRBlocks: 5
; NumSGPRsForWavesPerEU: 24
; NumVGPRsForWavesPerEU: 46
; AccumOffset: 48
; Occupancy: 8
; WaveLimiterHint : 1
; COMPUTE_PGM_RSRC2:SCRATCH_EN: 0
; COMPUTE_PGM_RSRC2:USER_SGPR: 2
; COMPUTE_PGM_RSRC2:TRAP_HANDLER: 0
; COMPUTE_PGM_RSRC2:TGID_X_EN: 1
; COMPUTE_PGM_RSRC2:TGID_Y_EN: 0
; COMPUTE_PGM_RSRC2:TGID_Z_EN: 0
; COMPUTE_PGM_RSRC2:TIDIG_COMP_CNT: 0
; COMPUTE_PGM_RSRC3_GFX90A:ACCUM_OFFSET: 11
; COMPUTE_PGM_RSRC3_GFX90A:TG_SPLIT: 0
	.section	.text._ZN9rocsparseL19gebsrmvn_2xn_kernelILj128ELj4ELj32EdEEvi20rocsparse_direction_NS_24const_host_device_scalarIT2_EEPKiS6_PKS3_S8_S4_PS3_21rocsparse_index_base_b,"axG",@progbits,_ZN9rocsparseL19gebsrmvn_2xn_kernelILj128ELj4ELj32EdEEvi20rocsparse_direction_NS_24const_host_device_scalarIT2_EEPKiS6_PKS3_S8_S4_PS3_21rocsparse_index_base_b,comdat
	.globl	_ZN9rocsparseL19gebsrmvn_2xn_kernelILj128ELj4ELj32EdEEvi20rocsparse_direction_NS_24const_host_device_scalarIT2_EEPKiS6_PKS3_S8_S4_PS3_21rocsparse_index_base_b ; -- Begin function _ZN9rocsparseL19gebsrmvn_2xn_kernelILj128ELj4ELj32EdEEvi20rocsparse_direction_NS_24const_host_device_scalarIT2_EEPKiS6_PKS3_S8_S4_PS3_21rocsparse_index_base_b
	.p2align	8
	.type	_ZN9rocsparseL19gebsrmvn_2xn_kernelILj128ELj4ELj32EdEEvi20rocsparse_direction_NS_24const_host_device_scalarIT2_EEPKiS6_PKS3_S8_S4_PS3_21rocsparse_index_base_b,@function
_ZN9rocsparseL19gebsrmvn_2xn_kernelILj128ELj4ELj32EdEEvi20rocsparse_direction_NS_24const_host_device_scalarIT2_EEPKiS6_PKS3_S8_S4_PS3_21rocsparse_index_base_b: ; @_ZN9rocsparseL19gebsrmvn_2xn_kernelILj128ELj4ELj32EdEEvi20rocsparse_direction_NS_24const_host_device_scalarIT2_EEPKiS6_PKS3_S8_S4_PS3_21rocsparse_index_base_b
; %bb.0:
	s_load_dwordx2 s[12:13], s[0:1], 0x40
	s_load_dwordx2 s[8:9], s[0:1], 0x8
	;; [unrolled: 1-line block ×3, first 2 shown]
	s_waitcnt lgkmcnt(0)
	s_bitcmp1_b32 s13, 0
	s_cselect_b64 s[10:11], -1, 0
	s_xor_b64 s[6:7], s[10:11], -1
	s_and_b64 vcc, exec, s[10:11]
	v_mov_b64_e32 v[2:3], s[8:9]
	s_cbranch_vccnz .LBB89_2
; %bb.1:
	v_mov_b64_e32 v[2:3], s[8:9]
	flat_load_dwordx2 v[2:3], v[2:3]
.LBB89_2:
	s_andn2_b64 vcc, exec, s[6:7]
	v_mov_b64_e32 v[4:5], s[4:5]
	s_cbranch_vccnz .LBB89_4
; %bb.3:
	v_mov_b64_e32 v[4:5], s[4:5]
	flat_load_dwordx2 v[4:5], v[4:5]
.LBB89_4:
	s_waitcnt vmcnt(0) lgkmcnt(0)
	v_cmp_neq_f64_e32 vcc, 0, v[2:3]
	v_cmp_neq_f64_e64 s[4:5], 1.0, v[4:5]
	s_or_b64 s[4:5], vcc, s[4:5]
	s_and_saveexec_b64 s[6:7], s[4:5]
	s_cbranch_execz .LBB89_23
; %bb.5:
	s_load_dwordx2 s[14:15], s[0:1], 0x0
	v_lshrrev_b32_e32 v1, 5, v0
	v_lshl_or_b32 v6, s2, 2, v1
	s_waitcnt lgkmcnt(0)
	v_cmp_gt_i32_e32 vcc, s14, v6
	s_and_b64 exec, exec, vcc
	s_cbranch_execz .LBB89_23
; %bb.6:
	s_load_dwordx8 s[4:11], s[0:1], 0x10
	v_ashrrev_i32_e32 v7, 31, v6
	s_cmp_lg_u32 s15, 0
	s_waitcnt lgkmcnt(0)
	v_lshl_add_u64 v[8:9], v[6:7], 2, s[4:5]
	global_load_dwordx2 v[8:9], v[8:9], off
	v_and_b32_e32 v7, 31, v0
	s_waitcnt vmcnt(0)
	v_subrev_u32_e32 v0, s12, v8
	v_subrev_u32_e32 v16, s12, v9
	v_add_u32_e32 v10, v0, v7
	v_cmp_lt_i32_e64 s[2:3], v10, v16
	s_cbranch_scc0 .LBB89_12
; %bb.7:
	v_mov_b64_e32 v[8:9], 0
	s_mov_b64 s[4:5], 0
	v_mov_b64_e32 v[0:1], v[8:9]
	s_and_saveexec_b64 s[14:15], s[2:3]
	s_cbranch_execz .LBB89_11
; %bb.8:
	v_mov_b64_e32 v[8:9], 0
	v_lshlrev_b32_e32 v12, 3, v10
	s_mov_b64 s[16:17], 0
	v_mov_b32_e32 v13, 0
	v_mov_b32_e32 v14, v10
	v_mov_b64_e32 v[0:1], v[8:9]
.LBB89_9:                               ; =>This Inner Loop Header: Depth=1
	v_ashrrev_i32_e32 v15, 31, v14
	v_lshl_add_u64 v[18:19], v[14:15], 2, s[6:7]
	global_load_dword v11, v[18:19], off
	v_lshl_add_u64 v[42:43], v[12:13], 3, s[8:9]
	global_load_dwordx4 v[18:21], v[42:43], off offset:16
	global_load_dwordx4 v[22:25], v[42:43], off
	v_mov_b32_e32 v27, v13
	v_add_u32_e32 v14, 32, v14
	v_cmp_ge_i32_e32 vcc, v14, v16
	v_add_u32_e32 v12, 0x100, v12
	s_or_b64 s[16:17], vcc, s[16:17]
	s_waitcnt vmcnt(2)
	v_subrev_u32_e32 v11, s12, v11
	v_lshlrev_b32_e32 v26, 2, v11
	v_lshl_add_u64 v[44:45], v[26:27], 3, s[10:11]
	global_load_dwordx4 v[26:29], v[44:45], off
	global_load_dwordx4 v[30:33], v[44:45], off offset:16
	global_load_dwordx4 v[34:37], v[42:43], off offset:32
	;; [unrolled: 1-line block ×3, first 2 shown]
	s_waitcnt vmcnt(3)
	v_fmac_f64_e32 v[8:9], v[22:23], v[26:27]
	v_fmac_f64_e32 v[0:1], v[24:25], v[26:27]
	;; [unrolled: 1-line block ×4, first 2 shown]
	s_waitcnt vmcnt(1)
	v_fmac_f64_e32 v[8:9], v[34:35], v[30:31]
	v_fmac_f64_e32 v[0:1], v[36:37], v[30:31]
	s_waitcnt vmcnt(0)
	v_fmac_f64_e32 v[8:9], v[38:39], v[32:33]
	v_fmac_f64_e32 v[0:1], v[40:41], v[32:33]
	s_andn2_b64 exec, exec, s[16:17]
	s_cbranch_execnz .LBB89_9
; %bb.10:
	s_or_b64 exec, exec, s[16:17]
.LBB89_11:
	s_or_b64 exec, exec, s[14:15]
	s_andn2_b64 vcc, exec, s[4:5]
	s_cbranch_vccz .LBB89_13
	s_branch .LBB89_18
.LBB89_12:
                                        ; implicit-def: $vgpr8_vgpr9
                                        ; implicit-def: $vgpr0_vgpr1
.LBB89_13:
	v_mov_b64_e32 v[8:9], 0
	v_mov_b64_e32 v[0:1], v[8:9]
	s_and_saveexec_b64 s[4:5], s[2:3]
	s_cbranch_execz .LBB89_17
; %bb.14:
	v_mov_b64_e32 v[8:9], 0
	v_lshlrev_b32_e32 v12, 3, v10
	s_mov_b64 s[2:3], 0
	v_mov_b32_e32 v13, 0
	v_mov_b64_e32 v[0:1], v[8:9]
.LBB89_15:                              ; =>This Inner Loop Header: Depth=1
	v_ashrrev_i32_e32 v11, 31, v10
	v_lshl_add_u64 v[14:15], v[10:11], 2, s[6:7]
	global_load_dword v11, v[14:15], off
	v_lshl_add_u64 v[14:15], v[12:13], 3, s[8:9]
	v_mov_b32_e32 v35, v13
	global_load_dwordx4 v[18:21], v[14:15], off offset:48
	global_load_dwordx4 v[22:25], v[14:15], off offset:32
	;; [unrolled: 1-line block ×3, first 2 shown]
	global_load_dwordx4 v[30:33], v[14:15], off
	v_add_u32_e32 v10, 32, v10
	v_cmp_ge_i32_e32 vcc, v10, v16
	v_add_u32_e32 v12, 0x100, v12
	s_or_b64 s[2:3], vcc, s[2:3]
	s_waitcnt vmcnt(4)
	v_subrev_u32_e32 v11, s12, v11
	v_lshlrev_b32_e32 v34, 2, v11
	v_lshl_add_u64 v[14:15], v[34:35], 3, s[10:11]
	global_load_dwordx4 v[34:37], v[14:15], off
	global_load_dwordx4 v[38:41], v[14:15], off offset:16
	s_waitcnt vmcnt(1)
	v_fmac_f64_e32 v[8:9], v[30:31], v[34:35]
	v_fmac_f64_e32 v[0:1], v[22:23], v[34:35]
	;; [unrolled: 1-line block ×4, first 2 shown]
	s_waitcnt vmcnt(0)
	v_fmac_f64_e32 v[8:9], v[26:27], v[38:39]
	v_fmac_f64_e32 v[0:1], v[18:19], v[38:39]
	;; [unrolled: 1-line block ×4, first 2 shown]
	s_andn2_b64 exec, exec, s[2:3]
	s_cbranch_execnz .LBB89_15
; %bb.16:
	s_or_b64 exec, exec, s[2:3]
.LBB89_17:
	s_or_b64 exec, exec, s[4:5]
.LBB89_18:
	v_mov_b32_dpp v10, v8 row_shr:1 row_mask:0xf bank_mask:0xf
	v_mov_b32_dpp v11, v9 row_shr:1 row_mask:0xf bank_mask:0xf
	;; [unrolled: 1-line block ×4, first 2 shown]
	v_add_f64 v[8:9], v[8:9], v[10:11]
	v_add_f64 v[0:1], v[0:1], v[12:13]
	v_cmp_eq_u32_e32 vcc, 31, v7
	v_mov_b32_dpp v10, v8 row_shr:2 row_mask:0xf bank_mask:0xf
	v_mov_b32_dpp v11, v9 row_shr:2 row_mask:0xf bank_mask:0xf
	v_mov_b32_dpp v12, v0 row_shr:2 row_mask:0xf bank_mask:0xf
	v_mov_b32_dpp v13, v1 row_shr:2 row_mask:0xf bank_mask:0xf
	v_add_f64 v[8:9], v[8:9], v[10:11]
	v_add_f64 v[0:1], v[0:1], v[12:13]
	s_nop 0
	v_mov_b32_dpp v10, v8 row_shr:4 row_mask:0xf bank_mask:0xe
	v_mov_b32_dpp v11, v9 row_shr:4 row_mask:0xf bank_mask:0xe
	v_mov_b32_dpp v12, v0 row_shr:4 row_mask:0xf bank_mask:0xe
	v_mov_b32_dpp v13, v1 row_shr:4 row_mask:0xf bank_mask:0xe
	v_add_f64 v[8:9], v[8:9], v[10:11]
	v_add_f64 v[0:1], v[0:1], v[12:13]
	s_nop 0
	;; [unrolled: 7-line block ×3, first 2 shown]
	v_mov_b32_dpp v10, v8 row_bcast:15 row_mask:0xa bank_mask:0xf
	v_mov_b32_dpp v11, v9 row_bcast:15 row_mask:0xa bank_mask:0xf
	;; [unrolled: 1-line block ×4, first 2 shown]
	s_and_b64 exec, exec, vcc
	s_cbranch_execz .LBB89_23
; %bb.19:
	s_load_dwordx2 s[0:1], s[0:1], 0x38
	v_add_f64 v[8:9], v[8:9], v[10:11]
	v_add_f64 v[0:1], v[0:1], v[12:13]
	v_cmp_eq_f64_e32 vcc, 0, v[4:5]
	s_and_saveexec_b64 s[2:3], vcc
	s_xor_b64 s[2:3], exec, s[2:3]
	s_cbranch_execz .LBB89_21
; %bb.20:
	v_lshlrev_b32_e32 v6, 1, v6
	v_ashrrev_i32_e32 v7, 31, v6
	v_mul_f64 v[4:5], v[2:3], v[8:9]
	s_waitcnt lgkmcnt(0)
	v_lshl_add_u64 v[8:9], v[6:7], 3, s[0:1]
	v_mul_f64 v[6:7], v[2:3], v[0:1]
	global_store_dwordx4 v[8:9], v[4:7], off
                                        ; implicit-def: $vgpr6
                                        ; implicit-def: $vgpr2_vgpr3
                                        ; implicit-def: $vgpr8_vgpr9
                                        ; implicit-def: $vgpr4_vgpr5
                                        ; implicit-def: $vgpr0_vgpr1
.LBB89_21:
	s_andn2_saveexec_b64 s[2:3], s[2:3]
	s_cbranch_execz .LBB89_23
; %bb.22:
	v_lshlrev_b32_e32 v6, 1, v6
	v_ashrrev_i32_e32 v7, 31, v6
	s_waitcnt lgkmcnt(0)
	v_lshl_add_u64 v[14:15], v[6:7], 3, s[0:1]
	global_load_dwordx4 v[10:13], v[14:15], off
	v_mul_f64 v[6:7], v[2:3], v[8:9]
	v_mul_f64 v[8:9], v[2:3], v[0:1]
	s_waitcnt vmcnt(0)
	v_fmac_f64_e32 v[6:7], v[4:5], v[10:11]
	v_fmac_f64_e32 v[8:9], v[4:5], v[12:13]
	global_store_dwordx4 v[14:15], v[6:9], off
.LBB89_23:
	s_endpgm
	.section	.rodata,"a",@progbits
	.p2align	6, 0x0
	.amdhsa_kernel _ZN9rocsparseL19gebsrmvn_2xn_kernelILj128ELj4ELj32EdEEvi20rocsparse_direction_NS_24const_host_device_scalarIT2_EEPKiS6_PKS3_S8_S4_PS3_21rocsparse_index_base_b
		.amdhsa_group_segment_fixed_size 0
		.amdhsa_private_segment_fixed_size 0
		.amdhsa_kernarg_size 72
		.amdhsa_user_sgpr_count 2
		.amdhsa_user_sgpr_dispatch_ptr 0
		.amdhsa_user_sgpr_queue_ptr 0
		.amdhsa_user_sgpr_kernarg_segment_ptr 1
		.amdhsa_user_sgpr_dispatch_id 0
		.amdhsa_user_sgpr_kernarg_preload_length 0
		.amdhsa_user_sgpr_kernarg_preload_offset 0
		.amdhsa_user_sgpr_private_segment_size 0
		.amdhsa_uses_dynamic_stack 0
		.amdhsa_enable_private_segment 0
		.amdhsa_system_sgpr_workgroup_id_x 1
		.amdhsa_system_sgpr_workgroup_id_y 0
		.amdhsa_system_sgpr_workgroup_id_z 0
		.amdhsa_system_sgpr_workgroup_info 0
		.amdhsa_system_vgpr_workitem_id 0
		.amdhsa_next_free_vgpr 46
		.amdhsa_next_free_sgpr 18
		.amdhsa_accum_offset 48
		.amdhsa_reserve_vcc 1
		.amdhsa_float_round_mode_32 0
		.amdhsa_float_round_mode_16_64 0
		.amdhsa_float_denorm_mode_32 3
		.amdhsa_float_denorm_mode_16_64 3
		.amdhsa_dx10_clamp 1
		.amdhsa_ieee_mode 1
		.amdhsa_fp16_overflow 0
		.amdhsa_tg_split 0
		.amdhsa_exception_fp_ieee_invalid_op 0
		.amdhsa_exception_fp_denorm_src 0
		.amdhsa_exception_fp_ieee_div_zero 0
		.amdhsa_exception_fp_ieee_overflow 0
		.amdhsa_exception_fp_ieee_underflow 0
		.amdhsa_exception_fp_ieee_inexact 0
		.amdhsa_exception_int_div_zero 0
	.end_amdhsa_kernel
	.section	.text._ZN9rocsparseL19gebsrmvn_2xn_kernelILj128ELj4ELj32EdEEvi20rocsparse_direction_NS_24const_host_device_scalarIT2_EEPKiS6_PKS3_S8_S4_PS3_21rocsparse_index_base_b,"axG",@progbits,_ZN9rocsparseL19gebsrmvn_2xn_kernelILj128ELj4ELj32EdEEvi20rocsparse_direction_NS_24const_host_device_scalarIT2_EEPKiS6_PKS3_S8_S4_PS3_21rocsparse_index_base_b,comdat
.Lfunc_end89:
	.size	_ZN9rocsparseL19gebsrmvn_2xn_kernelILj128ELj4ELj32EdEEvi20rocsparse_direction_NS_24const_host_device_scalarIT2_EEPKiS6_PKS3_S8_S4_PS3_21rocsparse_index_base_b, .Lfunc_end89-_ZN9rocsparseL19gebsrmvn_2xn_kernelILj128ELj4ELj32EdEEvi20rocsparse_direction_NS_24const_host_device_scalarIT2_EEPKiS6_PKS3_S8_S4_PS3_21rocsparse_index_base_b
                                        ; -- End function
	.section	.AMDGPU.csdata,"",@progbits
; Kernel info:
; codeLenInByte = 1076
; NumSgprs: 24
; NumVgprs: 46
; NumAgprs: 0
; TotalNumVgprs: 46
; ScratchSize: 0
; MemoryBound: 1
; FloatMode: 240
; IeeeMode: 1
; LDSByteSize: 0 bytes/workgroup (compile time only)
; SGPRBlocks: 2
; VGPRBlocks: 5
; NumSGPRsForWavesPerEU: 24
; NumVGPRsForWavesPerEU: 46
; AccumOffset: 48
; Occupancy: 8
; WaveLimiterHint : 1
; COMPUTE_PGM_RSRC2:SCRATCH_EN: 0
; COMPUTE_PGM_RSRC2:USER_SGPR: 2
; COMPUTE_PGM_RSRC2:TRAP_HANDLER: 0
; COMPUTE_PGM_RSRC2:TGID_X_EN: 1
; COMPUTE_PGM_RSRC2:TGID_Y_EN: 0
; COMPUTE_PGM_RSRC2:TGID_Z_EN: 0
; COMPUTE_PGM_RSRC2:TIDIG_COMP_CNT: 0
; COMPUTE_PGM_RSRC3_GFX90A:ACCUM_OFFSET: 11
; COMPUTE_PGM_RSRC3_GFX90A:TG_SPLIT: 0
	.section	.text._ZN9rocsparseL19gebsrmvn_2xn_kernelILj128ELj4ELj64EdEEvi20rocsparse_direction_NS_24const_host_device_scalarIT2_EEPKiS6_PKS3_S8_S4_PS3_21rocsparse_index_base_b,"axG",@progbits,_ZN9rocsparseL19gebsrmvn_2xn_kernelILj128ELj4ELj64EdEEvi20rocsparse_direction_NS_24const_host_device_scalarIT2_EEPKiS6_PKS3_S8_S4_PS3_21rocsparse_index_base_b,comdat
	.globl	_ZN9rocsparseL19gebsrmvn_2xn_kernelILj128ELj4ELj64EdEEvi20rocsparse_direction_NS_24const_host_device_scalarIT2_EEPKiS6_PKS3_S8_S4_PS3_21rocsparse_index_base_b ; -- Begin function _ZN9rocsparseL19gebsrmvn_2xn_kernelILj128ELj4ELj64EdEEvi20rocsparse_direction_NS_24const_host_device_scalarIT2_EEPKiS6_PKS3_S8_S4_PS3_21rocsparse_index_base_b
	.p2align	8
	.type	_ZN9rocsparseL19gebsrmvn_2xn_kernelILj128ELj4ELj64EdEEvi20rocsparse_direction_NS_24const_host_device_scalarIT2_EEPKiS6_PKS3_S8_S4_PS3_21rocsparse_index_base_b,@function
_ZN9rocsparseL19gebsrmvn_2xn_kernelILj128ELj4ELj64EdEEvi20rocsparse_direction_NS_24const_host_device_scalarIT2_EEPKiS6_PKS3_S8_S4_PS3_21rocsparse_index_base_b: ; @_ZN9rocsparseL19gebsrmvn_2xn_kernelILj128ELj4ELj64EdEEvi20rocsparse_direction_NS_24const_host_device_scalarIT2_EEPKiS6_PKS3_S8_S4_PS3_21rocsparse_index_base_b
; %bb.0:
	s_load_dwordx2 s[12:13], s[0:1], 0x40
	s_load_dwordx2 s[8:9], s[0:1], 0x8
	;; [unrolled: 1-line block ×3, first 2 shown]
	s_waitcnt lgkmcnt(0)
	s_bitcmp1_b32 s13, 0
	s_cselect_b64 s[10:11], -1, 0
	s_xor_b64 s[6:7], s[10:11], -1
	s_and_b64 vcc, exec, s[10:11]
	v_mov_b64_e32 v[2:3], s[8:9]
	s_cbranch_vccnz .LBB90_2
; %bb.1:
	v_mov_b64_e32 v[2:3], s[8:9]
	flat_load_dwordx2 v[2:3], v[2:3]
.LBB90_2:
	s_andn2_b64 vcc, exec, s[6:7]
	v_mov_b64_e32 v[4:5], s[4:5]
	s_cbranch_vccnz .LBB90_4
; %bb.3:
	v_mov_b64_e32 v[4:5], s[4:5]
	flat_load_dwordx2 v[4:5], v[4:5]
.LBB90_4:
	s_waitcnt vmcnt(0) lgkmcnt(0)
	v_cmp_neq_f64_e32 vcc, 0, v[2:3]
	v_cmp_neq_f64_e64 s[4:5], 1.0, v[4:5]
	s_or_b64 s[4:5], vcc, s[4:5]
	s_and_saveexec_b64 s[6:7], s[4:5]
	s_cbranch_execz .LBB90_23
; %bb.5:
	s_load_dwordx2 s[14:15], s[0:1], 0x0
	v_lshrrev_b32_e32 v1, 6, v0
	v_lshl_or_b32 v6, s2, 1, v1
	s_waitcnt lgkmcnt(0)
	v_cmp_gt_i32_e32 vcc, s14, v6
	s_and_b64 exec, exec, vcc
	s_cbranch_execz .LBB90_23
; %bb.6:
	s_load_dwordx8 s[4:11], s[0:1], 0x10
	v_ashrrev_i32_e32 v7, 31, v6
	s_cmp_lg_u32 s15, 0
	s_waitcnt lgkmcnt(0)
	v_lshl_add_u64 v[8:9], v[6:7], 2, s[4:5]
	global_load_dwordx2 v[8:9], v[8:9], off
	v_and_b32_e32 v7, 63, v0
	s_waitcnt vmcnt(0)
	v_subrev_u32_e32 v0, s12, v8
	v_subrev_u32_e32 v16, s12, v9
	v_add_u32_e32 v10, v0, v7
	v_cmp_lt_i32_e64 s[2:3], v10, v16
	s_cbranch_scc0 .LBB90_12
; %bb.7:
	v_mov_b64_e32 v[8:9], 0
	s_mov_b64 s[4:5], 0
	v_mov_b64_e32 v[0:1], v[8:9]
	s_and_saveexec_b64 s[14:15], s[2:3]
	s_cbranch_execz .LBB90_11
; %bb.8:
	v_mov_b64_e32 v[8:9], 0
	v_lshlrev_b32_e32 v12, 3, v10
	s_mov_b64 s[16:17], 0
	v_mov_b32_e32 v13, 0
	v_mov_b32_e32 v14, v10
	v_mov_b64_e32 v[0:1], v[8:9]
.LBB90_9:                               ; =>This Inner Loop Header: Depth=1
	v_ashrrev_i32_e32 v15, 31, v14
	v_lshl_add_u64 v[18:19], v[14:15], 2, s[6:7]
	global_load_dword v11, v[18:19], off
	v_lshl_add_u64 v[42:43], v[12:13], 3, s[8:9]
	global_load_dwordx4 v[18:21], v[42:43], off offset:16
	global_load_dwordx4 v[22:25], v[42:43], off
	v_mov_b32_e32 v27, v13
	v_add_u32_e32 v14, 64, v14
	v_cmp_ge_i32_e32 vcc, v14, v16
	v_add_u32_e32 v12, 0x200, v12
	s_or_b64 s[16:17], vcc, s[16:17]
	s_waitcnt vmcnt(2)
	v_subrev_u32_e32 v11, s12, v11
	v_lshlrev_b32_e32 v26, 2, v11
	v_lshl_add_u64 v[44:45], v[26:27], 3, s[10:11]
	global_load_dwordx4 v[26:29], v[44:45], off
	global_load_dwordx4 v[30:33], v[44:45], off offset:16
	global_load_dwordx4 v[34:37], v[42:43], off offset:32
	;; [unrolled: 1-line block ×3, first 2 shown]
	s_waitcnt vmcnt(3)
	v_fmac_f64_e32 v[8:9], v[22:23], v[26:27]
	v_fmac_f64_e32 v[0:1], v[24:25], v[26:27]
	;; [unrolled: 1-line block ×4, first 2 shown]
	s_waitcnt vmcnt(1)
	v_fmac_f64_e32 v[8:9], v[34:35], v[30:31]
	v_fmac_f64_e32 v[0:1], v[36:37], v[30:31]
	s_waitcnt vmcnt(0)
	v_fmac_f64_e32 v[8:9], v[38:39], v[32:33]
	v_fmac_f64_e32 v[0:1], v[40:41], v[32:33]
	s_andn2_b64 exec, exec, s[16:17]
	s_cbranch_execnz .LBB90_9
; %bb.10:
	s_or_b64 exec, exec, s[16:17]
.LBB90_11:
	s_or_b64 exec, exec, s[14:15]
	s_andn2_b64 vcc, exec, s[4:5]
	s_cbranch_vccz .LBB90_13
	s_branch .LBB90_18
.LBB90_12:
                                        ; implicit-def: $vgpr8_vgpr9
                                        ; implicit-def: $vgpr0_vgpr1
.LBB90_13:
	v_mov_b64_e32 v[8:9], 0
	v_mov_b64_e32 v[0:1], v[8:9]
	s_and_saveexec_b64 s[4:5], s[2:3]
	s_cbranch_execz .LBB90_17
; %bb.14:
	v_mov_b64_e32 v[8:9], 0
	v_lshlrev_b32_e32 v12, 3, v10
	s_mov_b64 s[2:3], 0
	v_mov_b32_e32 v13, 0
	v_mov_b64_e32 v[0:1], v[8:9]
.LBB90_15:                              ; =>This Inner Loop Header: Depth=1
	v_ashrrev_i32_e32 v11, 31, v10
	v_lshl_add_u64 v[14:15], v[10:11], 2, s[6:7]
	global_load_dword v11, v[14:15], off
	v_lshl_add_u64 v[14:15], v[12:13], 3, s[8:9]
	v_mov_b32_e32 v35, v13
	global_load_dwordx4 v[18:21], v[14:15], off offset:48
	global_load_dwordx4 v[22:25], v[14:15], off offset:32
	;; [unrolled: 1-line block ×3, first 2 shown]
	global_load_dwordx4 v[30:33], v[14:15], off
	v_add_u32_e32 v10, 64, v10
	v_cmp_ge_i32_e32 vcc, v10, v16
	v_add_u32_e32 v12, 0x200, v12
	s_or_b64 s[2:3], vcc, s[2:3]
	s_waitcnt vmcnt(4)
	v_subrev_u32_e32 v11, s12, v11
	v_lshlrev_b32_e32 v34, 2, v11
	v_lshl_add_u64 v[14:15], v[34:35], 3, s[10:11]
	global_load_dwordx4 v[34:37], v[14:15], off
	global_load_dwordx4 v[38:41], v[14:15], off offset:16
	s_waitcnt vmcnt(1)
	v_fmac_f64_e32 v[8:9], v[30:31], v[34:35]
	v_fmac_f64_e32 v[0:1], v[22:23], v[34:35]
	;; [unrolled: 1-line block ×4, first 2 shown]
	s_waitcnt vmcnt(0)
	v_fmac_f64_e32 v[8:9], v[26:27], v[38:39]
	v_fmac_f64_e32 v[0:1], v[18:19], v[38:39]
	v_fmac_f64_e32 v[8:9], v[28:29], v[40:41]
	v_fmac_f64_e32 v[0:1], v[20:21], v[40:41]
	s_andn2_b64 exec, exec, s[2:3]
	s_cbranch_execnz .LBB90_15
; %bb.16:
	s_or_b64 exec, exec, s[2:3]
.LBB90_17:
	s_or_b64 exec, exec, s[4:5]
.LBB90_18:
	v_mov_b32_dpp v10, v8 row_shr:1 row_mask:0xf bank_mask:0xf
	v_mov_b32_dpp v11, v9 row_shr:1 row_mask:0xf bank_mask:0xf
	;; [unrolled: 1-line block ×4, first 2 shown]
	v_add_f64 v[8:9], v[8:9], v[10:11]
	v_add_f64 v[0:1], v[0:1], v[12:13]
	v_cmp_eq_u32_e32 vcc, 63, v7
	v_mov_b32_dpp v10, v8 row_shr:2 row_mask:0xf bank_mask:0xf
	v_mov_b32_dpp v11, v9 row_shr:2 row_mask:0xf bank_mask:0xf
	v_mov_b32_dpp v12, v0 row_shr:2 row_mask:0xf bank_mask:0xf
	v_mov_b32_dpp v13, v1 row_shr:2 row_mask:0xf bank_mask:0xf
	v_add_f64 v[8:9], v[8:9], v[10:11]
	v_add_f64 v[0:1], v[0:1], v[12:13]
	s_nop 0
	v_mov_b32_dpp v10, v8 row_shr:4 row_mask:0xf bank_mask:0xe
	v_mov_b32_dpp v11, v9 row_shr:4 row_mask:0xf bank_mask:0xe
	v_mov_b32_dpp v12, v0 row_shr:4 row_mask:0xf bank_mask:0xe
	v_mov_b32_dpp v13, v1 row_shr:4 row_mask:0xf bank_mask:0xe
	v_add_f64 v[8:9], v[8:9], v[10:11]
	v_add_f64 v[0:1], v[0:1], v[12:13]
	s_nop 0
	;; [unrolled: 7-line block ×3, first 2 shown]
	v_mov_b32_dpp v10, v8 row_bcast:15 row_mask:0xa bank_mask:0xf
	v_mov_b32_dpp v11, v9 row_bcast:15 row_mask:0xa bank_mask:0xf
	v_mov_b32_dpp v12, v0 row_bcast:15 row_mask:0xa bank_mask:0xf
	v_mov_b32_dpp v13, v1 row_bcast:15 row_mask:0xa bank_mask:0xf
	v_add_f64 v[8:9], v[8:9], v[10:11]
	v_add_f64 v[0:1], v[0:1], v[12:13]
	s_nop 0
	v_mov_b32_dpp v10, v8 row_bcast:31 row_mask:0xc bank_mask:0xf
	v_mov_b32_dpp v11, v9 row_bcast:31 row_mask:0xc bank_mask:0xf
	;; [unrolled: 1-line block ×4, first 2 shown]
	s_and_b64 exec, exec, vcc
	s_cbranch_execz .LBB90_23
; %bb.19:
	s_load_dwordx2 s[0:1], s[0:1], 0x38
	v_add_f64 v[8:9], v[8:9], v[10:11]
	v_add_f64 v[0:1], v[0:1], v[12:13]
	v_cmp_eq_f64_e32 vcc, 0, v[4:5]
	s_and_saveexec_b64 s[2:3], vcc
	s_xor_b64 s[2:3], exec, s[2:3]
	s_cbranch_execz .LBB90_21
; %bb.20:
	v_lshlrev_b32_e32 v6, 1, v6
	v_ashrrev_i32_e32 v7, 31, v6
	v_mul_f64 v[4:5], v[2:3], v[8:9]
	s_waitcnt lgkmcnt(0)
	v_lshl_add_u64 v[8:9], v[6:7], 3, s[0:1]
	v_mul_f64 v[6:7], v[2:3], v[0:1]
	global_store_dwordx4 v[8:9], v[4:7], off
                                        ; implicit-def: $vgpr6
                                        ; implicit-def: $vgpr2_vgpr3
                                        ; implicit-def: $vgpr8_vgpr9
                                        ; implicit-def: $vgpr4_vgpr5
                                        ; implicit-def: $vgpr0_vgpr1
.LBB90_21:
	s_andn2_saveexec_b64 s[2:3], s[2:3]
	s_cbranch_execz .LBB90_23
; %bb.22:
	v_lshlrev_b32_e32 v6, 1, v6
	v_ashrrev_i32_e32 v7, 31, v6
	s_waitcnt lgkmcnt(0)
	v_lshl_add_u64 v[14:15], v[6:7], 3, s[0:1]
	global_load_dwordx4 v[10:13], v[14:15], off
	v_mul_f64 v[6:7], v[2:3], v[8:9]
	v_mul_f64 v[8:9], v[2:3], v[0:1]
	s_waitcnt vmcnt(0)
	v_fmac_f64_e32 v[6:7], v[4:5], v[10:11]
	v_fmac_f64_e32 v[8:9], v[4:5], v[12:13]
	global_store_dwordx4 v[14:15], v[6:9], off
.LBB90_23:
	s_endpgm
	.section	.rodata,"a",@progbits
	.p2align	6, 0x0
	.amdhsa_kernel _ZN9rocsparseL19gebsrmvn_2xn_kernelILj128ELj4ELj64EdEEvi20rocsparse_direction_NS_24const_host_device_scalarIT2_EEPKiS6_PKS3_S8_S4_PS3_21rocsparse_index_base_b
		.amdhsa_group_segment_fixed_size 0
		.amdhsa_private_segment_fixed_size 0
		.amdhsa_kernarg_size 72
		.amdhsa_user_sgpr_count 2
		.amdhsa_user_sgpr_dispatch_ptr 0
		.amdhsa_user_sgpr_queue_ptr 0
		.amdhsa_user_sgpr_kernarg_segment_ptr 1
		.amdhsa_user_sgpr_dispatch_id 0
		.amdhsa_user_sgpr_kernarg_preload_length 0
		.amdhsa_user_sgpr_kernarg_preload_offset 0
		.amdhsa_user_sgpr_private_segment_size 0
		.amdhsa_uses_dynamic_stack 0
		.amdhsa_enable_private_segment 0
		.amdhsa_system_sgpr_workgroup_id_x 1
		.amdhsa_system_sgpr_workgroup_id_y 0
		.amdhsa_system_sgpr_workgroup_id_z 0
		.amdhsa_system_sgpr_workgroup_info 0
		.amdhsa_system_vgpr_workitem_id 0
		.amdhsa_next_free_vgpr 46
		.amdhsa_next_free_sgpr 18
		.amdhsa_accum_offset 48
		.amdhsa_reserve_vcc 1
		.amdhsa_float_round_mode_32 0
		.amdhsa_float_round_mode_16_64 0
		.amdhsa_float_denorm_mode_32 3
		.amdhsa_float_denorm_mode_16_64 3
		.amdhsa_dx10_clamp 1
		.amdhsa_ieee_mode 1
		.amdhsa_fp16_overflow 0
		.amdhsa_tg_split 0
		.amdhsa_exception_fp_ieee_invalid_op 0
		.amdhsa_exception_fp_denorm_src 0
		.amdhsa_exception_fp_ieee_div_zero 0
		.amdhsa_exception_fp_ieee_overflow 0
		.amdhsa_exception_fp_ieee_underflow 0
		.amdhsa_exception_fp_ieee_inexact 0
		.amdhsa_exception_int_div_zero 0
	.end_amdhsa_kernel
	.section	.text._ZN9rocsparseL19gebsrmvn_2xn_kernelILj128ELj4ELj64EdEEvi20rocsparse_direction_NS_24const_host_device_scalarIT2_EEPKiS6_PKS3_S8_S4_PS3_21rocsparse_index_base_b,"axG",@progbits,_ZN9rocsparseL19gebsrmvn_2xn_kernelILj128ELj4ELj64EdEEvi20rocsparse_direction_NS_24const_host_device_scalarIT2_EEPKiS6_PKS3_S8_S4_PS3_21rocsparse_index_base_b,comdat
.Lfunc_end90:
	.size	_ZN9rocsparseL19gebsrmvn_2xn_kernelILj128ELj4ELj64EdEEvi20rocsparse_direction_NS_24const_host_device_scalarIT2_EEPKiS6_PKS3_S8_S4_PS3_21rocsparse_index_base_b, .Lfunc_end90-_ZN9rocsparseL19gebsrmvn_2xn_kernelILj128ELj4ELj64EdEEvi20rocsparse_direction_NS_24const_host_device_scalarIT2_EEPKiS6_PKS3_S8_S4_PS3_21rocsparse_index_base_b
                                        ; -- End function
	.section	.AMDGPU.csdata,"",@progbits
; Kernel info:
; codeLenInByte = 1128
; NumSgprs: 24
; NumVgprs: 46
; NumAgprs: 0
; TotalNumVgprs: 46
; ScratchSize: 0
; MemoryBound: 1
; FloatMode: 240
; IeeeMode: 1
; LDSByteSize: 0 bytes/workgroup (compile time only)
; SGPRBlocks: 2
; VGPRBlocks: 5
; NumSGPRsForWavesPerEU: 24
; NumVGPRsForWavesPerEU: 46
; AccumOffset: 48
; Occupancy: 8
; WaveLimiterHint : 1
; COMPUTE_PGM_RSRC2:SCRATCH_EN: 0
; COMPUTE_PGM_RSRC2:USER_SGPR: 2
; COMPUTE_PGM_RSRC2:TRAP_HANDLER: 0
; COMPUTE_PGM_RSRC2:TGID_X_EN: 1
; COMPUTE_PGM_RSRC2:TGID_Y_EN: 0
; COMPUTE_PGM_RSRC2:TGID_Z_EN: 0
; COMPUTE_PGM_RSRC2:TIDIG_COMP_CNT: 0
; COMPUTE_PGM_RSRC3_GFX90A:ACCUM_OFFSET: 11
; COMPUTE_PGM_RSRC3_GFX90A:TG_SPLIT: 0
	.section	.text._ZN9rocsparseL19gebsrmvn_2xn_kernelILj128ELj5ELj4EdEEvi20rocsparse_direction_NS_24const_host_device_scalarIT2_EEPKiS6_PKS3_S8_S4_PS3_21rocsparse_index_base_b,"axG",@progbits,_ZN9rocsparseL19gebsrmvn_2xn_kernelILj128ELj5ELj4EdEEvi20rocsparse_direction_NS_24const_host_device_scalarIT2_EEPKiS6_PKS3_S8_S4_PS3_21rocsparse_index_base_b,comdat
	.globl	_ZN9rocsparseL19gebsrmvn_2xn_kernelILj128ELj5ELj4EdEEvi20rocsparse_direction_NS_24const_host_device_scalarIT2_EEPKiS6_PKS3_S8_S4_PS3_21rocsparse_index_base_b ; -- Begin function _ZN9rocsparseL19gebsrmvn_2xn_kernelILj128ELj5ELj4EdEEvi20rocsparse_direction_NS_24const_host_device_scalarIT2_EEPKiS6_PKS3_S8_S4_PS3_21rocsparse_index_base_b
	.p2align	8
	.type	_ZN9rocsparseL19gebsrmvn_2xn_kernelILj128ELj5ELj4EdEEvi20rocsparse_direction_NS_24const_host_device_scalarIT2_EEPKiS6_PKS3_S8_S4_PS3_21rocsparse_index_base_b,@function
_ZN9rocsparseL19gebsrmvn_2xn_kernelILj128ELj5ELj4EdEEvi20rocsparse_direction_NS_24const_host_device_scalarIT2_EEPKiS6_PKS3_S8_S4_PS3_21rocsparse_index_base_b: ; @_ZN9rocsparseL19gebsrmvn_2xn_kernelILj128ELj5ELj4EdEEvi20rocsparse_direction_NS_24const_host_device_scalarIT2_EEPKiS6_PKS3_S8_S4_PS3_21rocsparse_index_base_b
; %bb.0:
	s_load_dwordx2 s[12:13], s[0:1], 0x40
	s_load_dwordx2 s[8:9], s[0:1], 0x8
	s_load_dwordx2 s[4:5], s[0:1], 0x30
	s_waitcnt lgkmcnt(0)
	s_bitcmp1_b32 s13, 0
	s_cselect_b64 s[10:11], -1, 0
	s_xor_b64 s[6:7], s[10:11], -1
	s_and_b64 vcc, exec, s[10:11]
	v_mov_b64_e32 v[2:3], s[8:9]
	s_cbranch_vccnz .LBB91_2
; %bb.1:
	v_mov_b64_e32 v[2:3], s[8:9]
	flat_load_dwordx2 v[2:3], v[2:3]
.LBB91_2:
	s_andn2_b64 vcc, exec, s[6:7]
	v_mov_b64_e32 v[4:5], s[4:5]
	s_cbranch_vccnz .LBB91_4
; %bb.3:
	v_mov_b64_e32 v[4:5], s[4:5]
	flat_load_dwordx2 v[4:5], v[4:5]
.LBB91_4:
	s_waitcnt vmcnt(0) lgkmcnt(0)
	v_cmp_neq_f64_e32 vcc, 0, v[2:3]
	v_cmp_neq_f64_e64 s[4:5], 1.0, v[4:5]
	s_or_b64 s[4:5], vcc, s[4:5]
	s_and_saveexec_b64 s[6:7], s[4:5]
	s_cbranch_execz .LBB91_23
; %bb.5:
	s_load_dwordx2 s[14:15], s[0:1], 0x0
	v_lshrrev_b32_e32 v1, 2, v0
	v_lshl_or_b32 v6, s2, 5, v1
	s_waitcnt lgkmcnt(0)
	v_cmp_gt_i32_e32 vcc, s14, v6
	s_and_b64 exec, exec, vcc
	s_cbranch_execz .LBB91_23
; %bb.6:
	s_load_dwordx8 s[4:11], s[0:1], 0x10
	v_ashrrev_i32_e32 v7, 31, v6
	s_cmp_lg_u32 s15, 0
	s_waitcnt lgkmcnt(0)
	v_lshl_add_u64 v[8:9], v[6:7], 2, s[4:5]
	global_load_dwordx2 v[8:9], v[8:9], off
	v_and_b32_e32 v7, 3, v0
	s_waitcnt vmcnt(0)
	v_subrev_u32_e32 v0, s12, v8
	v_subrev_u32_e32 v18, s12, v9
	v_add_u32_e32 v8, v0, v7
	v_cmp_lt_i32_e64 s[2:3], v8, v18
	s_cbranch_scc0 .LBB91_12
; %bb.7:
	v_mov_b64_e32 v[0:1], 0
	s_mov_b64 s[4:5], 0
	v_mov_b64_e32 v[10:11], v[0:1]
	s_and_saveexec_b64 s[14:15], s[2:3]
	s_cbranch_execz .LBB91_11
; %bb.8:
	v_mad_u64_u32 v[12:13], s[16:17], v8, 10, 8
	v_mov_b64_e32 v[0:1], 0
	s_mov_b64 s[16:17], 0
	v_mov_b32_e32 v15, 0
	v_mov_b32_e32 v16, v8
	v_mov_b64_e32 v[10:11], v[0:1]
.LBB91_9:                               ; =>This Inner Loop Header: Depth=1
	v_ashrrev_i32_e32 v17, 31, v16
	v_lshl_add_u64 v[20:21], v[16:17], 2, s[6:7]
	global_load_dword v9, v[20:21], off
	v_add_u32_e32 v14, -8, v12
	v_mov_b32_e32 v13, v15
	v_mov_b32_e32 v41, v15
	v_lshl_add_u64 v[20:21], v[14:15], 3, s[8:9]
	v_add_u32_e32 v14, -6, v12
	v_lshl_add_u64 v[32:33], v[12:13], 3, s[8:9]
	global_load_dwordx4 v[20:23], v[20:21], off
	v_lshl_add_u64 v[34:35], v[14:15], 3, s[8:9]
	global_load_dwordx4 v[24:27], v[32:33], off
	global_load_dwordx4 v[28:31], v[34:35], off
	v_add_u32_e32 v16, 4, v16
	v_cmp_ge_i32_e32 vcc, v16, v18
	s_or_b64 s[16:17], vcc, s[16:17]
	s_waitcnt vmcnt(3)
	v_subrev_u32_e32 v9, s12, v9
	v_lshl_add_u32 v40, v9, 2, v9
	v_lshl_add_u64 v[32:33], v[40:41], 3, s[10:11]
	v_add_u32_e32 v14, 1, v40
	global_load_dwordx2 v[42:43], v[32:33], off
	v_lshl_add_u64 v[32:33], v[14:15], 3, s[10:11]
	v_add_u32_e32 v14, -4, v12
	global_load_dwordx2 v[44:45], v[32:33], off
	v_lshl_add_u64 v[32:33], v[14:15], 3, s[8:9]
	v_add_u32_e32 v14, 2, v40
	v_lshl_add_u64 v[36:37], v[14:15], 3, s[10:11]
	v_add_u32_e32 v14, -2, v12
	global_load_dwordx2 v[46:47], v[36:37], off
	v_lshl_add_u64 v[36:37], v[14:15], 3, s[8:9]
	v_add_u32_e32 v14, 3, v40
	global_load_dwordx4 v[32:35], v[32:33], off
	v_lshl_add_u64 v[48:49], v[14:15], 3, s[10:11]
	v_add_u32_e32 v14, 4, v40
	global_load_dwordx4 v[36:39], v[36:37], off
	v_add_u32_e32 v12, 40, v12
	global_load_dwordx2 v[40:41], v[48:49], off
	v_lshl_add_u64 v[48:49], v[14:15], 3, s[10:11]
	global_load_dwordx2 v[48:49], v[48:49], off
	s_waitcnt vmcnt(6)
	v_fmac_f64_e32 v[0:1], v[20:21], v[42:43]
	v_fmac_f64_e32 v[10:11], v[22:23], v[42:43]
	s_waitcnt vmcnt(5)
	v_fmac_f64_e32 v[0:1], v[28:29], v[44:45]
	v_fmac_f64_e32 v[10:11], v[30:31], v[44:45]
	;; [unrolled: 3-line block ×5, first 2 shown]
	s_andn2_b64 exec, exec, s[16:17]
	s_cbranch_execnz .LBB91_9
; %bb.10:
	s_or_b64 exec, exec, s[16:17]
.LBB91_11:
	s_or_b64 exec, exec, s[14:15]
	s_andn2_b64 vcc, exec, s[4:5]
	s_cbranch_vccz .LBB91_13
	s_branch .LBB91_18
.LBB91_12:
                                        ; implicit-def: $vgpr0_vgpr1
                                        ; implicit-def: $vgpr10_vgpr11
.LBB91_13:
	v_mov_b64_e32 v[0:1], 0
	v_mov_b64_e32 v[10:11], v[0:1]
	s_and_saveexec_b64 s[4:5], s[2:3]
	s_cbranch_execz .LBB91_17
; %bb.14:
	v_mad_u64_u32 v[12:13], s[2:3], v8, 10, 9
	v_mov_b64_e32 v[0:1], 0
	s_mov_b64 s[2:3], 0
	v_mov_b32_e32 v15, 0
	v_mov_b64_e32 v[10:11], v[0:1]
.LBB91_15:                              ; =>This Inner Loop Header: Depth=1
	v_ashrrev_i32_e32 v9, 31, v8
	v_lshl_add_u64 v[16:17], v[8:9], 2, s[6:7]
	global_load_dword v9, v[16:17], off
	v_add_u32_e32 v14, -9, v12
	v_add_u32_e32 v16, -4, v12
	v_mov_b32_e32 v17, v15
	v_mov_b32_e32 v13, v15
	v_lshl_add_u64 v[26:27], v[14:15], 3, s[8:9]
	v_lshl_add_u64 v[16:17], v[16:17], 3, s[8:9]
	;; [unrolled: 1-line block ×3, first 2 shown]
	global_load_dwordx4 v[20:23], v[26:27], off
	global_load_dwordx2 v[30:31], v[16:17], off
	global_load_dwordx2 v[32:33], v[28:29], off
	v_mov_b32_e32 v25, v15
	v_add_u32_e32 v8, 4, v8
	v_cmp_ge_i32_e32 vcc, v8, v18
	s_or_b64 s[2:3], vcc, s[2:3]
	s_waitcnt vmcnt(3)
	v_subrev_u32_e32 v9, s12, v9
	v_lshl_add_u32 v24, v9, 2, v9
	v_add_u32_e32 v14, 1, v24
	v_lshl_add_u64 v[26:27], v[14:15], 3, s[10:11]
	v_add_u32_e32 v14, -3, v12
	v_lshl_add_u64 v[28:29], v[14:15], 3, s[8:9]
	v_add_u32_e32 v14, -7, v12
	v_lshl_add_u64 v[16:17], v[24:25], 3, s[10:11]
	v_lshl_add_u64 v[34:35], v[14:15], 3, s[8:9]
	v_add_u32_e32 v14, 2, v24
	global_load_dwordx2 v[16:17], v[16:17], off
	s_nop 0
	global_load_dwordx2 v[26:27], v[26:27], off
	s_nop 0
	global_load_dwordx2 v[36:37], v[28:29], off
	global_load_dwordx2 v[38:39], v[34:35], off
	v_lshl_add_u64 v[28:29], v[14:15], 3, s[10:11]
	v_add_u32_e32 v14, -2, v12
	v_lshl_add_u64 v[34:35], v[14:15], 3, s[8:9]
	v_add_u32_e32 v14, -6, v12
	v_lshl_add_u64 v[40:41], v[14:15], 3, s[8:9]
	v_add_u32_e32 v14, 3, v24
	global_load_dwordx2 v[28:29], v[28:29], off
	s_nop 0
	global_load_dwordx2 v[42:43], v[34:35], off
	global_load_dwordx2 v[44:45], v[40:41], off
	v_lshl_add_u64 v[34:35], v[14:15], 3, s[10:11]
	v_add_u32_e32 v14, -1, v12
	v_lshl_add_u64 v[40:41], v[14:15], 3, s[8:9]
	v_add_u32_e32 v14, -5, v12
	v_lshl_add_u64 v[46:47], v[14:15], 3, s[8:9]
	v_add_u32_e32 v14, 4, v24
	global_load_dwordx2 v[34:35], v[34:35], off
	s_nop 0
	global_load_dwordx2 v[24:25], v[40:41], off
	global_load_dwordx2 v[48:49], v[46:47], off
	v_lshl_add_u64 v[40:41], v[14:15], 3, s[10:11]
	global_load_dwordx2 v[40:41], v[40:41], off
	v_add_u32_e32 v12, 40, v12
	s_waitcnt vmcnt(10)
	v_fmac_f64_e32 v[0:1], v[20:21], v[16:17]
	v_fmac_f64_e32 v[10:11], v[30:31], v[16:17]
	s_waitcnt vmcnt(9)
	v_fmac_f64_e32 v[0:1], v[22:23], v[26:27]
	s_waitcnt vmcnt(8)
	;; [unrolled: 2-line block ×7, first 2 shown]
	v_fmac_f64_e32 v[0:1], v[48:49], v[40:41]
	v_fmac_f64_e32 v[10:11], v[32:33], v[40:41]
	s_andn2_b64 exec, exec, s[2:3]
	s_cbranch_execnz .LBB91_15
; %bb.16:
	s_or_b64 exec, exec, s[2:3]
.LBB91_17:
	s_or_b64 exec, exec, s[4:5]
.LBB91_18:
	v_mov_b32_dpp v8, v0 row_shr:1 row_mask:0xf bank_mask:0xf
	v_mov_b32_dpp v9, v1 row_shr:1 row_mask:0xf bank_mask:0xf
	;; [unrolled: 1-line block ×4, first 2 shown]
	v_add_f64 v[0:1], v[0:1], v[8:9]
	v_add_f64 v[10:11], v[10:11], v[12:13]
	v_cmp_eq_u32_e32 vcc, 3, v7
	v_mov_b32_dpp v8, v0 row_shr:2 row_mask:0xf bank_mask:0xf
	v_mov_b32_dpp v9, v1 row_shr:2 row_mask:0xf bank_mask:0xf
	;; [unrolled: 1-line block ×4, first 2 shown]
	s_and_b64 exec, exec, vcc
	s_cbranch_execz .LBB91_23
; %bb.19:
	s_load_dwordx2 s[0:1], s[0:1], 0x38
	v_add_f64 v[8:9], v[0:1], v[8:9]
	v_add_f64 v[0:1], v[10:11], v[12:13]
	v_cmp_eq_f64_e32 vcc, 0, v[4:5]
	s_and_saveexec_b64 s[2:3], vcc
	s_xor_b64 s[2:3], exec, s[2:3]
	s_cbranch_execz .LBB91_21
; %bb.20:
	v_lshlrev_b32_e32 v6, 1, v6
	v_ashrrev_i32_e32 v7, 31, v6
	v_mul_f64 v[4:5], v[2:3], v[8:9]
	s_waitcnt lgkmcnt(0)
	v_lshl_add_u64 v[8:9], v[6:7], 3, s[0:1]
	v_mul_f64 v[6:7], v[2:3], v[0:1]
	global_store_dwordx4 v[8:9], v[4:7], off
                                        ; implicit-def: $vgpr6
                                        ; implicit-def: $vgpr2_vgpr3
                                        ; implicit-def: $vgpr8_vgpr9
                                        ; implicit-def: $vgpr4_vgpr5
                                        ; implicit-def: $vgpr0_vgpr1
.LBB91_21:
	s_andn2_saveexec_b64 s[2:3], s[2:3]
	s_cbranch_execz .LBB91_23
; %bb.22:
	v_lshlrev_b32_e32 v6, 1, v6
	v_ashrrev_i32_e32 v7, 31, v6
	s_waitcnt lgkmcnt(0)
	v_lshl_add_u64 v[14:15], v[6:7], 3, s[0:1]
	global_load_dwordx4 v[10:13], v[14:15], off
	v_mul_f64 v[6:7], v[2:3], v[8:9]
	v_mul_f64 v[8:9], v[2:3], v[0:1]
	s_waitcnt vmcnt(0)
	v_fmac_f64_e32 v[6:7], v[4:5], v[10:11]
	v_fmac_f64_e32 v[8:9], v[4:5], v[12:13]
	global_store_dwordx4 v[14:15], v[6:9], off
.LBB91_23:
	s_endpgm
	.section	.rodata,"a",@progbits
	.p2align	6, 0x0
	.amdhsa_kernel _ZN9rocsparseL19gebsrmvn_2xn_kernelILj128ELj5ELj4EdEEvi20rocsparse_direction_NS_24const_host_device_scalarIT2_EEPKiS6_PKS3_S8_S4_PS3_21rocsparse_index_base_b
		.amdhsa_group_segment_fixed_size 0
		.amdhsa_private_segment_fixed_size 0
		.amdhsa_kernarg_size 72
		.amdhsa_user_sgpr_count 2
		.amdhsa_user_sgpr_dispatch_ptr 0
		.amdhsa_user_sgpr_queue_ptr 0
		.amdhsa_user_sgpr_kernarg_segment_ptr 1
		.amdhsa_user_sgpr_dispatch_id 0
		.amdhsa_user_sgpr_kernarg_preload_length 0
		.amdhsa_user_sgpr_kernarg_preload_offset 0
		.amdhsa_user_sgpr_private_segment_size 0
		.amdhsa_uses_dynamic_stack 0
		.amdhsa_enable_private_segment 0
		.amdhsa_system_sgpr_workgroup_id_x 1
		.amdhsa_system_sgpr_workgroup_id_y 0
		.amdhsa_system_sgpr_workgroup_id_z 0
		.amdhsa_system_sgpr_workgroup_info 0
		.amdhsa_system_vgpr_workitem_id 0
		.amdhsa_next_free_vgpr 50
		.amdhsa_next_free_sgpr 18
		.amdhsa_accum_offset 52
		.amdhsa_reserve_vcc 1
		.amdhsa_float_round_mode_32 0
		.amdhsa_float_round_mode_16_64 0
		.amdhsa_float_denorm_mode_32 3
		.amdhsa_float_denorm_mode_16_64 3
		.amdhsa_dx10_clamp 1
		.amdhsa_ieee_mode 1
		.amdhsa_fp16_overflow 0
		.amdhsa_tg_split 0
		.amdhsa_exception_fp_ieee_invalid_op 0
		.amdhsa_exception_fp_denorm_src 0
		.amdhsa_exception_fp_ieee_div_zero 0
		.amdhsa_exception_fp_ieee_overflow 0
		.amdhsa_exception_fp_ieee_underflow 0
		.amdhsa_exception_fp_ieee_inexact 0
		.amdhsa_exception_int_div_zero 0
	.end_amdhsa_kernel
	.section	.text._ZN9rocsparseL19gebsrmvn_2xn_kernelILj128ELj5ELj4EdEEvi20rocsparse_direction_NS_24const_host_device_scalarIT2_EEPKiS6_PKS3_S8_S4_PS3_21rocsparse_index_base_b,"axG",@progbits,_ZN9rocsparseL19gebsrmvn_2xn_kernelILj128ELj5ELj4EdEEvi20rocsparse_direction_NS_24const_host_device_scalarIT2_EEPKiS6_PKS3_S8_S4_PS3_21rocsparse_index_base_b,comdat
.Lfunc_end91:
	.size	_ZN9rocsparseL19gebsrmvn_2xn_kernelILj128ELj5ELj4EdEEvi20rocsparse_direction_NS_24const_host_device_scalarIT2_EEPKiS6_PKS3_S8_S4_PS3_21rocsparse_index_base_b, .Lfunc_end91-_ZN9rocsparseL19gebsrmvn_2xn_kernelILj128ELj5ELj4EdEEvi20rocsparse_direction_NS_24const_host_device_scalarIT2_EEPKiS6_PKS3_S8_S4_PS3_21rocsparse_index_base_b
                                        ; -- End function
	.section	.AMDGPU.csdata,"",@progbits
; Kernel info:
; codeLenInByte = 1340
; NumSgprs: 24
; NumVgprs: 50
; NumAgprs: 0
; TotalNumVgprs: 50
; ScratchSize: 0
; MemoryBound: 0
; FloatMode: 240
; IeeeMode: 1
; LDSByteSize: 0 bytes/workgroup (compile time only)
; SGPRBlocks: 2
; VGPRBlocks: 6
; NumSGPRsForWavesPerEU: 24
; NumVGPRsForWavesPerEU: 50
; AccumOffset: 52
; Occupancy: 8
; WaveLimiterHint : 1
; COMPUTE_PGM_RSRC2:SCRATCH_EN: 0
; COMPUTE_PGM_RSRC2:USER_SGPR: 2
; COMPUTE_PGM_RSRC2:TRAP_HANDLER: 0
; COMPUTE_PGM_RSRC2:TGID_X_EN: 1
; COMPUTE_PGM_RSRC2:TGID_Y_EN: 0
; COMPUTE_PGM_RSRC2:TGID_Z_EN: 0
; COMPUTE_PGM_RSRC2:TIDIG_COMP_CNT: 0
; COMPUTE_PGM_RSRC3_GFX90A:ACCUM_OFFSET: 12
; COMPUTE_PGM_RSRC3_GFX90A:TG_SPLIT: 0
	.section	.text._ZN9rocsparseL19gebsrmvn_2xn_kernelILj128ELj5ELj8EdEEvi20rocsparse_direction_NS_24const_host_device_scalarIT2_EEPKiS6_PKS3_S8_S4_PS3_21rocsparse_index_base_b,"axG",@progbits,_ZN9rocsparseL19gebsrmvn_2xn_kernelILj128ELj5ELj8EdEEvi20rocsparse_direction_NS_24const_host_device_scalarIT2_EEPKiS6_PKS3_S8_S4_PS3_21rocsparse_index_base_b,comdat
	.globl	_ZN9rocsparseL19gebsrmvn_2xn_kernelILj128ELj5ELj8EdEEvi20rocsparse_direction_NS_24const_host_device_scalarIT2_EEPKiS6_PKS3_S8_S4_PS3_21rocsparse_index_base_b ; -- Begin function _ZN9rocsparseL19gebsrmvn_2xn_kernelILj128ELj5ELj8EdEEvi20rocsparse_direction_NS_24const_host_device_scalarIT2_EEPKiS6_PKS3_S8_S4_PS3_21rocsparse_index_base_b
	.p2align	8
	.type	_ZN9rocsparseL19gebsrmvn_2xn_kernelILj128ELj5ELj8EdEEvi20rocsparse_direction_NS_24const_host_device_scalarIT2_EEPKiS6_PKS3_S8_S4_PS3_21rocsparse_index_base_b,@function
_ZN9rocsparseL19gebsrmvn_2xn_kernelILj128ELj5ELj8EdEEvi20rocsparse_direction_NS_24const_host_device_scalarIT2_EEPKiS6_PKS3_S8_S4_PS3_21rocsparse_index_base_b: ; @_ZN9rocsparseL19gebsrmvn_2xn_kernelILj128ELj5ELj8EdEEvi20rocsparse_direction_NS_24const_host_device_scalarIT2_EEPKiS6_PKS3_S8_S4_PS3_21rocsparse_index_base_b
; %bb.0:
	s_load_dwordx2 s[12:13], s[0:1], 0x40
	s_load_dwordx2 s[8:9], s[0:1], 0x8
	;; [unrolled: 1-line block ×3, first 2 shown]
	s_waitcnt lgkmcnt(0)
	s_bitcmp1_b32 s13, 0
	s_cselect_b64 s[10:11], -1, 0
	s_xor_b64 s[6:7], s[10:11], -1
	s_and_b64 vcc, exec, s[10:11]
	v_mov_b64_e32 v[2:3], s[8:9]
	s_cbranch_vccnz .LBB92_2
; %bb.1:
	v_mov_b64_e32 v[2:3], s[8:9]
	flat_load_dwordx2 v[2:3], v[2:3]
.LBB92_2:
	s_andn2_b64 vcc, exec, s[6:7]
	v_mov_b64_e32 v[4:5], s[4:5]
	s_cbranch_vccnz .LBB92_4
; %bb.3:
	v_mov_b64_e32 v[4:5], s[4:5]
	flat_load_dwordx2 v[4:5], v[4:5]
.LBB92_4:
	s_waitcnt vmcnt(0) lgkmcnt(0)
	v_cmp_neq_f64_e32 vcc, 0, v[2:3]
	v_cmp_neq_f64_e64 s[4:5], 1.0, v[4:5]
	s_or_b64 s[4:5], vcc, s[4:5]
	s_and_saveexec_b64 s[6:7], s[4:5]
	s_cbranch_execz .LBB92_23
; %bb.5:
	s_load_dwordx2 s[14:15], s[0:1], 0x0
	v_lshrrev_b32_e32 v1, 3, v0
	v_lshl_or_b32 v6, s2, 4, v1
	s_waitcnt lgkmcnt(0)
	v_cmp_gt_i32_e32 vcc, s14, v6
	s_and_b64 exec, exec, vcc
	s_cbranch_execz .LBB92_23
; %bb.6:
	s_load_dwordx8 s[4:11], s[0:1], 0x10
	v_ashrrev_i32_e32 v7, 31, v6
	s_cmp_lg_u32 s15, 0
	s_waitcnt lgkmcnt(0)
	v_lshl_add_u64 v[8:9], v[6:7], 2, s[4:5]
	global_load_dwordx2 v[8:9], v[8:9], off
	v_and_b32_e32 v7, 7, v0
	s_waitcnt vmcnt(0)
	v_subrev_u32_e32 v0, s12, v8
	v_subrev_u32_e32 v18, s12, v9
	v_add_u32_e32 v8, v0, v7
	v_cmp_lt_i32_e64 s[2:3], v8, v18
	s_cbranch_scc0 .LBB92_12
; %bb.7:
	v_mov_b64_e32 v[0:1], 0
	s_mov_b64 s[4:5], 0
	v_mov_b64_e32 v[10:11], v[0:1]
	s_and_saveexec_b64 s[14:15], s[2:3]
	s_cbranch_execz .LBB92_11
; %bb.8:
	v_mad_u64_u32 v[12:13], s[16:17], v8, 10, 8
	v_mov_b64_e32 v[0:1], 0
	s_mov_b64 s[16:17], 0
	v_mov_b32_e32 v15, 0
	v_mov_b32_e32 v16, v8
	v_mov_b64_e32 v[10:11], v[0:1]
.LBB92_9:                               ; =>This Inner Loop Header: Depth=1
	v_ashrrev_i32_e32 v17, 31, v16
	v_lshl_add_u64 v[20:21], v[16:17], 2, s[6:7]
	global_load_dword v9, v[20:21], off
	v_add_u32_e32 v14, -8, v12
	v_mov_b32_e32 v13, v15
	v_mov_b32_e32 v41, v15
	v_lshl_add_u64 v[20:21], v[14:15], 3, s[8:9]
	v_add_u32_e32 v14, -6, v12
	v_lshl_add_u64 v[32:33], v[12:13], 3, s[8:9]
	global_load_dwordx4 v[20:23], v[20:21], off
	v_lshl_add_u64 v[34:35], v[14:15], 3, s[8:9]
	global_load_dwordx4 v[24:27], v[32:33], off
	global_load_dwordx4 v[28:31], v[34:35], off
	v_add_u32_e32 v16, 8, v16
	v_cmp_ge_i32_e32 vcc, v16, v18
	s_or_b64 s[16:17], vcc, s[16:17]
	s_waitcnt vmcnt(3)
	v_subrev_u32_e32 v9, s12, v9
	v_lshl_add_u32 v40, v9, 2, v9
	v_lshl_add_u64 v[32:33], v[40:41], 3, s[10:11]
	v_add_u32_e32 v14, 1, v40
	global_load_dwordx2 v[42:43], v[32:33], off
	v_lshl_add_u64 v[32:33], v[14:15], 3, s[10:11]
	v_add_u32_e32 v14, -4, v12
	global_load_dwordx2 v[44:45], v[32:33], off
	v_lshl_add_u64 v[32:33], v[14:15], 3, s[8:9]
	v_add_u32_e32 v14, 2, v40
	v_lshl_add_u64 v[36:37], v[14:15], 3, s[10:11]
	v_add_u32_e32 v14, -2, v12
	global_load_dwordx2 v[46:47], v[36:37], off
	v_lshl_add_u64 v[36:37], v[14:15], 3, s[8:9]
	v_add_u32_e32 v14, 3, v40
	global_load_dwordx4 v[32:35], v[32:33], off
	v_lshl_add_u64 v[48:49], v[14:15], 3, s[10:11]
	v_add_u32_e32 v14, 4, v40
	global_load_dwordx4 v[36:39], v[36:37], off
	v_add_u32_e32 v12, 0x50, v12
	global_load_dwordx2 v[40:41], v[48:49], off
	v_lshl_add_u64 v[48:49], v[14:15], 3, s[10:11]
	global_load_dwordx2 v[48:49], v[48:49], off
	s_waitcnt vmcnt(6)
	v_fmac_f64_e32 v[0:1], v[20:21], v[42:43]
	v_fmac_f64_e32 v[10:11], v[22:23], v[42:43]
	s_waitcnt vmcnt(5)
	v_fmac_f64_e32 v[0:1], v[28:29], v[44:45]
	v_fmac_f64_e32 v[10:11], v[30:31], v[44:45]
	;; [unrolled: 3-line block ×5, first 2 shown]
	s_andn2_b64 exec, exec, s[16:17]
	s_cbranch_execnz .LBB92_9
; %bb.10:
	s_or_b64 exec, exec, s[16:17]
.LBB92_11:
	s_or_b64 exec, exec, s[14:15]
	s_andn2_b64 vcc, exec, s[4:5]
	s_cbranch_vccz .LBB92_13
	s_branch .LBB92_18
.LBB92_12:
                                        ; implicit-def: $vgpr0_vgpr1
                                        ; implicit-def: $vgpr10_vgpr11
.LBB92_13:
	v_mov_b64_e32 v[0:1], 0
	v_mov_b64_e32 v[10:11], v[0:1]
	s_and_saveexec_b64 s[4:5], s[2:3]
	s_cbranch_execz .LBB92_17
; %bb.14:
	v_mad_u64_u32 v[12:13], s[2:3], v8, 10, 9
	v_mov_b64_e32 v[0:1], 0
	s_mov_b64 s[2:3], 0
	v_mov_b32_e32 v15, 0
	v_mov_b64_e32 v[10:11], v[0:1]
.LBB92_15:                              ; =>This Inner Loop Header: Depth=1
	v_ashrrev_i32_e32 v9, 31, v8
	v_lshl_add_u64 v[16:17], v[8:9], 2, s[6:7]
	global_load_dword v9, v[16:17], off
	v_add_u32_e32 v14, -9, v12
	v_add_u32_e32 v16, -4, v12
	v_mov_b32_e32 v17, v15
	v_mov_b32_e32 v13, v15
	v_lshl_add_u64 v[26:27], v[14:15], 3, s[8:9]
	v_lshl_add_u64 v[16:17], v[16:17], 3, s[8:9]
	;; [unrolled: 1-line block ×3, first 2 shown]
	global_load_dwordx4 v[20:23], v[26:27], off
	global_load_dwordx2 v[30:31], v[16:17], off
	global_load_dwordx2 v[32:33], v[28:29], off
	v_mov_b32_e32 v25, v15
	v_add_u32_e32 v8, 8, v8
	v_cmp_ge_i32_e32 vcc, v8, v18
	s_or_b64 s[2:3], vcc, s[2:3]
	s_waitcnt vmcnt(3)
	v_subrev_u32_e32 v9, s12, v9
	v_lshl_add_u32 v24, v9, 2, v9
	v_add_u32_e32 v14, 1, v24
	v_lshl_add_u64 v[26:27], v[14:15], 3, s[10:11]
	v_add_u32_e32 v14, -3, v12
	v_lshl_add_u64 v[28:29], v[14:15], 3, s[8:9]
	v_add_u32_e32 v14, -7, v12
	v_lshl_add_u64 v[16:17], v[24:25], 3, s[10:11]
	v_lshl_add_u64 v[34:35], v[14:15], 3, s[8:9]
	v_add_u32_e32 v14, 2, v24
	global_load_dwordx2 v[16:17], v[16:17], off
	s_nop 0
	global_load_dwordx2 v[26:27], v[26:27], off
	s_nop 0
	global_load_dwordx2 v[36:37], v[28:29], off
	global_load_dwordx2 v[38:39], v[34:35], off
	v_lshl_add_u64 v[28:29], v[14:15], 3, s[10:11]
	v_add_u32_e32 v14, -2, v12
	v_lshl_add_u64 v[34:35], v[14:15], 3, s[8:9]
	v_add_u32_e32 v14, -6, v12
	v_lshl_add_u64 v[40:41], v[14:15], 3, s[8:9]
	v_add_u32_e32 v14, 3, v24
	global_load_dwordx2 v[28:29], v[28:29], off
	s_nop 0
	global_load_dwordx2 v[42:43], v[34:35], off
	global_load_dwordx2 v[44:45], v[40:41], off
	v_lshl_add_u64 v[34:35], v[14:15], 3, s[10:11]
	v_add_u32_e32 v14, -1, v12
	v_lshl_add_u64 v[40:41], v[14:15], 3, s[8:9]
	v_add_u32_e32 v14, -5, v12
	v_lshl_add_u64 v[46:47], v[14:15], 3, s[8:9]
	v_add_u32_e32 v14, 4, v24
	global_load_dwordx2 v[34:35], v[34:35], off
	s_nop 0
	global_load_dwordx2 v[24:25], v[40:41], off
	global_load_dwordx2 v[48:49], v[46:47], off
	v_lshl_add_u64 v[40:41], v[14:15], 3, s[10:11]
	global_load_dwordx2 v[40:41], v[40:41], off
	v_add_u32_e32 v12, 0x50, v12
	s_waitcnt vmcnt(10)
	v_fmac_f64_e32 v[0:1], v[20:21], v[16:17]
	v_fmac_f64_e32 v[10:11], v[30:31], v[16:17]
	s_waitcnt vmcnt(9)
	v_fmac_f64_e32 v[0:1], v[22:23], v[26:27]
	s_waitcnt vmcnt(8)
	v_fmac_f64_e32 v[10:11], v[36:37], v[26:27]
	s_waitcnt vmcnt(6)
	v_fmac_f64_e32 v[0:1], v[38:39], v[28:29]
	s_waitcnt vmcnt(5)
	v_fmac_f64_e32 v[10:11], v[42:43], v[28:29]
	s_waitcnt vmcnt(3)
	v_fmac_f64_e32 v[0:1], v[44:45], v[34:35]
	s_waitcnt vmcnt(2)
	v_fmac_f64_e32 v[10:11], v[24:25], v[34:35]
	s_waitcnt vmcnt(0)
	v_fmac_f64_e32 v[0:1], v[48:49], v[40:41]
	v_fmac_f64_e32 v[10:11], v[32:33], v[40:41]
	s_andn2_b64 exec, exec, s[2:3]
	s_cbranch_execnz .LBB92_15
; %bb.16:
	s_or_b64 exec, exec, s[2:3]
.LBB92_17:
	s_or_b64 exec, exec, s[4:5]
.LBB92_18:
	v_mov_b32_dpp v8, v0 row_shr:1 row_mask:0xf bank_mask:0xf
	v_mov_b32_dpp v9, v1 row_shr:1 row_mask:0xf bank_mask:0xf
	;; [unrolled: 1-line block ×4, first 2 shown]
	v_add_f64 v[0:1], v[0:1], v[8:9]
	v_add_f64 v[10:11], v[10:11], v[12:13]
	v_cmp_eq_u32_e32 vcc, 7, v7
	v_mov_b32_dpp v8, v0 row_shr:2 row_mask:0xf bank_mask:0xf
	v_mov_b32_dpp v9, v1 row_shr:2 row_mask:0xf bank_mask:0xf
	;; [unrolled: 1-line block ×4, first 2 shown]
	v_add_f64 v[0:1], v[0:1], v[8:9]
	v_add_f64 v[10:11], v[10:11], v[12:13]
	s_nop 0
	v_mov_b32_dpp v8, v0 row_shr:4 row_mask:0xf bank_mask:0xe
	v_mov_b32_dpp v9, v1 row_shr:4 row_mask:0xf bank_mask:0xe
	;; [unrolled: 1-line block ×4, first 2 shown]
	s_and_b64 exec, exec, vcc
	s_cbranch_execz .LBB92_23
; %bb.19:
	s_load_dwordx2 s[0:1], s[0:1], 0x38
	v_add_f64 v[8:9], v[0:1], v[8:9]
	v_add_f64 v[0:1], v[10:11], v[12:13]
	v_cmp_eq_f64_e32 vcc, 0, v[4:5]
	s_and_saveexec_b64 s[2:3], vcc
	s_xor_b64 s[2:3], exec, s[2:3]
	s_cbranch_execz .LBB92_21
; %bb.20:
	v_lshlrev_b32_e32 v6, 1, v6
	v_ashrrev_i32_e32 v7, 31, v6
	v_mul_f64 v[4:5], v[2:3], v[8:9]
	s_waitcnt lgkmcnt(0)
	v_lshl_add_u64 v[8:9], v[6:7], 3, s[0:1]
	v_mul_f64 v[6:7], v[2:3], v[0:1]
	global_store_dwordx4 v[8:9], v[4:7], off
                                        ; implicit-def: $vgpr6
                                        ; implicit-def: $vgpr2_vgpr3
                                        ; implicit-def: $vgpr8_vgpr9
                                        ; implicit-def: $vgpr4_vgpr5
                                        ; implicit-def: $vgpr0_vgpr1
.LBB92_21:
	s_andn2_saveexec_b64 s[2:3], s[2:3]
	s_cbranch_execz .LBB92_23
; %bb.22:
	v_lshlrev_b32_e32 v6, 1, v6
	v_ashrrev_i32_e32 v7, 31, v6
	s_waitcnt lgkmcnt(0)
	v_lshl_add_u64 v[14:15], v[6:7], 3, s[0:1]
	global_load_dwordx4 v[10:13], v[14:15], off
	v_mul_f64 v[6:7], v[2:3], v[8:9]
	v_mul_f64 v[8:9], v[2:3], v[0:1]
	s_waitcnt vmcnt(0)
	v_fmac_f64_e32 v[6:7], v[4:5], v[10:11]
	v_fmac_f64_e32 v[8:9], v[4:5], v[12:13]
	global_store_dwordx4 v[14:15], v[6:9], off
.LBB92_23:
	s_endpgm
	.section	.rodata,"a",@progbits
	.p2align	6, 0x0
	.amdhsa_kernel _ZN9rocsparseL19gebsrmvn_2xn_kernelILj128ELj5ELj8EdEEvi20rocsparse_direction_NS_24const_host_device_scalarIT2_EEPKiS6_PKS3_S8_S4_PS3_21rocsparse_index_base_b
		.amdhsa_group_segment_fixed_size 0
		.amdhsa_private_segment_fixed_size 0
		.amdhsa_kernarg_size 72
		.amdhsa_user_sgpr_count 2
		.amdhsa_user_sgpr_dispatch_ptr 0
		.amdhsa_user_sgpr_queue_ptr 0
		.amdhsa_user_sgpr_kernarg_segment_ptr 1
		.amdhsa_user_sgpr_dispatch_id 0
		.amdhsa_user_sgpr_kernarg_preload_length 0
		.amdhsa_user_sgpr_kernarg_preload_offset 0
		.amdhsa_user_sgpr_private_segment_size 0
		.amdhsa_uses_dynamic_stack 0
		.amdhsa_enable_private_segment 0
		.amdhsa_system_sgpr_workgroup_id_x 1
		.amdhsa_system_sgpr_workgroup_id_y 0
		.amdhsa_system_sgpr_workgroup_id_z 0
		.amdhsa_system_sgpr_workgroup_info 0
		.amdhsa_system_vgpr_workitem_id 0
		.amdhsa_next_free_vgpr 50
		.amdhsa_next_free_sgpr 18
		.amdhsa_accum_offset 52
		.amdhsa_reserve_vcc 1
		.amdhsa_float_round_mode_32 0
		.amdhsa_float_round_mode_16_64 0
		.amdhsa_float_denorm_mode_32 3
		.amdhsa_float_denorm_mode_16_64 3
		.amdhsa_dx10_clamp 1
		.amdhsa_ieee_mode 1
		.amdhsa_fp16_overflow 0
		.amdhsa_tg_split 0
		.amdhsa_exception_fp_ieee_invalid_op 0
		.amdhsa_exception_fp_denorm_src 0
		.amdhsa_exception_fp_ieee_div_zero 0
		.amdhsa_exception_fp_ieee_overflow 0
		.amdhsa_exception_fp_ieee_underflow 0
		.amdhsa_exception_fp_ieee_inexact 0
		.amdhsa_exception_int_div_zero 0
	.end_amdhsa_kernel
	.section	.text._ZN9rocsparseL19gebsrmvn_2xn_kernelILj128ELj5ELj8EdEEvi20rocsparse_direction_NS_24const_host_device_scalarIT2_EEPKiS6_PKS3_S8_S4_PS3_21rocsparse_index_base_b,"axG",@progbits,_ZN9rocsparseL19gebsrmvn_2xn_kernelILj128ELj5ELj8EdEEvi20rocsparse_direction_NS_24const_host_device_scalarIT2_EEPKiS6_PKS3_S8_S4_PS3_21rocsparse_index_base_b,comdat
.Lfunc_end92:
	.size	_ZN9rocsparseL19gebsrmvn_2xn_kernelILj128ELj5ELj8EdEEvi20rocsparse_direction_NS_24const_host_device_scalarIT2_EEPKiS6_PKS3_S8_S4_PS3_21rocsparse_index_base_b, .Lfunc_end92-_ZN9rocsparseL19gebsrmvn_2xn_kernelILj128ELj5ELj8EdEEvi20rocsparse_direction_NS_24const_host_device_scalarIT2_EEPKiS6_PKS3_S8_S4_PS3_21rocsparse_index_base_b
                                        ; -- End function
	.section	.AMDGPU.csdata,"",@progbits
; Kernel info:
; codeLenInByte = 1400
; NumSgprs: 24
; NumVgprs: 50
; NumAgprs: 0
; TotalNumVgprs: 50
; ScratchSize: 0
; MemoryBound: 0
; FloatMode: 240
; IeeeMode: 1
; LDSByteSize: 0 bytes/workgroup (compile time only)
; SGPRBlocks: 2
; VGPRBlocks: 6
; NumSGPRsForWavesPerEU: 24
; NumVGPRsForWavesPerEU: 50
; AccumOffset: 52
; Occupancy: 8
; WaveLimiterHint : 1
; COMPUTE_PGM_RSRC2:SCRATCH_EN: 0
; COMPUTE_PGM_RSRC2:USER_SGPR: 2
; COMPUTE_PGM_RSRC2:TRAP_HANDLER: 0
; COMPUTE_PGM_RSRC2:TGID_X_EN: 1
; COMPUTE_PGM_RSRC2:TGID_Y_EN: 0
; COMPUTE_PGM_RSRC2:TGID_Z_EN: 0
; COMPUTE_PGM_RSRC2:TIDIG_COMP_CNT: 0
; COMPUTE_PGM_RSRC3_GFX90A:ACCUM_OFFSET: 12
; COMPUTE_PGM_RSRC3_GFX90A:TG_SPLIT: 0
	.section	.text._ZN9rocsparseL19gebsrmvn_2xn_kernelILj128ELj5ELj16EdEEvi20rocsparse_direction_NS_24const_host_device_scalarIT2_EEPKiS6_PKS3_S8_S4_PS3_21rocsparse_index_base_b,"axG",@progbits,_ZN9rocsparseL19gebsrmvn_2xn_kernelILj128ELj5ELj16EdEEvi20rocsparse_direction_NS_24const_host_device_scalarIT2_EEPKiS6_PKS3_S8_S4_PS3_21rocsparse_index_base_b,comdat
	.globl	_ZN9rocsparseL19gebsrmvn_2xn_kernelILj128ELj5ELj16EdEEvi20rocsparse_direction_NS_24const_host_device_scalarIT2_EEPKiS6_PKS3_S8_S4_PS3_21rocsparse_index_base_b ; -- Begin function _ZN9rocsparseL19gebsrmvn_2xn_kernelILj128ELj5ELj16EdEEvi20rocsparse_direction_NS_24const_host_device_scalarIT2_EEPKiS6_PKS3_S8_S4_PS3_21rocsparse_index_base_b
	.p2align	8
	.type	_ZN9rocsparseL19gebsrmvn_2xn_kernelILj128ELj5ELj16EdEEvi20rocsparse_direction_NS_24const_host_device_scalarIT2_EEPKiS6_PKS3_S8_S4_PS3_21rocsparse_index_base_b,@function
_ZN9rocsparseL19gebsrmvn_2xn_kernelILj128ELj5ELj16EdEEvi20rocsparse_direction_NS_24const_host_device_scalarIT2_EEPKiS6_PKS3_S8_S4_PS3_21rocsparse_index_base_b: ; @_ZN9rocsparseL19gebsrmvn_2xn_kernelILj128ELj5ELj16EdEEvi20rocsparse_direction_NS_24const_host_device_scalarIT2_EEPKiS6_PKS3_S8_S4_PS3_21rocsparse_index_base_b
; %bb.0:
	s_load_dwordx2 s[12:13], s[0:1], 0x40
	s_load_dwordx2 s[8:9], s[0:1], 0x8
	;; [unrolled: 1-line block ×3, first 2 shown]
	s_waitcnt lgkmcnt(0)
	s_bitcmp1_b32 s13, 0
	s_cselect_b64 s[10:11], -1, 0
	s_xor_b64 s[6:7], s[10:11], -1
	s_and_b64 vcc, exec, s[10:11]
	v_mov_b64_e32 v[2:3], s[8:9]
	s_cbranch_vccnz .LBB93_2
; %bb.1:
	v_mov_b64_e32 v[2:3], s[8:9]
	flat_load_dwordx2 v[2:3], v[2:3]
.LBB93_2:
	s_andn2_b64 vcc, exec, s[6:7]
	v_mov_b64_e32 v[4:5], s[4:5]
	s_cbranch_vccnz .LBB93_4
; %bb.3:
	v_mov_b64_e32 v[4:5], s[4:5]
	flat_load_dwordx2 v[4:5], v[4:5]
.LBB93_4:
	s_waitcnt vmcnt(0) lgkmcnt(0)
	v_cmp_neq_f64_e32 vcc, 0, v[2:3]
	v_cmp_neq_f64_e64 s[4:5], 1.0, v[4:5]
	s_or_b64 s[4:5], vcc, s[4:5]
	s_and_saveexec_b64 s[6:7], s[4:5]
	s_cbranch_execz .LBB93_23
; %bb.5:
	s_load_dwordx2 s[14:15], s[0:1], 0x0
	v_lshrrev_b32_e32 v1, 4, v0
	v_lshl_or_b32 v6, s2, 3, v1
	s_waitcnt lgkmcnt(0)
	v_cmp_gt_i32_e32 vcc, s14, v6
	s_and_b64 exec, exec, vcc
	s_cbranch_execz .LBB93_23
; %bb.6:
	s_load_dwordx8 s[4:11], s[0:1], 0x10
	v_ashrrev_i32_e32 v7, 31, v6
	s_cmp_lg_u32 s15, 0
	s_waitcnt lgkmcnt(0)
	v_lshl_add_u64 v[8:9], v[6:7], 2, s[4:5]
	global_load_dwordx2 v[8:9], v[8:9], off
	v_and_b32_e32 v7, 15, v0
	s_waitcnt vmcnt(0)
	v_subrev_u32_e32 v0, s12, v8
	v_subrev_u32_e32 v18, s12, v9
	v_add_u32_e32 v10, v0, v7
	v_cmp_lt_i32_e64 s[2:3], v10, v18
	s_cbranch_scc0 .LBB93_12
; %bb.7:
	v_mov_b64_e32 v[0:1], 0
	s_mov_b64 s[4:5], 0
	v_mov_b64_e32 v[8:9], v[0:1]
	s_and_saveexec_b64 s[14:15], s[2:3]
	s_cbranch_execz .LBB93_11
; %bb.8:
	v_mad_u64_u32 v[12:13], s[16:17], v10, 10, 8
	v_mov_b64_e32 v[0:1], 0
	s_mov_b64 s[16:17], 0
	v_mov_b32_e32 v15, 0
	v_mov_b32_e32 v16, v10
	v_mov_b64_e32 v[8:9], v[0:1]
.LBB93_9:                               ; =>This Inner Loop Header: Depth=1
	v_ashrrev_i32_e32 v17, 31, v16
	v_lshl_add_u64 v[20:21], v[16:17], 2, s[6:7]
	global_load_dword v11, v[20:21], off
	v_add_u32_e32 v14, -8, v12
	v_mov_b32_e32 v13, v15
	v_mov_b32_e32 v41, v15
	v_lshl_add_u64 v[20:21], v[14:15], 3, s[8:9]
	v_add_u32_e32 v14, -6, v12
	v_lshl_add_u64 v[32:33], v[12:13], 3, s[8:9]
	global_load_dwordx4 v[20:23], v[20:21], off
	v_lshl_add_u64 v[34:35], v[14:15], 3, s[8:9]
	global_load_dwordx4 v[24:27], v[32:33], off
	global_load_dwordx4 v[28:31], v[34:35], off
	v_add_u32_e32 v16, 16, v16
	v_cmp_ge_i32_e32 vcc, v16, v18
	s_or_b64 s[16:17], vcc, s[16:17]
	s_waitcnt vmcnt(3)
	v_subrev_u32_e32 v11, s12, v11
	v_lshl_add_u32 v40, v11, 2, v11
	v_lshl_add_u64 v[32:33], v[40:41], 3, s[10:11]
	v_add_u32_e32 v14, 1, v40
	global_load_dwordx2 v[42:43], v[32:33], off
	v_lshl_add_u64 v[32:33], v[14:15], 3, s[10:11]
	v_add_u32_e32 v14, -4, v12
	global_load_dwordx2 v[44:45], v[32:33], off
	v_lshl_add_u64 v[32:33], v[14:15], 3, s[8:9]
	v_add_u32_e32 v14, 2, v40
	v_lshl_add_u64 v[36:37], v[14:15], 3, s[10:11]
	v_add_u32_e32 v14, -2, v12
	global_load_dwordx2 v[46:47], v[36:37], off
	v_lshl_add_u64 v[36:37], v[14:15], 3, s[8:9]
	v_add_u32_e32 v14, 3, v40
	global_load_dwordx4 v[32:35], v[32:33], off
	v_lshl_add_u64 v[48:49], v[14:15], 3, s[10:11]
	v_add_u32_e32 v14, 4, v40
	global_load_dwordx4 v[36:39], v[36:37], off
	v_add_u32_e32 v12, 0xa0, v12
	global_load_dwordx2 v[40:41], v[48:49], off
	v_lshl_add_u64 v[48:49], v[14:15], 3, s[10:11]
	global_load_dwordx2 v[48:49], v[48:49], off
	s_waitcnt vmcnt(6)
	v_fmac_f64_e32 v[0:1], v[20:21], v[42:43]
	v_fmac_f64_e32 v[8:9], v[22:23], v[42:43]
	s_waitcnt vmcnt(5)
	v_fmac_f64_e32 v[0:1], v[28:29], v[44:45]
	v_fmac_f64_e32 v[8:9], v[30:31], v[44:45]
	s_waitcnt vmcnt(3)
	v_fmac_f64_e32 v[0:1], v[32:33], v[46:47]
	v_fmac_f64_e32 v[8:9], v[34:35], v[46:47]
	s_waitcnt vmcnt(1)
	v_fmac_f64_e32 v[0:1], v[36:37], v[40:41]
	v_fmac_f64_e32 v[8:9], v[38:39], v[40:41]
	s_waitcnt vmcnt(0)
	v_fmac_f64_e32 v[0:1], v[24:25], v[48:49]
	v_fmac_f64_e32 v[8:9], v[26:27], v[48:49]
	s_andn2_b64 exec, exec, s[16:17]
	s_cbranch_execnz .LBB93_9
; %bb.10:
	s_or_b64 exec, exec, s[16:17]
.LBB93_11:
	s_or_b64 exec, exec, s[14:15]
	s_andn2_b64 vcc, exec, s[4:5]
	s_cbranch_vccz .LBB93_13
	s_branch .LBB93_18
.LBB93_12:
                                        ; implicit-def: $vgpr0_vgpr1
                                        ; implicit-def: $vgpr8_vgpr9
.LBB93_13:
	v_mov_b64_e32 v[0:1], 0
	v_mov_b64_e32 v[8:9], v[0:1]
	s_and_saveexec_b64 s[4:5], s[2:3]
	s_cbranch_execz .LBB93_17
; %bb.14:
	v_mad_u64_u32 v[12:13], s[2:3], v10, 10, 9
	v_mov_b64_e32 v[0:1], 0
	s_mov_b64 s[2:3], 0
	v_mov_b32_e32 v15, 0
	v_mov_b64_e32 v[8:9], v[0:1]
.LBB93_15:                              ; =>This Inner Loop Header: Depth=1
	v_ashrrev_i32_e32 v11, 31, v10
	v_lshl_add_u64 v[16:17], v[10:11], 2, s[6:7]
	global_load_dword v11, v[16:17], off
	v_add_u32_e32 v14, -9, v12
	v_add_u32_e32 v16, -4, v12
	v_mov_b32_e32 v17, v15
	v_mov_b32_e32 v13, v15
	v_lshl_add_u64 v[26:27], v[14:15], 3, s[8:9]
	v_lshl_add_u64 v[16:17], v[16:17], 3, s[8:9]
	;; [unrolled: 1-line block ×3, first 2 shown]
	global_load_dwordx4 v[20:23], v[26:27], off
	global_load_dwordx2 v[30:31], v[16:17], off
	global_load_dwordx2 v[32:33], v[28:29], off
	v_mov_b32_e32 v25, v15
	v_add_u32_e32 v10, 16, v10
	v_cmp_ge_i32_e32 vcc, v10, v18
	s_or_b64 s[2:3], vcc, s[2:3]
	s_waitcnt vmcnt(3)
	v_subrev_u32_e32 v11, s12, v11
	v_lshl_add_u32 v24, v11, 2, v11
	v_add_u32_e32 v14, 1, v24
	v_lshl_add_u64 v[26:27], v[14:15], 3, s[10:11]
	v_add_u32_e32 v14, -3, v12
	v_lshl_add_u64 v[28:29], v[14:15], 3, s[8:9]
	v_add_u32_e32 v14, -7, v12
	v_lshl_add_u64 v[16:17], v[24:25], 3, s[10:11]
	v_lshl_add_u64 v[34:35], v[14:15], 3, s[8:9]
	v_add_u32_e32 v14, 2, v24
	global_load_dwordx2 v[16:17], v[16:17], off
	s_nop 0
	global_load_dwordx2 v[26:27], v[26:27], off
	s_nop 0
	global_load_dwordx2 v[36:37], v[28:29], off
	global_load_dwordx2 v[38:39], v[34:35], off
	v_lshl_add_u64 v[28:29], v[14:15], 3, s[10:11]
	v_add_u32_e32 v14, -2, v12
	v_lshl_add_u64 v[34:35], v[14:15], 3, s[8:9]
	v_add_u32_e32 v14, -6, v12
	v_lshl_add_u64 v[40:41], v[14:15], 3, s[8:9]
	v_add_u32_e32 v14, 3, v24
	global_load_dwordx2 v[28:29], v[28:29], off
	s_nop 0
	global_load_dwordx2 v[42:43], v[34:35], off
	global_load_dwordx2 v[44:45], v[40:41], off
	v_lshl_add_u64 v[34:35], v[14:15], 3, s[10:11]
	v_add_u32_e32 v14, -1, v12
	v_lshl_add_u64 v[40:41], v[14:15], 3, s[8:9]
	v_add_u32_e32 v14, -5, v12
	v_lshl_add_u64 v[46:47], v[14:15], 3, s[8:9]
	v_add_u32_e32 v14, 4, v24
	global_load_dwordx2 v[34:35], v[34:35], off
	s_nop 0
	global_load_dwordx2 v[24:25], v[40:41], off
	global_load_dwordx2 v[48:49], v[46:47], off
	v_lshl_add_u64 v[40:41], v[14:15], 3, s[10:11]
	global_load_dwordx2 v[40:41], v[40:41], off
	v_add_u32_e32 v12, 0xa0, v12
	s_waitcnt vmcnt(10)
	v_fmac_f64_e32 v[0:1], v[20:21], v[16:17]
	v_fmac_f64_e32 v[8:9], v[30:31], v[16:17]
	s_waitcnt vmcnt(9)
	v_fmac_f64_e32 v[0:1], v[22:23], v[26:27]
	s_waitcnt vmcnt(8)
	;; [unrolled: 2-line block ×7, first 2 shown]
	v_fmac_f64_e32 v[0:1], v[48:49], v[40:41]
	v_fmac_f64_e32 v[8:9], v[32:33], v[40:41]
	s_andn2_b64 exec, exec, s[2:3]
	s_cbranch_execnz .LBB93_15
; %bb.16:
	s_or_b64 exec, exec, s[2:3]
.LBB93_17:
	s_or_b64 exec, exec, s[4:5]
.LBB93_18:
	v_mov_b32_dpp v10, v0 row_shr:1 row_mask:0xf bank_mask:0xf
	v_mov_b32_dpp v11, v1 row_shr:1 row_mask:0xf bank_mask:0xf
	v_mov_b32_dpp v12, v8 row_shr:1 row_mask:0xf bank_mask:0xf
	v_mov_b32_dpp v13, v9 row_shr:1 row_mask:0xf bank_mask:0xf
	v_add_f64 v[0:1], v[0:1], v[10:11]
	v_add_f64 v[8:9], v[8:9], v[12:13]
	v_cmp_eq_u32_e32 vcc, 15, v7
	v_mov_b32_dpp v10, v0 row_shr:2 row_mask:0xf bank_mask:0xf
	v_mov_b32_dpp v11, v1 row_shr:2 row_mask:0xf bank_mask:0xf
	;; [unrolled: 1-line block ×4, first 2 shown]
	v_add_f64 v[0:1], v[0:1], v[10:11]
	v_add_f64 v[8:9], v[8:9], v[12:13]
	s_nop 0
	v_mov_b32_dpp v10, v0 row_shr:4 row_mask:0xf bank_mask:0xe
	v_mov_b32_dpp v11, v1 row_shr:4 row_mask:0xf bank_mask:0xe
	;; [unrolled: 1-line block ×4, first 2 shown]
	v_add_f64 v[0:1], v[0:1], v[10:11]
	v_add_f64 v[12:13], v[8:9], v[12:13]
	s_nop 0
	v_mov_b32_dpp v10, v0 row_shr:8 row_mask:0xf bank_mask:0xc
	v_mov_b32_dpp v11, v1 row_shr:8 row_mask:0xf bank_mask:0xc
	;; [unrolled: 1-line block ×4, first 2 shown]
	s_and_b64 exec, exec, vcc
	s_cbranch_execz .LBB93_23
; %bb.19:
	s_load_dwordx2 s[0:1], s[0:1], 0x38
	v_add_f64 v[8:9], v[0:1], v[10:11]
	v_add_f64 v[0:1], v[12:13], v[14:15]
	v_cmp_eq_f64_e32 vcc, 0, v[4:5]
	s_and_saveexec_b64 s[2:3], vcc
	s_xor_b64 s[2:3], exec, s[2:3]
	s_cbranch_execz .LBB93_21
; %bb.20:
	v_lshlrev_b32_e32 v6, 1, v6
	v_ashrrev_i32_e32 v7, 31, v6
	v_mul_f64 v[4:5], v[2:3], v[8:9]
	s_waitcnt lgkmcnt(0)
	v_lshl_add_u64 v[8:9], v[6:7], 3, s[0:1]
	v_mul_f64 v[6:7], v[2:3], v[0:1]
	global_store_dwordx4 v[8:9], v[4:7], off
                                        ; implicit-def: $vgpr6
                                        ; implicit-def: $vgpr2_vgpr3
                                        ; implicit-def: $vgpr8_vgpr9
                                        ; implicit-def: $vgpr4_vgpr5
                                        ; implicit-def: $vgpr0_vgpr1
.LBB93_21:
	s_andn2_saveexec_b64 s[2:3], s[2:3]
	s_cbranch_execz .LBB93_23
; %bb.22:
	v_lshlrev_b32_e32 v6, 1, v6
	v_ashrrev_i32_e32 v7, 31, v6
	s_waitcnt lgkmcnt(0)
	v_lshl_add_u64 v[14:15], v[6:7], 3, s[0:1]
	global_load_dwordx4 v[10:13], v[14:15], off
	v_mul_f64 v[6:7], v[2:3], v[8:9]
	v_mul_f64 v[8:9], v[2:3], v[0:1]
	s_waitcnt vmcnt(0)
	v_fmac_f64_e32 v[6:7], v[4:5], v[10:11]
	v_fmac_f64_e32 v[8:9], v[4:5], v[12:13]
	global_store_dwordx4 v[14:15], v[6:9], off
.LBB93_23:
	s_endpgm
	.section	.rodata,"a",@progbits
	.p2align	6, 0x0
	.amdhsa_kernel _ZN9rocsparseL19gebsrmvn_2xn_kernelILj128ELj5ELj16EdEEvi20rocsparse_direction_NS_24const_host_device_scalarIT2_EEPKiS6_PKS3_S8_S4_PS3_21rocsparse_index_base_b
		.amdhsa_group_segment_fixed_size 0
		.amdhsa_private_segment_fixed_size 0
		.amdhsa_kernarg_size 72
		.amdhsa_user_sgpr_count 2
		.amdhsa_user_sgpr_dispatch_ptr 0
		.amdhsa_user_sgpr_queue_ptr 0
		.amdhsa_user_sgpr_kernarg_segment_ptr 1
		.amdhsa_user_sgpr_dispatch_id 0
		.amdhsa_user_sgpr_kernarg_preload_length 0
		.amdhsa_user_sgpr_kernarg_preload_offset 0
		.amdhsa_user_sgpr_private_segment_size 0
		.amdhsa_uses_dynamic_stack 0
		.amdhsa_enable_private_segment 0
		.amdhsa_system_sgpr_workgroup_id_x 1
		.amdhsa_system_sgpr_workgroup_id_y 0
		.amdhsa_system_sgpr_workgroup_id_z 0
		.amdhsa_system_sgpr_workgroup_info 0
		.amdhsa_system_vgpr_workitem_id 0
		.amdhsa_next_free_vgpr 50
		.amdhsa_next_free_sgpr 18
		.amdhsa_accum_offset 52
		.amdhsa_reserve_vcc 1
		.amdhsa_float_round_mode_32 0
		.amdhsa_float_round_mode_16_64 0
		.amdhsa_float_denorm_mode_32 3
		.amdhsa_float_denorm_mode_16_64 3
		.amdhsa_dx10_clamp 1
		.amdhsa_ieee_mode 1
		.amdhsa_fp16_overflow 0
		.amdhsa_tg_split 0
		.amdhsa_exception_fp_ieee_invalid_op 0
		.amdhsa_exception_fp_denorm_src 0
		.amdhsa_exception_fp_ieee_div_zero 0
		.amdhsa_exception_fp_ieee_overflow 0
		.amdhsa_exception_fp_ieee_underflow 0
		.amdhsa_exception_fp_ieee_inexact 0
		.amdhsa_exception_int_div_zero 0
	.end_amdhsa_kernel
	.section	.text._ZN9rocsparseL19gebsrmvn_2xn_kernelILj128ELj5ELj16EdEEvi20rocsparse_direction_NS_24const_host_device_scalarIT2_EEPKiS6_PKS3_S8_S4_PS3_21rocsparse_index_base_b,"axG",@progbits,_ZN9rocsparseL19gebsrmvn_2xn_kernelILj128ELj5ELj16EdEEvi20rocsparse_direction_NS_24const_host_device_scalarIT2_EEPKiS6_PKS3_S8_S4_PS3_21rocsparse_index_base_b,comdat
.Lfunc_end93:
	.size	_ZN9rocsparseL19gebsrmvn_2xn_kernelILj128ELj5ELj16EdEEvi20rocsparse_direction_NS_24const_host_device_scalarIT2_EEPKiS6_PKS3_S8_S4_PS3_21rocsparse_index_base_b, .Lfunc_end93-_ZN9rocsparseL19gebsrmvn_2xn_kernelILj128ELj5ELj16EdEEvi20rocsparse_direction_NS_24const_host_device_scalarIT2_EEPKiS6_PKS3_S8_S4_PS3_21rocsparse_index_base_b
                                        ; -- End function
	.section	.AMDGPU.csdata,"",@progbits
; Kernel info:
; codeLenInByte = 1452
; NumSgprs: 24
; NumVgprs: 50
; NumAgprs: 0
; TotalNumVgprs: 50
; ScratchSize: 0
; MemoryBound: 0
; FloatMode: 240
; IeeeMode: 1
; LDSByteSize: 0 bytes/workgroup (compile time only)
; SGPRBlocks: 2
; VGPRBlocks: 6
; NumSGPRsForWavesPerEU: 24
; NumVGPRsForWavesPerEU: 50
; AccumOffset: 52
; Occupancy: 8
; WaveLimiterHint : 1
; COMPUTE_PGM_RSRC2:SCRATCH_EN: 0
; COMPUTE_PGM_RSRC2:USER_SGPR: 2
; COMPUTE_PGM_RSRC2:TRAP_HANDLER: 0
; COMPUTE_PGM_RSRC2:TGID_X_EN: 1
; COMPUTE_PGM_RSRC2:TGID_Y_EN: 0
; COMPUTE_PGM_RSRC2:TGID_Z_EN: 0
; COMPUTE_PGM_RSRC2:TIDIG_COMP_CNT: 0
; COMPUTE_PGM_RSRC3_GFX90A:ACCUM_OFFSET: 12
; COMPUTE_PGM_RSRC3_GFX90A:TG_SPLIT: 0
	.section	.text._ZN9rocsparseL19gebsrmvn_2xn_kernelILj128ELj5ELj32EdEEvi20rocsparse_direction_NS_24const_host_device_scalarIT2_EEPKiS6_PKS3_S8_S4_PS3_21rocsparse_index_base_b,"axG",@progbits,_ZN9rocsparseL19gebsrmvn_2xn_kernelILj128ELj5ELj32EdEEvi20rocsparse_direction_NS_24const_host_device_scalarIT2_EEPKiS6_PKS3_S8_S4_PS3_21rocsparse_index_base_b,comdat
	.globl	_ZN9rocsparseL19gebsrmvn_2xn_kernelILj128ELj5ELj32EdEEvi20rocsparse_direction_NS_24const_host_device_scalarIT2_EEPKiS6_PKS3_S8_S4_PS3_21rocsparse_index_base_b ; -- Begin function _ZN9rocsparseL19gebsrmvn_2xn_kernelILj128ELj5ELj32EdEEvi20rocsparse_direction_NS_24const_host_device_scalarIT2_EEPKiS6_PKS3_S8_S4_PS3_21rocsparse_index_base_b
	.p2align	8
	.type	_ZN9rocsparseL19gebsrmvn_2xn_kernelILj128ELj5ELj32EdEEvi20rocsparse_direction_NS_24const_host_device_scalarIT2_EEPKiS6_PKS3_S8_S4_PS3_21rocsparse_index_base_b,@function
_ZN9rocsparseL19gebsrmvn_2xn_kernelILj128ELj5ELj32EdEEvi20rocsparse_direction_NS_24const_host_device_scalarIT2_EEPKiS6_PKS3_S8_S4_PS3_21rocsparse_index_base_b: ; @_ZN9rocsparseL19gebsrmvn_2xn_kernelILj128ELj5ELj32EdEEvi20rocsparse_direction_NS_24const_host_device_scalarIT2_EEPKiS6_PKS3_S8_S4_PS3_21rocsparse_index_base_b
; %bb.0:
	s_load_dwordx2 s[12:13], s[0:1], 0x40
	s_load_dwordx2 s[8:9], s[0:1], 0x8
	;; [unrolled: 1-line block ×3, first 2 shown]
	s_waitcnt lgkmcnt(0)
	s_bitcmp1_b32 s13, 0
	s_cselect_b64 s[10:11], -1, 0
	s_xor_b64 s[6:7], s[10:11], -1
	s_and_b64 vcc, exec, s[10:11]
	v_mov_b64_e32 v[2:3], s[8:9]
	s_cbranch_vccnz .LBB94_2
; %bb.1:
	v_mov_b64_e32 v[2:3], s[8:9]
	flat_load_dwordx2 v[2:3], v[2:3]
.LBB94_2:
	s_andn2_b64 vcc, exec, s[6:7]
	v_mov_b64_e32 v[4:5], s[4:5]
	s_cbranch_vccnz .LBB94_4
; %bb.3:
	v_mov_b64_e32 v[4:5], s[4:5]
	flat_load_dwordx2 v[4:5], v[4:5]
.LBB94_4:
	s_waitcnt vmcnt(0) lgkmcnt(0)
	v_cmp_neq_f64_e32 vcc, 0, v[2:3]
	v_cmp_neq_f64_e64 s[4:5], 1.0, v[4:5]
	s_or_b64 s[4:5], vcc, s[4:5]
	s_and_saveexec_b64 s[6:7], s[4:5]
	s_cbranch_execz .LBB94_23
; %bb.5:
	s_load_dwordx2 s[14:15], s[0:1], 0x0
	v_lshrrev_b32_e32 v1, 5, v0
	v_lshl_or_b32 v6, s2, 2, v1
	s_waitcnt lgkmcnt(0)
	v_cmp_gt_i32_e32 vcc, s14, v6
	s_and_b64 exec, exec, vcc
	s_cbranch_execz .LBB94_23
; %bb.6:
	s_load_dwordx8 s[4:11], s[0:1], 0x10
	v_ashrrev_i32_e32 v7, 31, v6
	s_cmp_lg_u32 s15, 0
	s_waitcnt lgkmcnt(0)
	v_lshl_add_u64 v[8:9], v[6:7], 2, s[4:5]
	global_load_dwordx2 v[8:9], v[8:9], off
	v_and_b32_e32 v7, 31, v0
	s_waitcnt vmcnt(0)
	v_subrev_u32_e32 v0, s12, v8
	v_subrev_u32_e32 v18, s12, v9
	v_add_u32_e32 v10, v0, v7
	v_cmp_lt_i32_e64 s[2:3], v10, v18
	s_cbranch_scc0 .LBB94_12
; %bb.7:
	v_mov_b64_e32 v[8:9], 0
	s_mov_b64 s[4:5], 0
	v_mov_b64_e32 v[0:1], v[8:9]
	s_and_saveexec_b64 s[14:15], s[2:3]
	s_cbranch_execz .LBB94_11
; %bb.8:
	v_mad_u64_u32 v[12:13], s[16:17], v10, 10, 8
	v_mov_b64_e32 v[8:9], 0
	s_mov_b64 s[16:17], 0
	v_mov_b32_e32 v15, 0
	v_mov_b32_e32 v16, v10
	v_mov_b64_e32 v[0:1], v[8:9]
.LBB94_9:                               ; =>This Inner Loop Header: Depth=1
	v_ashrrev_i32_e32 v17, 31, v16
	v_lshl_add_u64 v[20:21], v[16:17], 2, s[6:7]
	global_load_dword v11, v[20:21], off
	v_add_u32_e32 v14, -8, v12
	v_mov_b32_e32 v13, v15
	v_mov_b32_e32 v41, v15
	v_lshl_add_u64 v[20:21], v[14:15], 3, s[8:9]
	v_add_u32_e32 v14, -6, v12
	v_lshl_add_u64 v[32:33], v[12:13], 3, s[8:9]
	global_load_dwordx4 v[20:23], v[20:21], off
	v_lshl_add_u64 v[34:35], v[14:15], 3, s[8:9]
	global_load_dwordx4 v[24:27], v[32:33], off
	global_load_dwordx4 v[28:31], v[34:35], off
	v_add_u32_e32 v16, 32, v16
	v_cmp_ge_i32_e32 vcc, v16, v18
	s_or_b64 s[16:17], vcc, s[16:17]
	s_waitcnt vmcnt(3)
	v_subrev_u32_e32 v11, s12, v11
	v_lshl_add_u32 v40, v11, 2, v11
	v_lshl_add_u64 v[32:33], v[40:41], 3, s[10:11]
	v_add_u32_e32 v14, 1, v40
	global_load_dwordx2 v[42:43], v[32:33], off
	v_lshl_add_u64 v[32:33], v[14:15], 3, s[10:11]
	v_add_u32_e32 v14, -4, v12
	global_load_dwordx2 v[44:45], v[32:33], off
	v_lshl_add_u64 v[32:33], v[14:15], 3, s[8:9]
	v_add_u32_e32 v14, 2, v40
	v_lshl_add_u64 v[36:37], v[14:15], 3, s[10:11]
	v_add_u32_e32 v14, -2, v12
	global_load_dwordx2 v[46:47], v[36:37], off
	v_lshl_add_u64 v[36:37], v[14:15], 3, s[8:9]
	v_add_u32_e32 v14, 3, v40
	global_load_dwordx4 v[32:35], v[32:33], off
	v_lshl_add_u64 v[48:49], v[14:15], 3, s[10:11]
	v_add_u32_e32 v14, 4, v40
	global_load_dwordx4 v[36:39], v[36:37], off
	v_add_u32_e32 v12, 0x140, v12
	global_load_dwordx2 v[40:41], v[48:49], off
	v_lshl_add_u64 v[48:49], v[14:15], 3, s[10:11]
	global_load_dwordx2 v[48:49], v[48:49], off
	s_waitcnt vmcnt(6)
	v_fmac_f64_e32 v[8:9], v[20:21], v[42:43]
	v_fmac_f64_e32 v[0:1], v[22:23], v[42:43]
	s_waitcnt vmcnt(5)
	v_fmac_f64_e32 v[8:9], v[28:29], v[44:45]
	v_fmac_f64_e32 v[0:1], v[30:31], v[44:45]
	;; [unrolled: 3-line block ×5, first 2 shown]
	s_andn2_b64 exec, exec, s[16:17]
	s_cbranch_execnz .LBB94_9
; %bb.10:
	s_or_b64 exec, exec, s[16:17]
.LBB94_11:
	s_or_b64 exec, exec, s[14:15]
	s_andn2_b64 vcc, exec, s[4:5]
	s_cbranch_vccz .LBB94_13
	s_branch .LBB94_18
.LBB94_12:
                                        ; implicit-def: $vgpr8_vgpr9
                                        ; implicit-def: $vgpr0_vgpr1
.LBB94_13:
	v_mov_b64_e32 v[8:9], 0
	v_mov_b64_e32 v[0:1], v[8:9]
	s_and_saveexec_b64 s[4:5], s[2:3]
	s_cbranch_execz .LBB94_17
; %bb.14:
	v_mad_u64_u32 v[12:13], s[2:3], v10, 10, 9
	v_mov_b64_e32 v[8:9], 0
	s_mov_b64 s[2:3], 0
	v_mov_b32_e32 v15, 0
	v_mov_b64_e32 v[0:1], v[8:9]
.LBB94_15:                              ; =>This Inner Loop Header: Depth=1
	v_ashrrev_i32_e32 v11, 31, v10
	v_lshl_add_u64 v[16:17], v[10:11], 2, s[6:7]
	global_load_dword v11, v[16:17], off
	v_add_u32_e32 v14, -9, v12
	v_add_u32_e32 v16, -4, v12
	v_mov_b32_e32 v17, v15
	v_mov_b32_e32 v13, v15
	v_lshl_add_u64 v[26:27], v[14:15], 3, s[8:9]
	v_lshl_add_u64 v[16:17], v[16:17], 3, s[8:9]
	;; [unrolled: 1-line block ×3, first 2 shown]
	global_load_dwordx4 v[20:23], v[26:27], off
	global_load_dwordx2 v[30:31], v[16:17], off
	global_load_dwordx2 v[32:33], v[28:29], off
	v_mov_b32_e32 v25, v15
	v_add_u32_e32 v10, 32, v10
	v_cmp_ge_i32_e32 vcc, v10, v18
	s_or_b64 s[2:3], vcc, s[2:3]
	s_waitcnt vmcnt(3)
	v_subrev_u32_e32 v11, s12, v11
	v_lshl_add_u32 v24, v11, 2, v11
	v_add_u32_e32 v14, 1, v24
	v_lshl_add_u64 v[26:27], v[14:15], 3, s[10:11]
	v_add_u32_e32 v14, -3, v12
	v_lshl_add_u64 v[28:29], v[14:15], 3, s[8:9]
	v_add_u32_e32 v14, -7, v12
	v_lshl_add_u64 v[16:17], v[24:25], 3, s[10:11]
	v_lshl_add_u64 v[34:35], v[14:15], 3, s[8:9]
	v_add_u32_e32 v14, 2, v24
	global_load_dwordx2 v[16:17], v[16:17], off
	s_nop 0
	global_load_dwordx2 v[26:27], v[26:27], off
	s_nop 0
	global_load_dwordx2 v[36:37], v[28:29], off
	global_load_dwordx2 v[38:39], v[34:35], off
	v_lshl_add_u64 v[28:29], v[14:15], 3, s[10:11]
	v_add_u32_e32 v14, -2, v12
	v_lshl_add_u64 v[34:35], v[14:15], 3, s[8:9]
	v_add_u32_e32 v14, -6, v12
	v_lshl_add_u64 v[40:41], v[14:15], 3, s[8:9]
	v_add_u32_e32 v14, 3, v24
	global_load_dwordx2 v[28:29], v[28:29], off
	s_nop 0
	global_load_dwordx2 v[42:43], v[34:35], off
	global_load_dwordx2 v[44:45], v[40:41], off
	v_lshl_add_u64 v[34:35], v[14:15], 3, s[10:11]
	v_add_u32_e32 v14, -1, v12
	v_lshl_add_u64 v[40:41], v[14:15], 3, s[8:9]
	v_add_u32_e32 v14, -5, v12
	v_lshl_add_u64 v[46:47], v[14:15], 3, s[8:9]
	v_add_u32_e32 v14, 4, v24
	global_load_dwordx2 v[34:35], v[34:35], off
	s_nop 0
	global_load_dwordx2 v[24:25], v[40:41], off
	global_load_dwordx2 v[48:49], v[46:47], off
	v_lshl_add_u64 v[40:41], v[14:15], 3, s[10:11]
	global_load_dwordx2 v[40:41], v[40:41], off
	v_add_u32_e32 v12, 0x140, v12
	s_waitcnt vmcnt(10)
	v_fmac_f64_e32 v[8:9], v[20:21], v[16:17]
	v_fmac_f64_e32 v[0:1], v[30:31], v[16:17]
	s_waitcnt vmcnt(9)
	v_fmac_f64_e32 v[8:9], v[22:23], v[26:27]
	s_waitcnt vmcnt(8)
	;; [unrolled: 2-line block ×7, first 2 shown]
	v_fmac_f64_e32 v[8:9], v[48:49], v[40:41]
	v_fmac_f64_e32 v[0:1], v[32:33], v[40:41]
	s_andn2_b64 exec, exec, s[2:3]
	s_cbranch_execnz .LBB94_15
; %bb.16:
	s_or_b64 exec, exec, s[2:3]
.LBB94_17:
	s_or_b64 exec, exec, s[4:5]
.LBB94_18:
	v_mov_b32_dpp v10, v8 row_shr:1 row_mask:0xf bank_mask:0xf
	v_mov_b32_dpp v11, v9 row_shr:1 row_mask:0xf bank_mask:0xf
	;; [unrolled: 1-line block ×4, first 2 shown]
	v_add_f64 v[8:9], v[8:9], v[10:11]
	v_add_f64 v[0:1], v[0:1], v[12:13]
	v_cmp_eq_u32_e32 vcc, 31, v7
	v_mov_b32_dpp v10, v8 row_shr:2 row_mask:0xf bank_mask:0xf
	v_mov_b32_dpp v11, v9 row_shr:2 row_mask:0xf bank_mask:0xf
	v_mov_b32_dpp v12, v0 row_shr:2 row_mask:0xf bank_mask:0xf
	v_mov_b32_dpp v13, v1 row_shr:2 row_mask:0xf bank_mask:0xf
	v_add_f64 v[8:9], v[8:9], v[10:11]
	v_add_f64 v[0:1], v[0:1], v[12:13]
	s_nop 0
	v_mov_b32_dpp v10, v8 row_shr:4 row_mask:0xf bank_mask:0xe
	v_mov_b32_dpp v11, v9 row_shr:4 row_mask:0xf bank_mask:0xe
	v_mov_b32_dpp v12, v0 row_shr:4 row_mask:0xf bank_mask:0xe
	v_mov_b32_dpp v13, v1 row_shr:4 row_mask:0xf bank_mask:0xe
	v_add_f64 v[8:9], v[8:9], v[10:11]
	v_add_f64 v[0:1], v[0:1], v[12:13]
	s_nop 0
	;; [unrolled: 7-line block ×3, first 2 shown]
	v_mov_b32_dpp v10, v8 row_bcast:15 row_mask:0xa bank_mask:0xf
	v_mov_b32_dpp v11, v9 row_bcast:15 row_mask:0xa bank_mask:0xf
	;; [unrolled: 1-line block ×4, first 2 shown]
	s_and_b64 exec, exec, vcc
	s_cbranch_execz .LBB94_23
; %bb.19:
	s_load_dwordx2 s[0:1], s[0:1], 0x38
	v_add_f64 v[8:9], v[8:9], v[10:11]
	v_add_f64 v[0:1], v[0:1], v[12:13]
	v_cmp_eq_f64_e32 vcc, 0, v[4:5]
	s_and_saveexec_b64 s[2:3], vcc
	s_xor_b64 s[2:3], exec, s[2:3]
	s_cbranch_execz .LBB94_21
; %bb.20:
	v_lshlrev_b32_e32 v6, 1, v6
	v_ashrrev_i32_e32 v7, 31, v6
	v_mul_f64 v[4:5], v[2:3], v[8:9]
	s_waitcnt lgkmcnt(0)
	v_lshl_add_u64 v[8:9], v[6:7], 3, s[0:1]
	v_mul_f64 v[6:7], v[2:3], v[0:1]
	global_store_dwordx4 v[8:9], v[4:7], off
                                        ; implicit-def: $vgpr6
                                        ; implicit-def: $vgpr2_vgpr3
                                        ; implicit-def: $vgpr8_vgpr9
                                        ; implicit-def: $vgpr4_vgpr5
                                        ; implicit-def: $vgpr0_vgpr1
.LBB94_21:
	s_andn2_saveexec_b64 s[2:3], s[2:3]
	s_cbranch_execz .LBB94_23
; %bb.22:
	v_lshlrev_b32_e32 v6, 1, v6
	v_ashrrev_i32_e32 v7, 31, v6
	s_waitcnt lgkmcnt(0)
	v_lshl_add_u64 v[14:15], v[6:7], 3, s[0:1]
	global_load_dwordx4 v[10:13], v[14:15], off
	v_mul_f64 v[6:7], v[2:3], v[8:9]
	v_mul_f64 v[8:9], v[2:3], v[0:1]
	s_waitcnt vmcnt(0)
	v_fmac_f64_e32 v[6:7], v[4:5], v[10:11]
	v_fmac_f64_e32 v[8:9], v[4:5], v[12:13]
	global_store_dwordx4 v[14:15], v[6:9], off
.LBB94_23:
	s_endpgm
	.section	.rodata,"a",@progbits
	.p2align	6, 0x0
	.amdhsa_kernel _ZN9rocsparseL19gebsrmvn_2xn_kernelILj128ELj5ELj32EdEEvi20rocsparse_direction_NS_24const_host_device_scalarIT2_EEPKiS6_PKS3_S8_S4_PS3_21rocsparse_index_base_b
		.amdhsa_group_segment_fixed_size 0
		.amdhsa_private_segment_fixed_size 0
		.amdhsa_kernarg_size 72
		.amdhsa_user_sgpr_count 2
		.amdhsa_user_sgpr_dispatch_ptr 0
		.amdhsa_user_sgpr_queue_ptr 0
		.amdhsa_user_sgpr_kernarg_segment_ptr 1
		.amdhsa_user_sgpr_dispatch_id 0
		.amdhsa_user_sgpr_kernarg_preload_length 0
		.amdhsa_user_sgpr_kernarg_preload_offset 0
		.amdhsa_user_sgpr_private_segment_size 0
		.amdhsa_uses_dynamic_stack 0
		.amdhsa_enable_private_segment 0
		.amdhsa_system_sgpr_workgroup_id_x 1
		.amdhsa_system_sgpr_workgroup_id_y 0
		.amdhsa_system_sgpr_workgroup_id_z 0
		.amdhsa_system_sgpr_workgroup_info 0
		.amdhsa_system_vgpr_workitem_id 0
		.amdhsa_next_free_vgpr 50
		.amdhsa_next_free_sgpr 18
		.amdhsa_accum_offset 52
		.amdhsa_reserve_vcc 1
		.amdhsa_float_round_mode_32 0
		.amdhsa_float_round_mode_16_64 0
		.amdhsa_float_denorm_mode_32 3
		.amdhsa_float_denorm_mode_16_64 3
		.amdhsa_dx10_clamp 1
		.amdhsa_ieee_mode 1
		.amdhsa_fp16_overflow 0
		.amdhsa_tg_split 0
		.amdhsa_exception_fp_ieee_invalid_op 0
		.amdhsa_exception_fp_denorm_src 0
		.amdhsa_exception_fp_ieee_div_zero 0
		.amdhsa_exception_fp_ieee_overflow 0
		.amdhsa_exception_fp_ieee_underflow 0
		.amdhsa_exception_fp_ieee_inexact 0
		.amdhsa_exception_int_div_zero 0
	.end_amdhsa_kernel
	.section	.text._ZN9rocsparseL19gebsrmvn_2xn_kernelILj128ELj5ELj32EdEEvi20rocsparse_direction_NS_24const_host_device_scalarIT2_EEPKiS6_PKS3_S8_S4_PS3_21rocsparse_index_base_b,"axG",@progbits,_ZN9rocsparseL19gebsrmvn_2xn_kernelILj128ELj5ELj32EdEEvi20rocsparse_direction_NS_24const_host_device_scalarIT2_EEPKiS6_PKS3_S8_S4_PS3_21rocsparse_index_base_b,comdat
.Lfunc_end94:
	.size	_ZN9rocsparseL19gebsrmvn_2xn_kernelILj128ELj5ELj32EdEEvi20rocsparse_direction_NS_24const_host_device_scalarIT2_EEPKiS6_PKS3_S8_S4_PS3_21rocsparse_index_base_b, .Lfunc_end94-_ZN9rocsparseL19gebsrmvn_2xn_kernelILj128ELj5ELj32EdEEvi20rocsparse_direction_NS_24const_host_device_scalarIT2_EEPKiS6_PKS3_S8_S4_PS3_21rocsparse_index_base_b
                                        ; -- End function
	.section	.AMDGPU.csdata,"",@progbits
; Kernel info:
; codeLenInByte = 1504
; NumSgprs: 24
; NumVgprs: 50
; NumAgprs: 0
; TotalNumVgprs: 50
; ScratchSize: 0
; MemoryBound: 0
; FloatMode: 240
; IeeeMode: 1
; LDSByteSize: 0 bytes/workgroup (compile time only)
; SGPRBlocks: 2
; VGPRBlocks: 6
; NumSGPRsForWavesPerEU: 24
; NumVGPRsForWavesPerEU: 50
; AccumOffset: 52
; Occupancy: 8
; WaveLimiterHint : 1
; COMPUTE_PGM_RSRC2:SCRATCH_EN: 0
; COMPUTE_PGM_RSRC2:USER_SGPR: 2
; COMPUTE_PGM_RSRC2:TRAP_HANDLER: 0
; COMPUTE_PGM_RSRC2:TGID_X_EN: 1
; COMPUTE_PGM_RSRC2:TGID_Y_EN: 0
; COMPUTE_PGM_RSRC2:TGID_Z_EN: 0
; COMPUTE_PGM_RSRC2:TIDIG_COMP_CNT: 0
; COMPUTE_PGM_RSRC3_GFX90A:ACCUM_OFFSET: 12
; COMPUTE_PGM_RSRC3_GFX90A:TG_SPLIT: 0
	.section	.text._ZN9rocsparseL19gebsrmvn_2xn_kernelILj128ELj5ELj64EdEEvi20rocsparse_direction_NS_24const_host_device_scalarIT2_EEPKiS6_PKS3_S8_S4_PS3_21rocsparse_index_base_b,"axG",@progbits,_ZN9rocsparseL19gebsrmvn_2xn_kernelILj128ELj5ELj64EdEEvi20rocsparse_direction_NS_24const_host_device_scalarIT2_EEPKiS6_PKS3_S8_S4_PS3_21rocsparse_index_base_b,comdat
	.globl	_ZN9rocsparseL19gebsrmvn_2xn_kernelILj128ELj5ELj64EdEEvi20rocsparse_direction_NS_24const_host_device_scalarIT2_EEPKiS6_PKS3_S8_S4_PS3_21rocsparse_index_base_b ; -- Begin function _ZN9rocsparseL19gebsrmvn_2xn_kernelILj128ELj5ELj64EdEEvi20rocsparse_direction_NS_24const_host_device_scalarIT2_EEPKiS6_PKS3_S8_S4_PS3_21rocsparse_index_base_b
	.p2align	8
	.type	_ZN9rocsparseL19gebsrmvn_2xn_kernelILj128ELj5ELj64EdEEvi20rocsparse_direction_NS_24const_host_device_scalarIT2_EEPKiS6_PKS3_S8_S4_PS3_21rocsparse_index_base_b,@function
_ZN9rocsparseL19gebsrmvn_2xn_kernelILj128ELj5ELj64EdEEvi20rocsparse_direction_NS_24const_host_device_scalarIT2_EEPKiS6_PKS3_S8_S4_PS3_21rocsparse_index_base_b: ; @_ZN9rocsparseL19gebsrmvn_2xn_kernelILj128ELj5ELj64EdEEvi20rocsparse_direction_NS_24const_host_device_scalarIT2_EEPKiS6_PKS3_S8_S4_PS3_21rocsparse_index_base_b
; %bb.0:
	s_load_dwordx2 s[12:13], s[0:1], 0x40
	s_load_dwordx2 s[8:9], s[0:1], 0x8
	;; [unrolled: 1-line block ×3, first 2 shown]
	s_waitcnt lgkmcnt(0)
	s_bitcmp1_b32 s13, 0
	s_cselect_b64 s[10:11], -1, 0
	s_xor_b64 s[6:7], s[10:11], -1
	s_and_b64 vcc, exec, s[10:11]
	v_mov_b64_e32 v[2:3], s[8:9]
	s_cbranch_vccnz .LBB95_2
; %bb.1:
	v_mov_b64_e32 v[2:3], s[8:9]
	flat_load_dwordx2 v[2:3], v[2:3]
.LBB95_2:
	s_andn2_b64 vcc, exec, s[6:7]
	v_mov_b64_e32 v[4:5], s[4:5]
	s_cbranch_vccnz .LBB95_4
; %bb.3:
	v_mov_b64_e32 v[4:5], s[4:5]
	flat_load_dwordx2 v[4:5], v[4:5]
.LBB95_4:
	s_waitcnt vmcnt(0) lgkmcnt(0)
	v_cmp_neq_f64_e32 vcc, 0, v[2:3]
	v_cmp_neq_f64_e64 s[4:5], 1.0, v[4:5]
	s_or_b64 s[4:5], vcc, s[4:5]
	s_and_saveexec_b64 s[6:7], s[4:5]
	s_cbranch_execz .LBB95_23
; %bb.5:
	s_load_dwordx2 s[14:15], s[0:1], 0x0
	v_lshrrev_b32_e32 v1, 6, v0
	v_lshl_or_b32 v6, s2, 1, v1
	s_waitcnt lgkmcnt(0)
	v_cmp_gt_i32_e32 vcc, s14, v6
	s_and_b64 exec, exec, vcc
	s_cbranch_execz .LBB95_23
; %bb.6:
	s_load_dwordx8 s[4:11], s[0:1], 0x10
	v_ashrrev_i32_e32 v7, 31, v6
	s_cmp_lg_u32 s15, 0
	s_waitcnt lgkmcnt(0)
	v_lshl_add_u64 v[8:9], v[6:7], 2, s[4:5]
	global_load_dwordx2 v[8:9], v[8:9], off
	v_and_b32_e32 v7, 63, v0
	s_waitcnt vmcnt(0)
	v_subrev_u32_e32 v0, s12, v8
	v_subrev_u32_e32 v18, s12, v9
	v_add_u32_e32 v10, v0, v7
	v_cmp_lt_i32_e64 s[2:3], v10, v18
	s_cbranch_scc0 .LBB95_12
; %bb.7:
	v_mov_b64_e32 v[8:9], 0
	s_mov_b64 s[4:5], 0
	v_mov_b64_e32 v[0:1], v[8:9]
	s_and_saveexec_b64 s[14:15], s[2:3]
	s_cbranch_execz .LBB95_11
; %bb.8:
	v_mad_u64_u32 v[12:13], s[16:17], v10, 10, 8
	v_mov_b64_e32 v[8:9], 0
	s_mov_b64 s[16:17], 0
	v_mov_b32_e32 v15, 0
	v_mov_b32_e32 v16, v10
	v_mov_b64_e32 v[0:1], v[8:9]
.LBB95_9:                               ; =>This Inner Loop Header: Depth=1
	v_ashrrev_i32_e32 v17, 31, v16
	v_lshl_add_u64 v[20:21], v[16:17], 2, s[6:7]
	global_load_dword v11, v[20:21], off
	v_add_u32_e32 v14, -8, v12
	v_mov_b32_e32 v13, v15
	v_mov_b32_e32 v41, v15
	v_lshl_add_u64 v[20:21], v[14:15], 3, s[8:9]
	v_add_u32_e32 v14, -6, v12
	v_lshl_add_u64 v[32:33], v[12:13], 3, s[8:9]
	global_load_dwordx4 v[20:23], v[20:21], off
	v_lshl_add_u64 v[34:35], v[14:15], 3, s[8:9]
	global_load_dwordx4 v[24:27], v[32:33], off
	global_load_dwordx4 v[28:31], v[34:35], off
	v_add_u32_e32 v16, 64, v16
	v_cmp_ge_i32_e32 vcc, v16, v18
	s_or_b64 s[16:17], vcc, s[16:17]
	s_waitcnt vmcnt(3)
	v_subrev_u32_e32 v11, s12, v11
	v_lshl_add_u32 v40, v11, 2, v11
	v_lshl_add_u64 v[32:33], v[40:41], 3, s[10:11]
	v_add_u32_e32 v14, 1, v40
	global_load_dwordx2 v[42:43], v[32:33], off
	v_lshl_add_u64 v[32:33], v[14:15], 3, s[10:11]
	v_add_u32_e32 v14, -4, v12
	global_load_dwordx2 v[44:45], v[32:33], off
	v_lshl_add_u64 v[32:33], v[14:15], 3, s[8:9]
	v_add_u32_e32 v14, 2, v40
	v_lshl_add_u64 v[36:37], v[14:15], 3, s[10:11]
	v_add_u32_e32 v14, -2, v12
	global_load_dwordx2 v[46:47], v[36:37], off
	v_lshl_add_u64 v[36:37], v[14:15], 3, s[8:9]
	v_add_u32_e32 v14, 3, v40
	global_load_dwordx4 v[32:35], v[32:33], off
	v_lshl_add_u64 v[48:49], v[14:15], 3, s[10:11]
	v_add_u32_e32 v14, 4, v40
	global_load_dwordx4 v[36:39], v[36:37], off
	v_add_u32_e32 v12, 0x280, v12
	global_load_dwordx2 v[40:41], v[48:49], off
	v_lshl_add_u64 v[48:49], v[14:15], 3, s[10:11]
	global_load_dwordx2 v[48:49], v[48:49], off
	s_waitcnt vmcnt(6)
	v_fmac_f64_e32 v[8:9], v[20:21], v[42:43]
	v_fmac_f64_e32 v[0:1], v[22:23], v[42:43]
	s_waitcnt vmcnt(5)
	v_fmac_f64_e32 v[8:9], v[28:29], v[44:45]
	v_fmac_f64_e32 v[0:1], v[30:31], v[44:45]
	;; [unrolled: 3-line block ×5, first 2 shown]
	s_andn2_b64 exec, exec, s[16:17]
	s_cbranch_execnz .LBB95_9
; %bb.10:
	s_or_b64 exec, exec, s[16:17]
.LBB95_11:
	s_or_b64 exec, exec, s[14:15]
	s_andn2_b64 vcc, exec, s[4:5]
	s_cbranch_vccz .LBB95_13
	s_branch .LBB95_18
.LBB95_12:
                                        ; implicit-def: $vgpr8_vgpr9
                                        ; implicit-def: $vgpr0_vgpr1
.LBB95_13:
	v_mov_b64_e32 v[8:9], 0
	v_mov_b64_e32 v[0:1], v[8:9]
	s_and_saveexec_b64 s[4:5], s[2:3]
	s_cbranch_execz .LBB95_17
; %bb.14:
	v_mad_u64_u32 v[12:13], s[2:3], v10, 10, 9
	v_mov_b64_e32 v[8:9], 0
	s_mov_b64 s[2:3], 0
	v_mov_b32_e32 v15, 0
	v_mov_b64_e32 v[0:1], v[8:9]
.LBB95_15:                              ; =>This Inner Loop Header: Depth=1
	v_ashrrev_i32_e32 v11, 31, v10
	v_lshl_add_u64 v[16:17], v[10:11], 2, s[6:7]
	global_load_dword v11, v[16:17], off
	v_add_u32_e32 v14, -9, v12
	v_add_u32_e32 v16, -4, v12
	v_mov_b32_e32 v17, v15
	v_mov_b32_e32 v13, v15
	v_lshl_add_u64 v[26:27], v[14:15], 3, s[8:9]
	v_lshl_add_u64 v[16:17], v[16:17], 3, s[8:9]
	;; [unrolled: 1-line block ×3, first 2 shown]
	global_load_dwordx4 v[20:23], v[26:27], off
	global_load_dwordx2 v[30:31], v[16:17], off
	global_load_dwordx2 v[32:33], v[28:29], off
	v_mov_b32_e32 v25, v15
	v_add_u32_e32 v10, 64, v10
	v_cmp_ge_i32_e32 vcc, v10, v18
	s_or_b64 s[2:3], vcc, s[2:3]
	s_waitcnt vmcnt(3)
	v_subrev_u32_e32 v11, s12, v11
	v_lshl_add_u32 v24, v11, 2, v11
	v_add_u32_e32 v14, 1, v24
	v_lshl_add_u64 v[26:27], v[14:15], 3, s[10:11]
	v_add_u32_e32 v14, -3, v12
	v_lshl_add_u64 v[28:29], v[14:15], 3, s[8:9]
	v_add_u32_e32 v14, -7, v12
	v_lshl_add_u64 v[16:17], v[24:25], 3, s[10:11]
	v_lshl_add_u64 v[34:35], v[14:15], 3, s[8:9]
	v_add_u32_e32 v14, 2, v24
	global_load_dwordx2 v[16:17], v[16:17], off
	s_nop 0
	global_load_dwordx2 v[26:27], v[26:27], off
	s_nop 0
	global_load_dwordx2 v[36:37], v[28:29], off
	global_load_dwordx2 v[38:39], v[34:35], off
	v_lshl_add_u64 v[28:29], v[14:15], 3, s[10:11]
	v_add_u32_e32 v14, -2, v12
	v_lshl_add_u64 v[34:35], v[14:15], 3, s[8:9]
	v_add_u32_e32 v14, -6, v12
	v_lshl_add_u64 v[40:41], v[14:15], 3, s[8:9]
	v_add_u32_e32 v14, 3, v24
	global_load_dwordx2 v[28:29], v[28:29], off
	s_nop 0
	global_load_dwordx2 v[42:43], v[34:35], off
	global_load_dwordx2 v[44:45], v[40:41], off
	v_lshl_add_u64 v[34:35], v[14:15], 3, s[10:11]
	v_add_u32_e32 v14, -1, v12
	v_lshl_add_u64 v[40:41], v[14:15], 3, s[8:9]
	v_add_u32_e32 v14, -5, v12
	v_lshl_add_u64 v[46:47], v[14:15], 3, s[8:9]
	v_add_u32_e32 v14, 4, v24
	global_load_dwordx2 v[34:35], v[34:35], off
	s_nop 0
	global_load_dwordx2 v[24:25], v[40:41], off
	global_load_dwordx2 v[48:49], v[46:47], off
	v_lshl_add_u64 v[40:41], v[14:15], 3, s[10:11]
	global_load_dwordx2 v[40:41], v[40:41], off
	v_add_u32_e32 v12, 0x280, v12
	s_waitcnt vmcnt(10)
	v_fmac_f64_e32 v[8:9], v[20:21], v[16:17]
	v_fmac_f64_e32 v[0:1], v[30:31], v[16:17]
	s_waitcnt vmcnt(9)
	v_fmac_f64_e32 v[8:9], v[22:23], v[26:27]
	s_waitcnt vmcnt(8)
	v_fmac_f64_e32 v[0:1], v[36:37], v[26:27]
	s_waitcnt vmcnt(6)
	v_fmac_f64_e32 v[8:9], v[38:39], v[28:29]
	s_waitcnt vmcnt(5)
	v_fmac_f64_e32 v[0:1], v[42:43], v[28:29]
	s_waitcnt vmcnt(3)
	v_fmac_f64_e32 v[8:9], v[44:45], v[34:35]
	s_waitcnt vmcnt(2)
	v_fmac_f64_e32 v[0:1], v[24:25], v[34:35]
	s_waitcnt vmcnt(0)
	v_fmac_f64_e32 v[8:9], v[48:49], v[40:41]
	v_fmac_f64_e32 v[0:1], v[32:33], v[40:41]
	s_andn2_b64 exec, exec, s[2:3]
	s_cbranch_execnz .LBB95_15
; %bb.16:
	s_or_b64 exec, exec, s[2:3]
.LBB95_17:
	s_or_b64 exec, exec, s[4:5]
.LBB95_18:
	v_mov_b32_dpp v10, v8 row_shr:1 row_mask:0xf bank_mask:0xf
	v_mov_b32_dpp v11, v9 row_shr:1 row_mask:0xf bank_mask:0xf
	v_mov_b32_dpp v12, v0 row_shr:1 row_mask:0xf bank_mask:0xf
	v_mov_b32_dpp v13, v1 row_shr:1 row_mask:0xf bank_mask:0xf
	v_add_f64 v[8:9], v[8:9], v[10:11]
	v_add_f64 v[0:1], v[0:1], v[12:13]
	v_cmp_eq_u32_e32 vcc, 63, v7
	v_mov_b32_dpp v10, v8 row_shr:2 row_mask:0xf bank_mask:0xf
	v_mov_b32_dpp v11, v9 row_shr:2 row_mask:0xf bank_mask:0xf
	v_mov_b32_dpp v12, v0 row_shr:2 row_mask:0xf bank_mask:0xf
	v_mov_b32_dpp v13, v1 row_shr:2 row_mask:0xf bank_mask:0xf
	v_add_f64 v[8:9], v[8:9], v[10:11]
	v_add_f64 v[0:1], v[0:1], v[12:13]
	s_nop 0
	v_mov_b32_dpp v10, v8 row_shr:4 row_mask:0xf bank_mask:0xe
	v_mov_b32_dpp v11, v9 row_shr:4 row_mask:0xf bank_mask:0xe
	v_mov_b32_dpp v12, v0 row_shr:4 row_mask:0xf bank_mask:0xe
	v_mov_b32_dpp v13, v1 row_shr:4 row_mask:0xf bank_mask:0xe
	v_add_f64 v[8:9], v[8:9], v[10:11]
	v_add_f64 v[0:1], v[0:1], v[12:13]
	s_nop 0
	;; [unrolled: 7-line block ×3, first 2 shown]
	v_mov_b32_dpp v10, v8 row_bcast:15 row_mask:0xa bank_mask:0xf
	v_mov_b32_dpp v11, v9 row_bcast:15 row_mask:0xa bank_mask:0xf
	;; [unrolled: 1-line block ×4, first 2 shown]
	v_add_f64 v[8:9], v[8:9], v[10:11]
	v_add_f64 v[0:1], v[0:1], v[12:13]
	s_nop 0
	v_mov_b32_dpp v10, v8 row_bcast:31 row_mask:0xc bank_mask:0xf
	v_mov_b32_dpp v11, v9 row_bcast:31 row_mask:0xc bank_mask:0xf
	;; [unrolled: 1-line block ×4, first 2 shown]
	s_and_b64 exec, exec, vcc
	s_cbranch_execz .LBB95_23
; %bb.19:
	s_load_dwordx2 s[0:1], s[0:1], 0x38
	v_add_f64 v[8:9], v[8:9], v[10:11]
	v_add_f64 v[0:1], v[0:1], v[12:13]
	v_cmp_eq_f64_e32 vcc, 0, v[4:5]
	s_and_saveexec_b64 s[2:3], vcc
	s_xor_b64 s[2:3], exec, s[2:3]
	s_cbranch_execz .LBB95_21
; %bb.20:
	v_lshlrev_b32_e32 v6, 1, v6
	v_ashrrev_i32_e32 v7, 31, v6
	v_mul_f64 v[4:5], v[2:3], v[8:9]
	s_waitcnt lgkmcnt(0)
	v_lshl_add_u64 v[8:9], v[6:7], 3, s[0:1]
	v_mul_f64 v[6:7], v[2:3], v[0:1]
	global_store_dwordx4 v[8:9], v[4:7], off
                                        ; implicit-def: $vgpr6
                                        ; implicit-def: $vgpr2_vgpr3
                                        ; implicit-def: $vgpr8_vgpr9
                                        ; implicit-def: $vgpr4_vgpr5
                                        ; implicit-def: $vgpr0_vgpr1
.LBB95_21:
	s_andn2_saveexec_b64 s[2:3], s[2:3]
	s_cbranch_execz .LBB95_23
; %bb.22:
	v_lshlrev_b32_e32 v6, 1, v6
	v_ashrrev_i32_e32 v7, 31, v6
	s_waitcnt lgkmcnt(0)
	v_lshl_add_u64 v[14:15], v[6:7], 3, s[0:1]
	global_load_dwordx4 v[10:13], v[14:15], off
	v_mul_f64 v[6:7], v[2:3], v[8:9]
	v_mul_f64 v[8:9], v[2:3], v[0:1]
	s_waitcnt vmcnt(0)
	v_fmac_f64_e32 v[6:7], v[4:5], v[10:11]
	v_fmac_f64_e32 v[8:9], v[4:5], v[12:13]
	global_store_dwordx4 v[14:15], v[6:9], off
.LBB95_23:
	s_endpgm
	.section	.rodata,"a",@progbits
	.p2align	6, 0x0
	.amdhsa_kernel _ZN9rocsparseL19gebsrmvn_2xn_kernelILj128ELj5ELj64EdEEvi20rocsparse_direction_NS_24const_host_device_scalarIT2_EEPKiS6_PKS3_S8_S4_PS3_21rocsparse_index_base_b
		.amdhsa_group_segment_fixed_size 0
		.amdhsa_private_segment_fixed_size 0
		.amdhsa_kernarg_size 72
		.amdhsa_user_sgpr_count 2
		.amdhsa_user_sgpr_dispatch_ptr 0
		.amdhsa_user_sgpr_queue_ptr 0
		.amdhsa_user_sgpr_kernarg_segment_ptr 1
		.amdhsa_user_sgpr_dispatch_id 0
		.amdhsa_user_sgpr_kernarg_preload_length 0
		.amdhsa_user_sgpr_kernarg_preload_offset 0
		.amdhsa_user_sgpr_private_segment_size 0
		.amdhsa_uses_dynamic_stack 0
		.amdhsa_enable_private_segment 0
		.amdhsa_system_sgpr_workgroup_id_x 1
		.amdhsa_system_sgpr_workgroup_id_y 0
		.amdhsa_system_sgpr_workgroup_id_z 0
		.amdhsa_system_sgpr_workgroup_info 0
		.amdhsa_system_vgpr_workitem_id 0
		.amdhsa_next_free_vgpr 50
		.amdhsa_next_free_sgpr 18
		.amdhsa_accum_offset 52
		.amdhsa_reserve_vcc 1
		.amdhsa_float_round_mode_32 0
		.amdhsa_float_round_mode_16_64 0
		.amdhsa_float_denorm_mode_32 3
		.amdhsa_float_denorm_mode_16_64 3
		.amdhsa_dx10_clamp 1
		.amdhsa_ieee_mode 1
		.amdhsa_fp16_overflow 0
		.amdhsa_tg_split 0
		.amdhsa_exception_fp_ieee_invalid_op 0
		.amdhsa_exception_fp_denorm_src 0
		.amdhsa_exception_fp_ieee_div_zero 0
		.amdhsa_exception_fp_ieee_overflow 0
		.amdhsa_exception_fp_ieee_underflow 0
		.amdhsa_exception_fp_ieee_inexact 0
		.amdhsa_exception_int_div_zero 0
	.end_amdhsa_kernel
	.section	.text._ZN9rocsparseL19gebsrmvn_2xn_kernelILj128ELj5ELj64EdEEvi20rocsparse_direction_NS_24const_host_device_scalarIT2_EEPKiS6_PKS3_S8_S4_PS3_21rocsparse_index_base_b,"axG",@progbits,_ZN9rocsparseL19gebsrmvn_2xn_kernelILj128ELj5ELj64EdEEvi20rocsparse_direction_NS_24const_host_device_scalarIT2_EEPKiS6_PKS3_S8_S4_PS3_21rocsparse_index_base_b,comdat
.Lfunc_end95:
	.size	_ZN9rocsparseL19gebsrmvn_2xn_kernelILj128ELj5ELj64EdEEvi20rocsparse_direction_NS_24const_host_device_scalarIT2_EEPKiS6_PKS3_S8_S4_PS3_21rocsparse_index_base_b, .Lfunc_end95-_ZN9rocsparseL19gebsrmvn_2xn_kernelILj128ELj5ELj64EdEEvi20rocsparse_direction_NS_24const_host_device_scalarIT2_EEPKiS6_PKS3_S8_S4_PS3_21rocsparse_index_base_b
                                        ; -- End function
	.section	.AMDGPU.csdata,"",@progbits
; Kernel info:
; codeLenInByte = 1556
; NumSgprs: 24
; NumVgprs: 50
; NumAgprs: 0
; TotalNumVgprs: 50
; ScratchSize: 0
; MemoryBound: 0
; FloatMode: 240
; IeeeMode: 1
; LDSByteSize: 0 bytes/workgroup (compile time only)
; SGPRBlocks: 2
; VGPRBlocks: 6
; NumSGPRsForWavesPerEU: 24
; NumVGPRsForWavesPerEU: 50
; AccumOffset: 52
; Occupancy: 8
; WaveLimiterHint : 1
; COMPUTE_PGM_RSRC2:SCRATCH_EN: 0
; COMPUTE_PGM_RSRC2:USER_SGPR: 2
; COMPUTE_PGM_RSRC2:TRAP_HANDLER: 0
; COMPUTE_PGM_RSRC2:TGID_X_EN: 1
; COMPUTE_PGM_RSRC2:TGID_Y_EN: 0
; COMPUTE_PGM_RSRC2:TGID_Z_EN: 0
; COMPUTE_PGM_RSRC2:TIDIG_COMP_CNT: 0
; COMPUTE_PGM_RSRC3_GFX90A:ACCUM_OFFSET: 12
; COMPUTE_PGM_RSRC3_GFX90A:TG_SPLIT: 0
	.section	.text._ZN9rocsparseL19gebsrmvn_2xn_kernelILj128ELj6ELj4EdEEvi20rocsparse_direction_NS_24const_host_device_scalarIT2_EEPKiS6_PKS3_S8_S4_PS3_21rocsparse_index_base_b,"axG",@progbits,_ZN9rocsparseL19gebsrmvn_2xn_kernelILj128ELj6ELj4EdEEvi20rocsparse_direction_NS_24const_host_device_scalarIT2_EEPKiS6_PKS3_S8_S4_PS3_21rocsparse_index_base_b,comdat
	.globl	_ZN9rocsparseL19gebsrmvn_2xn_kernelILj128ELj6ELj4EdEEvi20rocsparse_direction_NS_24const_host_device_scalarIT2_EEPKiS6_PKS3_S8_S4_PS3_21rocsparse_index_base_b ; -- Begin function _ZN9rocsparseL19gebsrmvn_2xn_kernelILj128ELj6ELj4EdEEvi20rocsparse_direction_NS_24const_host_device_scalarIT2_EEPKiS6_PKS3_S8_S4_PS3_21rocsparse_index_base_b
	.p2align	8
	.type	_ZN9rocsparseL19gebsrmvn_2xn_kernelILj128ELj6ELj4EdEEvi20rocsparse_direction_NS_24const_host_device_scalarIT2_EEPKiS6_PKS3_S8_S4_PS3_21rocsparse_index_base_b,@function
_ZN9rocsparseL19gebsrmvn_2xn_kernelILj128ELj6ELj4EdEEvi20rocsparse_direction_NS_24const_host_device_scalarIT2_EEPKiS6_PKS3_S8_S4_PS3_21rocsparse_index_base_b: ; @_ZN9rocsparseL19gebsrmvn_2xn_kernelILj128ELj6ELj4EdEEvi20rocsparse_direction_NS_24const_host_device_scalarIT2_EEPKiS6_PKS3_S8_S4_PS3_21rocsparse_index_base_b
; %bb.0:
	s_load_dwordx2 s[12:13], s[0:1], 0x40
	s_load_dwordx2 s[8:9], s[0:1], 0x8
	;; [unrolled: 1-line block ×3, first 2 shown]
	s_waitcnt lgkmcnt(0)
	s_bitcmp1_b32 s13, 0
	s_cselect_b64 s[10:11], -1, 0
	s_xor_b64 s[6:7], s[10:11], -1
	s_and_b64 vcc, exec, s[10:11]
	v_mov_b64_e32 v[2:3], s[8:9]
	s_cbranch_vccnz .LBB96_2
; %bb.1:
	v_mov_b64_e32 v[2:3], s[8:9]
	flat_load_dwordx2 v[2:3], v[2:3]
.LBB96_2:
	s_andn2_b64 vcc, exec, s[6:7]
	v_mov_b64_e32 v[4:5], s[4:5]
	s_cbranch_vccnz .LBB96_4
; %bb.3:
	v_mov_b64_e32 v[4:5], s[4:5]
	flat_load_dwordx2 v[4:5], v[4:5]
.LBB96_4:
	s_waitcnt vmcnt(0) lgkmcnt(0)
	v_cmp_neq_f64_e32 vcc, 0, v[2:3]
	v_cmp_neq_f64_e64 s[4:5], 1.0, v[4:5]
	s_or_b64 s[4:5], vcc, s[4:5]
	s_and_saveexec_b64 s[6:7], s[4:5]
	s_cbranch_execz .LBB96_23
; %bb.5:
	s_load_dwordx2 s[14:15], s[0:1], 0x0
	v_lshrrev_b32_e32 v1, 2, v0
	v_lshl_or_b32 v6, s2, 5, v1
	s_waitcnt lgkmcnt(0)
	v_cmp_gt_i32_e32 vcc, s14, v6
	s_and_b64 exec, exec, vcc
	s_cbranch_execz .LBB96_23
; %bb.6:
	s_load_dwordx8 s[4:11], s[0:1], 0x10
	v_ashrrev_i32_e32 v7, 31, v6
	s_cmp_lg_u32 s15, 0
	s_waitcnt lgkmcnt(0)
	v_lshl_add_u64 v[8:9], v[6:7], 2, s[4:5]
	global_load_dwordx2 v[8:9], v[8:9], off
	v_and_b32_e32 v7, 3, v0
	s_waitcnt vmcnt(0)
	v_subrev_u32_e32 v0, s12, v8
	v_subrev_u32_e32 v18, s12, v9
	v_add_u32_e32 v8, v0, v7
	v_cmp_lt_i32_e64 s[2:3], v8, v18
	s_cbranch_scc0 .LBB96_12
; %bb.7:
	v_mov_b64_e32 v[0:1], 0
	s_mov_b64 s[4:5], 0
	v_mov_b64_e32 v[10:11], v[0:1]
	s_and_saveexec_b64 s[14:15], s[2:3]
	s_cbranch_execz .LBB96_11
; %bb.8:
	v_mad_u64_u32 v[12:13], s[16:17], v8, 12, 10
	v_mov_b64_e32 v[0:1], 0
	s_mov_b64 s[16:17], 0
	v_mov_b32_e32 v15, 0
	v_mov_b32_e32 v16, v8
	v_mov_b64_e32 v[10:11], v[0:1]
.LBB96_9:                               ; =>This Inner Loop Header: Depth=1
	v_ashrrev_i32_e32 v17, 31, v16
	v_lshl_add_u64 v[20:21], v[16:17], 2, s[6:7]
	global_load_dword v9, v[20:21], off
	v_add_u32_e32 v14, -10, v12
	v_mov_b32_e32 v41, v15
	v_lshl_add_u64 v[28:29], v[14:15], 3, s[8:9]
	v_add_u32_e32 v14, -6, v12
	global_load_dwordx4 v[20:23], v[28:29], off offset:16
	global_load_dwordx4 v[24:27], v[28:29], off
	v_lshl_add_u64 v[28:29], v[14:15], 3, s[8:9]
	global_load_dwordx4 v[28:31], v[28:29], off
	v_mov_b32_e32 v13, v15
	v_lshl_add_u64 v[56:57], v[12:13], 3, s[8:9]
	v_add_u32_e32 v16, 4, v16
	v_cmp_ge_i32_e32 vcc, v16, v18
	s_or_b64 s[16:17], vcc, s[16:17]
	s_waitcnt vmcnt(3)
	v_subrev_u32_e32 v9, s12, v9
	v_mul_lo_u32 v40, v9, 6
	v_lshl_add_u64 v[32:33], v[40:41], 3, s[10:11]
	v_add_u32_e32 v14, 2, v40
	global_load_dwordx4 v[32:35], v[32:33], off
	v_lshl_add_u64 v[36:37], v[14:15], 3, s[10:11]
	global_load_dwordx4 v[36:39], v[36:37], off
	v_add_u32_e32 v14, -4, v12
	v_lshl_add_u64 v[48:49], v[14:15], 3, s[8:9]
	v_add_u32_e32 v14, -2, v12
	v_lshl_add_u64 v[50:51], v[14:15], 3, s[8:9]
	v_add_u32_e32 v14, 4, v40
	global_load_dwordx4 v[40:43], v[48:49], off
	global_load_dwordx4 v[44:47], v[50:51], off
	v_lshl_add_u64 v[58:59], v[14:15], 3, s[10:11]
	global_load_dwordx4 v[48:51], v[58:59], off
	global_load_dwordx4 v[52:55], v[56:57], off
	v_add_u32_e32 v12, 48, v12
	s_waitcnt vmcnt(5)
	v_fmac_f64_e32 v[0:1], v[24:25], v[32:33]
	v_fmac_f64_e32 v[10:11], v[26:27], v[32:33]
	;; [unrolled: 1-line block ×4, first 2 shown]
	s_waitcnt vmcnt(4)
	v_fmac_f64_e32 v[0:1], v[28:29], v[36:37]
	v_fmac_f64_e32 v[10:11], v[30:31], v[36:37]
	s_waitcnt vmcnt(3)
	v_fmac_f64_e32 v[0:1], v[40:41], v[38:39]
	v_fmac_f64_e32 v[10:11], v[42:43], v[38:39]
	s_waitcnt vmcnt(1)
	v_fmac_f64_e32 v[0:1], v[44:45], v[48:49]
	v_fmac_f64_e32 v[10:11], v[46:47], v[48:49]
	s_waitcnt vmcnt(0)
	v_fmac_f64_e32 v[0:1], v[52:53], v[50:51]
	v_fmac_f64_e32 v[10:11], v[54:55], v[50:51]
	s_andn2_b64 exec, exec, s[16:17]
	s_cbranch_execnz .LBB96_9
; %bb.10:
	s_or_b64 exec, exec, s[16:17]
.LBB96_11:
	s_or_b64 exec, exec, s[14:15]
	s_andn2_b64 vcc, exec, s[4:5]
	s_cbranch_vccz .LBB96_13
	s_branch .LBB96_18
.LBB96_12:
                                        ; implicit-def: $vgpr0_vgpr1
                                        ; implicit-def: $vgpr10_vgpr11
.LBB96_13:
	v_mov_b64_e32 v[0:1], 0
	v_mov_b64_e32 v[10:11], v[0:1]
	s_and_saveexec_b64 s[4:5], s[2:3]
	s_cbranch_execz .LBB96_17
; %bb.14:
	v_mad_u64_u32 v[12:13], s[2:3], v8, 12, 11
	v_mov_b64_e32 v[0:1], 0
	s_mov_b64 s[2:3], 0
	v_mov_b32_e32 v15, 0
	v_mov_b64_e32 v[10:11], v[0:1]
.LBB96_15:                              ; =>This Inner Loop Header: Depth=1
	v_ashrrev_i32_e32 v9, 31, v8
	v_lshl_add_u64 v[16:17], v[8:9], 2, s[6:7]
	global_load_dword v9, v[16:17], off
	v_add_u32_e32 v14, -11, v12
	v_add_u32_e32 v16, -5, v12
	v_mov_b32_e32 v17, v15
	v_mov_b32_e32 v37, v15
	v_lshl_add_u64 v[28:29], v[14:15], 3, s[8:9]
	v_lshl_add_u64 v[16:17], v[16:17], 3, s[8:9]
	v_add_u32_e32 v14, -4, v12
	global_load_dwordx4 v[20:23], v[28:29], off offset:16
	global_load_dwordx4 v[24:27], v[28:29], off
	v_lshl_add_u64 v[28:29], v[14:15], 3, s[8:9]
	global_load_dwordx2 v[42:43], v[16:17], off
	global_load_dwordx2 v[44:45], v[28:29], off
	v_mov_b32_e32 v13, v15
	v_lshl_add_u64 v[40:41], v[12:13], 3, s[8:9]
	v_add_u32_e32 v8, 4, v8
	v_cmp_ge_i32_e32 vcc, v8, v18
	s_or_b64 s[2:3], vcc, s[2:3]
	s_waitcnt vmcnt(4)
	v_subrev_u32_e32 v9, s12, v9
	v_mul_lo_u32 v36, v9, 6
	v_lshl_add_u64 v[16:17], v[36:37], 3, s[10:11]
	v_add_u32_e32 v14, 2, v36
	global_load_dwordx4 v[28:31], v[16:17], off
	v_lshl_add_u64 v[16:17], v[14:15], 3, s[10:11]
	v_add_u32_e32 v14, -3, v12
	global_load_dwordx4 v[32:35], v[16:17], off
	v_lshl_add_u64 v[16:17], v[14:15], 3, s[8:9]
	v_add_u32_e32 v14, -2, v12
	v_lshl_add_u64 v[38:39], v[14:15], 3, s[8:9]
	v_add_u32_e32 v14, -7, v12
	global_load_dwordx2 v[16:17], v[16:17], off
	v_lshl_add_u64 v[46:47], v[14:15], 3, s[8:9]
	v_add_u32_e32 v14, 4, v36
	v_lshl_add_u64 v[36:37], v[14:15], 3, s[10:11]
	v_add_u32_e32 v14, -1, v12
	global_load_dwordx2 v[48:49], v[38:39], off
	global_load_dwordx2 v[50:51], v[46:47], off
	v_lshl_add_u64 v[46:47], v[14:15], 3, s[8:9]
	global_load_dwordx4 v[36:39], v[36:37], off
	v_add_u32_e32 v14, -6, v12
	v_lshl_add_u64 v[52:53], v[14:15], 3, s[8:9]
	global_load_dwordx2 v[54:55], v[46:47], off
	global_load_dwordx2 v[56:57], v[52:53], off
	;; [unrolled: 1-line block ×3, first 2 shown]
	v_add_u32_e32 v12, 48, v12
	s_waitcnt vmcnt(8)
	v_fmac_f64_e32 v[0:1], v[24:25], v[28:29]
	v_fmac_f64_e32 v[10:11], v[42:43], v[28:29]
	;; [unrolled: 1-line block ×4, first 2 shown]
	s_waitcnt vmcnt(7)
	v_fmac_f64_e32 v[0:1], v[20:21], v[32:33]
	v_fmac_f64_e32 v[0:1], v[22:23], v[34:35]
	s_waitcnt vmcnt(6)
	v_fmac_f64_e32 v[10:11], v[16:17], v[32:33]
	s_waitcnt vmcnt(5)
	;; [unrolled: 2-line block ×6, first 2 shown]
	v_fmac_f64_e32 v[10:11], v[58:59], v[38:39]
	s_andn2_b64 exec, exec, s[2:3]
	s_cbranch_execnz .LBB96_15
; %bb.16:
	s_or_b64 exec, exec, s[2:3]
.LBB96_17:
	s_or_b64 exec, exec, s[4:5]
.LBB96_18:
	v_mov_b32_dpp v8, v0 row_shr:1 row_mask:0xf bank_mask:0xf
	v_mov_b32_dpp v9, v1 row_shr:1 row_mask:0xf bank_mask:0xf
	;; [unrolled: 1-line block ×4, first 2 shown]
	v_add_f64 v[0:1], v[0:1], v[8:9]
	v_add_f64 v[10:11], v[10:11], v[12:13]
	v_cmp_eq_u32_e32 vcc, 3, v7
	v_mov_b32_dpp v8, v0 row_shr:2 row_mask:0xf bank_mask:0xf
	v_mov_b32_dpp v9, v1 row_shr:2 row_mask:0xf bank_mask:0xf
	;; [unrolled: 1-line block ×4, first 2 shown]
	s_and_b64 exec, exec, vcc
	s_cbranch_execz .LBB96_23
; %bb.19:
	s_load_dwordx2 s[0:1], s[0:1], 0x38
	v_add_f64 v[8:9], v[0:1], v[8:9]
	v_add_f64 v[0:1], v[10:11], v[12:13]
	v_cmp_eq_f64_e32 vcc, 0, v[4:5]
	s_and_saveexec_b64 s[2:3], vcc
	s_xor_b64 s[2:3], exec, s[2:3]
	s_cbranch_execz .LBB96_21
; %bb.20:
	v_lshlrev_b32_e32 v6, 1, v6
	v_ashrrev_i32_e32 v7, 31, v6
	v_mul_f64 v[4:5], v[2:3], v[8:9]
	s_waitcnt lgkmcnt(0)
	v_lshl_add_u64 v[8:9], v[6:7], 3, s[0:1]
	v_mul_f64 v[6:7], v[2:3], v[0:1]
	global_store_dwordx4 v[8:9], v[4:7], off
                                        ; implicit-def: $vgpr6
                                        ; implicit-def: $vgpr2_vgpr3
                                        ; implicit-def: $vgpr8_vgpr9
                                        ; implicit-def: $vgpr4_vgpr5
                                        ; implicit-def: $vgpr0_vgpr1
.LBB96_21:
	s_andn2_saveexec_b64 s[2:3], s[2:3]
	s_cbranch_execz .LBB96_23
; %bb.22:
	v_lshlrev_b32_e32 v6, 1, v6
	v_ashrrev_i32_e32 v7, 31, v6
	s_waitcnt lgkmcnt(0)
	v_lshl_add_u64 v[14:15], v[6:7], 3, s[0:1]
	global_load_dwordx4 v[10:13], v[14:15], off
	v_mul_f64 v[6:7], v[2:3], v[8:9]
	v_mul_f64 v[8:9], v[2:3], v[0:1]
	s_waitcnt vmcnt(0)
	v_fmac_f64_e32 v[6:7], v[4:5], v[10:11]
	v_fmac_f64_e32 v[8:9], v[4:5], v[12:13]
	global_store_dwordx4 v[14:15], v[6:9], off
.LBB96_23:
	s_endpgm
	.section	.rodata,"a",@progbits
	.p2align	6, 0x0
	.amdhsa_kernel _ZN9rocsparseL19gebsrmvn_2xn_kernelILj128ELj6ELj4EdEEvi20rocsparse_direction_NS_24const_host_device_scalarIT2_EEPKiS6_PKS3_S8_S4_PS3_21rocsparse_index_base_b
		.amdhsa_group_segment_fixed_size 0
		.amdhsa_private_segment_fixed_size 0
		.amdhsa_kernarg_size 72
		.amdhsa_user_sgpr_count 2
		.amdhsa_user_sgpr_dispatch_ptr 0
		.amdhsa_user_sgpr_queue_ptr 0
		.amdhsa_user_sgpr_kernarg_segment_ptr 1
		.amdhsa_user_sgpr_dispatch_id 0
		.amdhsa_user_sgpr_kernarg_preload_length 0
		.amdhsa_user_sgpr_kernarg_preload_offset 0
		.amdhsa_user_sgpr_private_segment_size 0
		.amdhsa_uses_dynamic_stack 0
		.amdhsa_enable_private_segment 0
		.amdhsa_system_sgpr_workgroup_id_x 1
		.amdhsa_system_sgpr_workgroup_id_y 0
		.amdhsa_system_sgpr_workgroup_id_z 0
		.amdhsa_system_sgpr_workgroup_info 0
		.amdhsa_system_vgpr_workitem_id 0
		.amdhsa_next_free_vgpr 60
		.amdhsa_next_free_sgpr 18
		.amdhsa_accum_offset 60
		.amdhsa_reserve_vcc 1
		.amdhsa_float_round_mode_32 0
		.amdhsa_float_round_mode_16_64 0
		.amdhsa_float_denorm_mode_32 3
		.amdhsa_float_denorm_mode_16_64 3
		.amdhsa_dx10_clamp 1
		.amdhsa_ieee_mode 1
		.amdhsa_fp16_overflow 0
		.amdhsa_tg_split 0
		.amdhsa_exception_fp_ieee_invalid_op 0
		.amdhsa_exception_fp_denorm_src 0
		.amdhsa_exception_fp_ieee_div_zero 0
		.amdhsa_exception_fp_ieee_overflow 0
		.amdhsa_exception_fp_ieee_underflow 0
		.amdhsa_exception_fp_ieee_inexact 0
		.amdhsa_exception_int_div_zero 0
	.end_amdhsa_kernel
	.section	.text._ZN9rocsparseL19gebsrmvn_2xn_kernelILj128ELj6ELj4EdEEvi20rocsparse_direction_NS_24const_host_device_scalarIT2_EEPKiS6_PKS3_S8_S4_PS3_21rocsparse_index_base_b,"axG",@progbits,_ZN9rocsparseL19gebsrmvn_2xn_kernelILj128ELj6ELj4EdEEvi20rocsparse_direction_NS_24const_host_device_scalarIT2_EEPKiS6_PKS3_S8_S4_PS3_21rocsparse_index_base_b,comdat
.Lfunc_end96:
	.size	_ZN9rocsparseL19gebsrmvn_2xn_kernelILj128ELj6ELj4EdEEvi20rocsparse_direction_NS_24const_host_device_scalarIT2_EEPKiS6_PKS3_S8_S4_PS3_21rocsparse_index_base_b, .Lfunc_end96-_ZN9rocsparseL19gebsrmvn_2xn_kernelILj128ELj6ELj4EdEEvi20rocsparse_direction_NS_24const_host_device_scalarIT2_EEPKiS6_PKS3_S8_S4_PS3_21rocsparse_index_base_b
                                        ; -- End function
	.section	.AMDGPU.csdata,"",@progbits
; Kernel info:
; codeLenInByte = 1276
; NumSgprs: 24
; NumVgprs: 60
; NumAgprs: 0
; TotalNumVgprs: 60
; ScratchSize: 0
; MemoryBound: 0
; FloatMode: 240
; IeeeMode: 1
; LDSByteSize: 0 bytes/workgroup (compile time only)
; SGPRBlocks: 2
; VGPRBlocks: 7
; NumSGPRsForWavesPerEU: 24
; NumVGPRsForWavesPerEU: 60
; AccumOffset: 60
; Occupancy: 8
; WaveLimiterHint : 1
; COMPUTE_PGM_RSRC2:SCRATCH_EN: 0
; COMPUTE_PGM_RSRC2:USER_SGPR: 2
; COMPUTE_PGM_RSRC2:TRAP_HANDLER: 0
; COMPUTE_PGM_RSRC2:TGID_X_EN: 1
; COMPUTE_PGM_RSRC2:TGID_Y_EN: 0
; COMPUTE_PGM_RSRC2:TGID_Z_EN: 0
; COMPUTE_PGM_RSRC2:TIDIG_COMP_CNT: 0
; COMPUTE_PGM_RSRC3_GFX90A:ACCUM_OFFSET: 14
; COMPUTE_PGM_RSRC3_GFX90A:TG_SPLIT: 0
	.section	.text._ZN9rocsparseL19gebsrmvn_2xn_kernelILj128ELj6ELj8EdEEvi20rocsparse_direction_NS_24const_host_device_scalarIT2_EEPKiS6_PKS3_S8_S4_PS3_21rocsparse_index_base_b,"axG",@progbits,_ZN9rocsparseL19gebsrmvn_2xn_kernelILj128ELj6ELj8EdEEvi20rocsparse_direction_NS_24const_host_device_scalarIT2_EEPKiS6_PKS3_S8_S4_PS3_21rocsparse_index_base_b,comdat
	.globl	_ZN9rocsparseL19gebsrmvn_2xn_kernelILj128ELj6ELj8EdEEvi20rocsparse_direction_NS_24const_host_device_scalarIT2_EEPKiS6_PKS3_S8_S4_PS3_21rocsparse_index_base_b ; -- Begin function _ZN9rocsparseL19gebsrmvn_2xn_kernelILj128ELj6ELj8EdEEvi20rocsparse_direction_NS_24const_host_device_scalarIT2_EEPKiS6_PKS3_S8_S4_PS3_21rocsparse_index_base_b
	.p2align	8
	.type	_ZN9rocsparseL19gebsrmvn_2xn_kernelILj128ELj6ELj8EdEEvi20rocsparse_direction_NS_24const_host_device_scalarIT2_EEPKiS6_PKS3_S8_S4_PS3_21rocsparse_index_base_b,@function
_ZN9rocsparseL19gebsrmvn_2xn_kernelILj128ELj6ELj8EdEEvi20rocsparse_direction_NS_24const_host_device_scalarIT2_EEPKiS6_PKS3_S8_S4_PS3_21rocsparse_index_base_b: ; @_ZN9rocsparseL19gebsrmvn_2xn_kernelILj128ELj6ELj8EdEEvi20rocsparse_direction_NS_24const_host_device_scalarIT2_EEPKiS6_PKS3_S8_S4_PS3_21rocsparse_index_base_b
; %bb.0:
	s_load_dwordx2 s[12:13], s[0:1], 0x40
	s_load_dwordx2 s[8:9], s[0:1], 0x8
	;; [unrolled: 1-line block ×3, first 2 shown]
	s_waitcnt lgkmcnt(0)
	s_bitcmp1_b32 s13, 0
	s_cselect_b64 s[10:11], -1, 0
	s_xor_b64 s[6:7], s[10:11], -1
	s_and_b64 vcc, exec, s[10:11]
	v_mov_b64_e32 v[2:3], s[8:9]
	s_cbranch_vccnz .LBB97_2
; %bb.1:
	v_mov_b64_e32 v[2:3], s[8:9]
	flat_load_dwordx2 v[2:3], v[2:3]
.LBB97_2:
	s_andn2_b64 vcc, exec, s[6:7]
	v_mov_b64_e32 v[4:5], s[4:5]
	s_cbranch_vccnz .LBB97_4
; %bb.3:
	v_mov_b64_e32 v[4:5], s[4:5]
	flat_load_dwordx2 v[4:5], v[4:5]
.LBB97_4:
	s_waitcnt vmcnt(0) lgkmcnt(0)
	v_cmp_neq_f64_e32 vcc, 0, v[2:3]
	v_cmp_neq_f64_e64 s[4:5], 1.0, v[4:5]
	s_or_b64 s[4:5], vcc, s[4:5]
	s_and_saveexec_b64 s[6:7], s[4:5]
	s_cbranch_execz .LBB97_23
; %bb.5:
	s_load_dwordx2 s[14:15], s[0:1], 0x0
	v_lshrrev_b32_e32 v1, 3, v0
	v_lshl_or_b32 v6, s2, 4, v1
	s_waitcnt lgkmcnt(0)
	v_cmp_gt_i32_e32 vcc, s14, v6
	s_and_b64 exec, exec, vcc
	s_cbranch_execz .LBB97_23
; %bb.6:
	s_load_dwordx8 s[4:11], s[0:1], 0x10
	v_ashrrev_i32_e32 v7, 31, v6
	s_cmp_lg_u32 s15, 0
	s_waitcnt lgkmcnt(0)
	v_lshl_add_u64 v[8:9], v[6:7], 2, s[4:5]
	global_load_dwordx2 v[8:9], v[8:9], off
	v_and_b32_e32 v7, 7, v0
	s_waitcnt vmcnt(0)
	v_subrev_u32_e32 v0, s12, v8
	v_subrev_u32_e32 v18, s12, v9
	v_add_u32_e32 v8, v0, v7
	v_cmp_lt_i32_e64 s[2:3], v8, v18
	s_cbranch_scc0 .LBB97_12
; %bb.7:
	v_mov_b64_e32 v[0:1], 0
	s_mov_b64 s[4:5], 0
	v_mov_b64_e32 v[10:11], v[0:1]
	s_and_saveexec_b64 s[14:15], s[2:3]
	s_cbranch_execz .LBB97_11
; %bb.8:
	v_mad_u64_u32 v[12:13], s[16:17], v8, 12, 10
	v_mov_b64_e32 v[0:1], 0
	s_mov_b64 s[16:17], 0
	v_mov_b32_e32 v15, 0
	v_mov_b32_e32 v16, v8
	v_mov_b64_e32 v[10:11], v[0:1]
.LBB97_9:                               ; =>This Inner Loop Header: Depth=1
	v_ashrrev_i32_e32 v17, 31, v16
	v_lshl_add_u64 v[20:21], v[16:17], 2, s[6:7]
	global_load_dword v9, v[20:21], off
	v_add_u32_e32 v14, -10, v12
	v_mov_b32_e32 v41, v15
	v_lshl_add_u64 v[28:29], v[14:15], 3, s[8:9]
	v_add_u32_e32 v14, -6, v12
	global_load_dwordx4 v[20:23], v[28:29], off offset:16
	global_load_dwordx4 v[24:27], v[28:29], off
	v_lshl_add_u64 v[28:29], v[14:15], 3, s[8:9]
	global_load_dwordx4 v[28:31], v[28:29], off
	v_mov_b32_e32 v13, v15
	v_lshl_add_u64 v[56:57], v[12:13], 3, s[8:9]
	v_add_u32_e32 v16, 8, v16
	v_cmp_ge_i32_e32 vcc, v16, v18
	s_or_b64 s[16:17], vcc, s[16:17]
	s_waitcnt vmcnt(3)
	v_subrev_u32_e32 v9, s12, v9
	v_mul_lo_u32 v40, v9, 6
	v_lshl_add_u64 v[32:33], v[40:41], 3, s[10:11]
	v_add_u32_e32 v14, 2, v40
	global_load_dwordx4 v[32:35], v[32:33], off
	v_lshl_add_u64 v[36:37], v[14:15], 3, s[10:11]
	global_load_dwordx4 v[36:39], v[36:37], off
	v_add_u32_e32 v14, -4, v12
	v_lshl_add_u64 v[48:49], v[14:15], 3, s[8:9]
	v_add_u32_e32 v14, -2, v12
	v_lshl_add_u64 v[50:51], v[14:15], 3, s[8:9]
	v_add_u32_e32 v14, 4, v40
	global_load_dwordx4 v[40:43], v[48:49], off
	global_load_dwordx4 v[44:47], v[50:51], off
	v_lshl_add_u64 v[58:59], v[14:15], 3, s[10:11]
	global_load_dwordx4 v[48:51], v[58:59], off
	global_load_dwordx4 v[52:55], v[56:57], off
	v_add_u32_e32 v12, 0x60, v12
	s_waitcnt vmcnt(5)
	v_fmac_f64_e32 v[0:1], v[24:25], v[32:33]
	v_fmac_f64_e32 v[10:11], v[26:27], v[32:33]
	;; [unrolled: 1-line block ×4, first 2 shown]
	s_waitcnt vmcnt(4)
	v_fmac_f64_e32 v[0:1], v[28:29], v[36:37]
	v_fmac_f64_e32 v[10:11], v[30:31], v[36:37]
	s_waitcnt vmcnt(3)
	v_fmac_f64_e32 v[0:1], v[40:41], v[38:39]
	v_fmac_f64_e32 v[10:11], v[42:43], v[38:39]
	;; [unrolled: 3-line block ×4, first 2 shown]
	s_andn2_b64 exec, exec, s[16:17]
	s_cbranch_execnz .LBB97_9
; %bb.10:
	s_or_b64 exec, exec, s[16:17]
.LBB97_11:
	s_or_b64 exec, exec, s[14:15]
	s_andn2_b64 vcc, exec, s[4:5]
	s_cbranch_vccz .LBB97_13
	s_branch .LBB97_18
.LBB97_12:
                                        ; implicit-def: $vgpr0_vgpr1
                                        ; implicit-def: $vgpr10_vgpr11
.LBB97_13:
	v_mov_b64_e32 v[0:1], 0
	v_mov_b64_e32 v[10:11], v[0:1]
	s_and_saveexec_b64 s[4:5], s[2:3]
	s_cbranch_execz .LBB97_17
; %bb.14:
	v_mad_u64_u32 v[12:13], s[2:3], v8, 12, 11
	v_mov_b64_e32 v[0:1], 0
	s_mov_b64 s[2:3], 0
	v_mov_b32_e32 v15, 0
	v_mov_b64_e32 v[10:11], v[0:1]
.LBB97_15:                              ; =>This Inner Loop Header: Depth=1
	v_ashrrev_i32_e32 v9, 31, v8
	v_lshl_add_u64 v[16:17], v[8:9], 2, s[6:7]
	global_load_dword v9, v[16:17], off
	v_add_u32_e32 v14, -11, v12
	v_add_u32_e32 v16, -5, v12
	v_mov_b32_e32 v17, v15
	v_mov_b32_e32 v37, v15
	v_lshl_add_u64 v[28:29], v[14:15], 3, s[8:9]
	v_lshl_add_u64 v[16:17], v[16:17], 3, s[8:9]
	v_add_u32_e32 v14, -4, v12
	global_load_dwordx4 v[20:23], v[28:29], off offset:16
	global_load_dwordx4 v[24:27], v[28:29], off
	v_lshl_add_u64 v[28:29], v[14:15], 3, s[8:9]
	global_load_dwordx2 v[42:43], v[16:17], off
	global_load_dwordx2 v[44:45], v[28:29], off
	v_mov_b32_e32 v13, v15
	v_lshl_add_u64 v[40:41], v[12:13], 3, s[8:9]
	v_add_u32_e32 v8, 8, v8
	v_cmp_ge_i32_e32 vcc, v8, v18
	s_or_b64 s[2:3], vcc, s[2:3]
	s_waitcnt vmcnt(4)
	v_subrev_u32_e32 v9, s12, v9
	v_mul_lo_u32 v36, v9, 6
	v_lshl_add_u64 v[16:17], v[36:37], 3, s[10:11]
	v_add_u32_e32 v14, 2, v36
	global_load_dwordx4 v[28:31], v[16:17], off
	v_lshl_add_u64 v[16:17], v[14:15], 3, s[10:11]
	v_add_u32_e32 v14, -3, v12
	global_load_dwordx4 v[32:35], v[16:17], off
	v_lshl_add_u64 v[16:17], v[14:15], 3, s[8:9]
	v_add_u32_e32 v14, -2, v12
	v_lshl_add_u64 v[38:39], v[14:15], 3, s[8:9]
	v_add_u32_e32 v14, -7, v12
	global_load_dwordx2 v[16:17], v[16:17], off
	v_lshl_add_u64 v[46:47], v[14:15], 3, s[8:9]
	v_add_u32_e32 v14, 4, v36
	v_lshl_add_u64 v[36:37], v[14:15], 3, s[10:11]
	v_add_u32_e32 v14, -1, v12
	global_load_dwordx2 v[48:49], v[38:39], off
	global_load_dwordx2 v[50:51], v[46:47], off
	v_lshl_add_u64 v[46:47], v[14:15], 3, s[8:9]
	global_load_dwordx4 v[36:39], v[36:37], off
	v_add_u32_e32 v14, -6, v12
	v_lshl_add_u64 v[52:53], v[14:15], 3, s[8:9]
	global_load_dwordx2 v[54:55], v[46:47], off
	global_load_dwordx2 v[56:57], v[52:53], off
	;; [unrolled: 1-line block ×3, first 2 shown]
	v_add_u32_e32 v12, 0x60, v12
	s_waitcnt vmcnt(8)
	v_fmac_f64_e32 v[0:1], v[24:25], v[28:29]
	v_fmac_f64_e32 v[10:11], v[42:43], v[28:29]
	;; [unrolled: 1-line block ×4, first 2 shown]
	s_waitcnt vmcnt(7)
	v_fmac_f64_e32 v[0:1], v[20:21], v[32:33]
	v_fmac_f64_e32 v[0:1], v[22:23], v[34:35]
	s_waitcnt vmcnt(6)
	v_fmac_f64_e32 v[10:11], v[16:17], v[32:33]
	s_waitcnt vmcnt(5)
	;; [unrolled: 2-line block ×6, first 2 shown]
	v_fmac_f64_e32 v[10:11], v[58:59], v[38:39]
	s_andn2_b64 exec, exec, s[2:3]
	s_cbranch_execnz .LBB97_15
; %bb.16:
	s_or_b64 exec, exec, s[2:3]
.LBB97_17:
	s_or_b64 exec, exec, s[4:5]
.LBB97_18:
	v_mov_b32_dpp v8, v0 row_shr:1 row_mask:0xf bank_mask:0xf
	v_mov_b32_dpp v9, v1 row_shr:1 row_mask:0xf bank_mask:0xf
	;; [unrolled: 1-line block ×4, first 2 shown]
	v_add_f64 v[0:1], v[0:1], v[8:9]
	v_add_f64 v[10:11], v[10:11], v[12:13]
	v_cmp_eq_u32_e32 vcc, 7, v7
	v_mov_b32_dpp v8, v0 row_shr:2 row_mask:0xf bank_mask:0xf
	v_mov_b32_dpp v9, v1 row_shr:2 row_mask:0xf bank_mask:0xf
	;; [unrolled: 1-line block ×4, first 2 shown]
	v_add_f64 v[0:1], v[0:1], v[8:9]
	v_add_f64 v[10:11], v[10:11], v[12:13]
	s_nop 0
	v_mov_b32_dpp v8, v0 row_shr:4 row_mask:0xf bank_mask:0xe
	v_mov_b32_dpp v9, v1 row_shr:4 row_mask:0xf bank_mask:0xe
	v_mov_b32_dpp v12, v10 row_shr:4 row_mask:0xf bank_mask:0xe
	v_mov_b32_dpp v13, v11 row_shr:4 row_mask:0xf bank_mask:0xe
	s_and_b64 exec, exec, vcc
	s_cbranch_execz .LBB97_23
; %bb.19:
	s_load_dwordx2 s[0:1], s[0:1], 0x38
	v_add_f64 v[8:9], v[0:1], v[8:9]
	v_add_f64 v[0:1], v[10:11], v[12:13]
	v_cmp_eq_f64_e32 vcc, 0, v[4:5]
	s_and_saveexec_b64 s[2:3], vcc
	s_xor_b64 s[2:3], exec, s[2:3]
	s_cbranch_execz .LBB97_21
; %bb.20:
	v_lshlrev_b32_e32 v6, 1, v6
	v_ashrrev_i32_e32 v7, 31, v6
	v_mul_f64 v[4:5], v[2:3], v[8:9]
	s_waitcnt lgkmcnt(0)
	v_lshl_add_u64 v[8:9], v[6:7], 3, s[0:1]
	v_mul_f64 v[6:7], v[2:3], v[0:1]
	global_store_dwordx4 v[8:9], v[4:7], off
                                        ; implicit-def: $vgpr6
                                        ; implicit-def: $vgpr2_vgpr3
                                        ; implicit-def: $vgpr8_vgpr9
                                        ; implicit-def: $vgpr4_vgpr5
                                        ; implicit-def: $vgpr0_vgpr1
.LBB97_21:
	s_andn2_saveexec_b64 s[2:3], s[2:3]
	s_cbranch_execz .LBB97_23
; %bb.22:
	v_lshlrev_b32_e32 v6, 1, v6
	v_ashrrev_i32_e32 v7, 31, v6
	s_waitcnt lgkmcnt(0)
	v_lshl_add_u64 v[14:15], v[6:7], 3, s[0:1]
	global_load_dwordx4 v[10:13], v[14:15], off
	v_mul_f64 v[6:7], v[2:3], v[8:9]
	v_mul_f64 v[8:9], v[2:3], v[0:1]
	s_waitcnt vmcnt(0)
	v_fmac_f64_e32 v[6:7], v[4:5], v[10:11]
	v_fmac_f64_e32 v[8:9], v[4:5], v[12:13]
	global_store_dwordx4 v[14:15], v[6:9], off
.LBB97_23:
	s_endpgm
	.section	.rodata,"a",@progbits
	.p2align	6, 0x0
	.amdhsa_kernel _ZN9rocsparseL19gebsrmvn_2xn_kernelILj128ELj6ELj8EdEEvi20rocsparse_direction_NS_24const_host_device_scalarIT2_EEPKiS6_PKS3_S8_S4_PS3_21rocsparse_index_base_b
		.amdhsa_group_segment_fixed_size 0
		.amdhsa_private_segment_fixed_size 0
		.amdhsa_kernarg_size 72
		.amdhsa_user_sgpr_count 2
		.amdhsa_user_sgpr_dispatch_ptr 0
		.amdhsa_user_sgpr_queue_ptr 0
		.amdhsa_user_sgpr_kernarg_segment_ptr 1
		.amdhsa_user_sgpr_dispatch_id 0
		.amdhsa_user_sgpr_kernarg_preload_length 0
		.amdhsa_user_sgpr_kernarg_preload_offset 0
		.amdhsa_user_sgpr_private_segment_size 0
		.amdhsa_uses_dynamic_stack 0
		.amdhsa_enable_private_segment 0
		.amdhsa_system_sgpr_workgroup_id_x 1
		.amdhsa_system_sgpr_workgroup_id_y 0
		.amdhsa_system_sgpr_workgroup_id_z 0
		.amdhsa_system_sgpr_workgroup_info 0
		.amdhsa_system_vgpr_workitem_id 0
		.amdhsa_next_free_vgpr 60
		.amdhsa_next_free_sgpr 18
		.amdhsa_accum_offset 60
		.amdhsa_reserve_vcc 1
		.amdhsa_float_round_mode_32 0
		.amdhsa_float_round_mode_16_64 0
		.amdhsa_float_denorm_mode_32 3
		.amdhsa_float_denorm_mode_16_64 3
		.amdhsa_dx10_clamp 1
		.amdhsa_ieee_mode 1
		.amdhsa_fp16_overflow 0
		.amdhsa_tg_split 0
		.amdhsa_exception_fp_ieee_invalid_op 0
		.amdhsa_exception_fp_denorm_src 0
		.amdhsa_exception_fp_ieee_div_zero 0
		.amdhsa_exception_fp_ieee_overflow 0
		.amdhsa_exception_fp_ieee_underflow 0
		.amdhsa_exception_fp_ieee_inexact 0
		.amdhsa_exception_int_div_zero 0
	.end_amdhsa_kernel
	.section	.text._ZN9rocsparseL19gebsrmvn_2xn_kernelILj128ELj6ELj8EdEEvi20rocsparse_direction_NS_24const_host_device_scalarIT2_EEPKiS6_PKS3_S8_S4_PS3_21rocsparse_index_base_b,"axG",@progbits,_ZN9rocsparseL19gebsrmvn_2xn_kernelILj128ELj6ELj8EdEEvi20rocsparse_direction_NS_24const_host_device_scalarIT2_EEPKiS6_PKS3_S8_S4_PS3_21rocsparse_index_base_b,comdat
.Lfunc_end97:
	.size	_ZN9rocsparseL19gebsrmvn_2xn_kernelILj128ELj6ELj8EdEEvi20rocsparse_direction_NS_24const_host_device_scalarIT2_EEPKiS6_PKS3_S8_S4_PS3_21rocsparse_index_base_b, .Lfunc_end97-_ZN9rocsparseL19gebsrmvn_2xn_kernelILj128ELj6ELj8EdEEvi20rocsparse_direction_NS_24const_host_device_scalarIT2_EEPKiS6_PKS3_S8_S4_PS3_21rocsparse_index_base_b
                                        ; -- End function
	.section	.AMDGPU.csdata,"",@progbits
; Kernel info:
; codeLenInByte = 1336
; NumSgprs: 24
; NumVgprs: 60
; NumAgprs: 0
; TotalNumVgprs: 60
; ScratchSize: 0
; MemoryBound: 0
; FloatMode: 240
; IeeeMode: 1
; LDSByteSize: 0 bytes/workgroup (compile time only)
; SGPRBlocks: 2
; VGPRBlocks: 7
; NumSGPRsForWavesPerEU: 24
; NumVGPRsForWavesPerEU: 60
; AccumOffset: 60
; Occupancy: 8
; WaveLimiterHint : 1
; COMPUTE_PGM_RSRC2:SCRATCH_EN: 0
; COMPUTE_PGM_RSRC2:USER_SGPR: 2
; COMPUTE_PGM_RSRC2:TRAP_HANDLER: 0
; COMPUTE_PGM_RSRC2:TGID_X_EN: 1
; COMPUTE_PGM_RSRC2:TGID_Y_EN: 0
; COMPUTE_PGM_RSRC2:TGID_Z_EN: 0
; COMPUTE_PGM_RSRC2:TIDIG_COMP_CNT: 0
; COMPUTE_PGM_RSRC3_GFX90A:ACCUM_OFFSET: 14
; COMPUTE_PGM_RSRC3_GFX90A:TG_SPLIT: 0
	.section	.text._ZN9rocsparseL19gebsrmvn_2xn_kernelILj128ELj6ELj16EdEEvi20rocsparse_direction_NS_24const_host_device_scalarIT2_EEPKiS6_PKS3_S8_S4_PS3_21rocsparse_index_base_b,"axG",@progbits,_ZN9rocsparseL19gebsrmvn_2xn_kernelILj128ELj6ELj16EdEEvi20rocsparse_direction_NS_24const_host_device_scalarIT2_EEPKiS6_PKS3_S8_S4_PS3_21rocsparse_index_base_b,comdat
	.globl	_ZN9rocsparseL19gebsrmvn_2xn_kernelILj128ELj6ELj16EdEEvi20rocsparse_direction_NS_24const_host_device_scalarIT2_EEPKiS6_PKS3_S8_S4_PS3_21rocsparse_index_base_b ; -- Begin function _ZN9rocsparseL19gebsrmvn_2xn_kernelILj128ELj6ELj16EdEEvi20rocsparse_direction_NS_24const_host_device_scalarIT2_EEPKiS6_PKS3_S8_S4_PS3_21rocsparse_index_base_b
	.p2align	8
	.type	_ZN9rocsparseL19gebsrmvn_2xn_kernelILj128ELj6ELj16EdEEvi20rocsparse_direction_NS_24const_host_device_scalarIT2_EEPKiS6_PKS3_S8_S4_PS3_21rocsparse_index_base_b,@function
_ZN9rocsparseL19gebsrmvn_2xn_kernelILj128ELj6ELj16EdEEvi20rocsparse_direction_NS_24const_host_device_scalarIT2_EEPKiS6_PKS3_S8_S4_PS3_21rocsparse_index_base_b: ; @_ZN9rocsparseL19gebsrmvn_2xn_kernelILj128ELj6ELj16EdEEvi20rocsparse_direction_NS_24const_host_device_scalarIT2_EEPKiS6_PKS3_S8_S4_PS3_21rocsparse_index_base_b
; %bb.0:
	s_load_dwordx2 s[12:13], s[0:1], 0x40
	s_load_dwordx2 s[8:9], s[0:1], 0x8
	;; [unrolled: 1-line block ×3, first 2 shown]
	s_waitcnt lgkmcnt(0)
	s_bitcmp1_b32 s13, 0
	s_cselect_b64 s[10:11], -1, 0
	s_xor_b64 s[6:7], s[10:11], -1
	s_and_b64 vcc, exec, s[10:11]
	v_mov_b64_e32 v[2:3], s[8:9]
	s_cbranch_vccnz .LBB98_2
; %bb.1:
	v_mov_b64_e32 v[2:3], s[8:9]
	flat_load_dwordx2 v[2:3], v[2:3]
.LBB98_2:
	s_andn2_b64 vcc, exec, s[6:7]
	v_mov_b64_e32 v[4:5], s[4:5]
	s_cbranch_vccnz .LBB98_4
; %bb.3:
	v_mov_b64_e32 v[4:5], s[4:5]
	flat_load_dwordx2 v[4:5], v[4:5]
.LBB98_4:
	s_waitcnt vmcnt(0) lgkmcnt(0)
	v_cmp_neq_f64_e32 vcc, 0, v[2:3]
	v_cmp_neq_f64_e64 s[4:5], 1.0, v[4:5]
	s_or_b64 s[4:5], vcc, s[4:5]
	s_and_saveexec_b64 s[6:7], s[4:5]
	s_cbranch_execz .LBB98_23
; %bb.5:
	s_load_dwordx2 s[14:15], s[0:1], 0x0
	v_lshrrev_b32_e32 v1, 4, v0
	v_lshl_or_b32 v6, s2, 3, v1
	s_waitcnt lgkmcnt(0)
	v_cmp_gt_i32_e32 vcc, s14, v6
	s_and_b64 exec, exec, vcc
	s_cbranch_execz .LBB98_23
; %bb.6:
	s_load_dwordx8 s[4:11], s[0:1], 0x10
	v_ashrrev_i32_e32 v7, 31, v6
	s_cmp_lg_u32 s15, 0
	s_waitcnt lgkmcnt(0)
	v_lshl_add_u64 v[8:9], v[6:7], 2, s[4:5]
	global_load_dwordx2 v[8:9], v[8:9], off
	v_and_b32_e32 v7, 15, v0
	s_waitcnt vmcnt(0)
	v_subrev_u32_e32 v0, s12, v8
	v_subrev_u32_e32 v18, s12, v9
	v_add_u32_e32 v10, v0, v7
	v_cmp_lt_i32_e64 s[2:3], v10, v18
	s_cbranch_scc0 .LBB98_12
; %bb.7:
	v_mov_b64_e32 v[0:1], 0
	s_mov_b64 s[4:5], 0
	v_mov_b64_e32 v[8:9], v[0:1]
	s_and_saveexec_b64 s[14:15], s[2:3]
	s_cbranch_execz .LBB98_11
; %bb.8:
	v_mad_u64_u32 v[12:13], s[16:17], v10, 12, 10
	v_mov_b64_e32 v[0:1], 0
	s_mov_b64 s[16:17], 0
	v_mov_b32_e32 v15, 0
	v_mov_b32_e32 v16, v10
	v_mov_b64_e32 v[8:9], v[0:1]
.LBB98_9:                               ; =>This Inner Loop Header: Depth=1
	v_ashrrev_i32_e32 v17, 31, v16
	v_lshl_add_u64 v[20:21], v[16:17], 2, s[6:7]
	global_load_dword v11, v[20:21], off
	v_add_u32_e32 v14, -10, v12
	v_mov_b32_e32 v41, v15
	v_lshl_add_u64 v[28:29], v[14:15], 3, s[8:9]
	v_add_u32_e32 v14, -6, v12
	global_load_dwordx4 v[20:23], v[28:29], off offset:16
	global_load_dwordx4 v[24:27], v[28:29], off
	v_lshl_add_u64 v[28:29], v[14:15], 3, s[8:9]
	global_load_dwordx4 v[28:31], v[28:29], off
	v_mov_b32_e32 v13, v15
	v_lshl_add_u64 v[56:57], v[12:13], 3, s[8:9]
	v_add_u32_e32 v16, 16, v16
	v_cmp_ge_i32_e32 vcc, v16, v18
	s_or_b64 s[16:17], vcc, s[16:17]
	s_waitcnt vmcnt(3)
	v_subrev_u32_e32 v11, s12, v11
	v_mul_lo_u32 v40, v11, 6
	v_lshl_add_u64 v[32:33], v[40:41], 3, s[10:11]
	v_add_u32_e32 v14, 2, v40
	global_load_dwordx4 v[32:35], v[32:33], off
	v_lshl_add_u64 v[36:37], v[14:15], 3, s[10:11]
	global_load_dwordx4 v[36:39], v[36:37], off
	v_add_u32_e32 v14, -4, v12
	v_lshl_add_u64 v[48:49], v[14:15], 3, s[8:9]
	v_add_u32_e32 v14, -2, v12
	v_lshl_add_u64 v[50:51], v[14:15], 3, s[8:9]
	v_add_u32_e32 v14, 4, v40
	global_load_dwordx4 v[40:43], v[48:49], off
	global_load_dwordx4 v[44:47], v[50:51], off
	v_lshl_add_u64 v[58:59], v[14:15], 3, s[10:11]
	global_load_dwordx4 v[48:51], v[58:59], off
	global_load_dwordx4 v[52:55], v[56:57], off
	v_add_u32_e32 v12, 0xc0, v12
	s_waitcnt vmcnt(5)
	v_fmac_f64_e32 v[0:1], v[24:25], v[32:33]
	v_fmac_f64_e32 v[8:9], v[26:27], v[32:33]
	;; [unrolled: 1-line block ×4, first 2 shown]
	s_waitcnt vmcnt(4)
	v_fmac_f64_e32 v[0:1], v[28:29], v[36:37]
	v_fmac_f64_e32 v[8:9], v[30:31], v[36:37]
	s_waitcnt vmcnt(3)
	v_fmac_f64_e32 v[0:1], v[40:41], v[38:39]
	v_fmac_f64_e32 v[8:9], v[42:43], v[38:39]
	s_waitcnt vmcnt(1)
	v_fmac_f64_e32 v[0:1], v[44:45], v[48:49]
	v_fmac_f64_e32 v[8:9], v[46:47], v[48:49]
	s_waitcnt vmcnt(0)
	v_fmac_f64_e32 v[0:1], v[52:53], v[50:51]
	v_fmac_f64_e32 v[8:9], v[54:55], v[50:51]
	s_andn2_b64 exec, exec, s[16:17]
	s_cbranch_execnz .LBB98_9
; %bb.10:
	s_or_b64 exec, exec, s[16:17]
.LBB98_11:
	s_or_b64 exec, exec, s[14:15]
	s_andn2_b64 vcc, exec, s[4:5]
	s_cbranch_vccz .LBB98_13
	s_branch .LBB98_18
.LBB98_12:
                                        ; implicit-def: $vgpr0_vgpr1
                                        ; implicit-def: $vgpr8_vgpr9
.LBB98_13:
	v_mov_b64_e32 v[0:1], 0
	v_mov_b64_e32 v[8:9], v[0:1]
	s_and_saveexec_b64 s[4:5], s[2:3]
	s_cbranch_execz .LBB98_17
; %bb.14:
	v_mad_u64_u32 v[12:13], s[2:3], v10, 12, 11
	v_mov_b64_e32 v[0:1], 0
	s_mov_b64 s[2:3], 0
	v_mov_b32_e32 v15, 0
	v_mov_b64_e32 v[8:9], v[0:1]
.LBB98_15:                              ; =>This Inner Loop Header: Depth=1
	v_ashrrev_i32_e32 v11, 31, v10
	v_lshl_add_u64 v[16:17], v[10:11], 2, s[6:7]
	global_load_dword v11, v[16:17], off
	v_add_u32_e32 v14, -11, v12
	v_add_u32_e32 v16, -5, v12
	v_mov_b32_e32 v17, v15
	v_mov_b32_e32 v37, v15
	v_lshl_add_u64 v[28:29], v[14:15], 3, s[8:9]
	v_lshl_add_u64 v[16:17], v[16:17], 3, s[8:9]
	v_add_u32_e32 v14, -4, v12
	global_load_dwordx4 v[20:23], v[28:29], off offset:16
	global_load_dwordx4 v[24:27], v[28:29], off
	v_lshl_add_u64 v[28:29], v[14:15], 3, s[8:9]
	global_load_dwordx2 v[42:43], v[16:17], off
	global_load_dwordx2 v[44:45], v[28:29], off
	v_mov_b32_e32 v13, v15
	v_lshl_add_u64 v[40:41], v[12:13], 3, s[8:9]
	v_add_u32_e32 v10, 16, v10
	v_cmp_ge_i32_e32 vcc, v10, v18
	s_or_b64 s[2:3], vcc, s[2:3]
	s_waitcnt vmcnt(4)
	v_subrev_u32_e32 v11, s12, v11
	v_mul_lo_u32 v36, v11, 6
	v_lshl_add_u64 v[16:17], v[36:37], 3, s[10:11]
	v_add_u32_e32 v14, 2, v36
	global_load_dwordx4 v[28:31], v[16:17], off
	v_lshl_add_u64 v[16:17], v[14:15], 3, s[10:11]
	v_add_u32_e32 v14, -3, v12
	global_load_dwordx4 v[32:35], v[16:17], off
	v_lshl_add_u64 v[16:17], v[14:15], 3, s[8:9]
	v_add_u32_e32 v14, -2, v12
	v_lshl_add_u64 v[38:39], v[14:15], 3, s[8:9]
	v_add_u32_e32 v14, -7, v12
	global_load_dwordx2 v[16:17], v[16:17], off
	v_lshl_add_u64 v[46:47], v[14:15], 3, s[8:9]
	v_add_u32_e32 v14, 4, v36
	v_lshl_add_u64 v[36:37], v[14:15], 3, s[10:11]
	v_add_u32_e32 v14, -1, v12
	global_load_dwordx2 v[48:49], v[38:39], off
	global_load_dwordx2 v[50:51], v[46:47], off
	v_lshl_add_u64 v[46:47], v[14:15], 3, s[8:9]
	global_load_dwordx4 v[36:39], v[36:37], off
	v_add_u32_e32 v14, -6, v12
	v_lshl_add_u64 v[52:53], v[14:15], 3, s[8:9]
	global_load_dwordx2 v[54:55], v[46:47], off
	global_load_dwordx2 v[56:57], v[52:53], off
	;; [unrolled: 1-line block ×3, first 2 shown]
	v_add_u32_e32 v12, 0xc0, v12
	s_waitcnt vmcnt(8)
	v_fmac_f64_e32 v[0:1], v[24:25], v[28:29]
	v_fmac_f64_e32 v[8:9], v[42:43], v[28:29]
	;; [unrolled: 1-line block ×4, first 2 shown]
	s_waitcnt vmcnt(7)
	v_fmac_f64_e32 v[0:1], v[20:21], v[32:33]
	v_fmac_f64_e32 v[0:1], v[22:23], v[34:35]
	s_waitcnt vmcnt(6)
	v_fmac_f64_e32 v[8:9], v[16:17], v[32:33]
	s_waitcnt vmcnt(5)
	;; [unrolled: 2-line block ×6, first 2 shown]
	v_fmac_f64_e32 v[8:9], v[58:59], v[38:39]
	s_andn2_b64 exec, exec, s[2:3]
	s_cbranch_execnz .LBB98_15
; %bb.16:
	s_or_b64 exec, exec, s[2:3]
.LBB98_17:
	s_or_b64 exec, exec, s[4:5]
.LBB98_18:
	v_mov_b32_dpp v10, v0 row_shr:1 row_mask:0xf bank_mask:0xf
	v_mov_b32_dpp v11, v1 row_shr:1 row_mask:0xf bank_mask:0xf
	;; [unrolled: 1-line block ×4, first 2 shown]
	v_add_f64 v[0:1], v[0:1], v[10:11]
	v_add_f64 v[8:9], v[8:9], v[12:13]
	v_cmp_eq_u32_e32 vcc, 15, v7
	v_mov_b32_dpp v10, v0 row_shr:2 row_mask:0xf bank_mask:0xf
	v_mov_b32_dpp v11, v1 row_shr:2 row_mask:0xf bank_mask:0xf
	;; [unrolled: 1-line block ×4, first 2 shown]
	v_add_f64 v[0:1], v[0:1], v[10:11]
	v_add_f64 v[8:9], v[8:9], v[12:13]
	s_nop 0
	v_mov_b32_dpp v10, v0 row_shr:4 row_mask:0xf bank_mask:0xe
	v_mov_b32_dpp v11, v1 row_shr:4 row_mask:0xf bank_mask:0xe
	;; [unrolled: 1-line block ×4, first 2 shown]
	v_add_f64 v[0:1], v[0:1], v[10:11]
	v_add_f64 v[12:13], v[8:9], v[12:13]
	s_nop 0
	v_mov_b32_dpp v10, v0 row_shr:8 row_mask:0xf bank_mask:0xc
	v_mov_b32_dpp v11, v1 row_shr:8 row_mask:0xf bank_mask:0xc
	;; [unrolled: 1-line block ×4, first 2 shown]
	s_and_b64 exec, exec, vcc
	s_cbranch_execz .LBB98_23
; %bb.19:
	s_load_dwordx2 s[0:1], s[0:1], 0x38
	v_add_f64 v[8:9], v[0:1], v[10:11]
	v_add_f64 v[0:1], v[12:13], v[14:15]
	v_cmp_eq_f64_e32 vcc, 0, v[4:5]
	s_and_saveexec_b64 s[2:3], vcc
	s_xor_b64 s[2:3], exec, s[2:3]
	s_cbranch_execz .LBB98_21
; %bb.20:
	v_lshlrev_b32_e32 v6, 1, v6
	v_ashrrev_i32_e32 v7, 31, v6
	v_mul_f64 v[4:5], v[2:3], v[8:9]
	s_waitcnt lgkmcnt(0)
	v_lshl_add_u64 v[8:9], v[6:7], 3, s[0:1]
	v_mul_f64 v[6:7], v[2:3], v[0:1]
	global_store_dwordx4 v[8:9], v[4:7], off
                                        ; implicit-def: $vgpr6
                                        ; implicit-def: $vgpr2_vgpr3
                                        ; implicit-def: $vgpr8_vgpr9
                                        ; implicit-def: $vgpr4_vgpr5
                                        ; implicit-def: $vgpr0_vgpr1
.LBB98_21:
	s_andn2_saveexec_b64 s[2:3], s[2:3]
	s_cbranch_execz .LBB98_23
; %bb.22:
	v_lshlrev_b32_e32 v6, 1, v6
	v_ashrrev_i32_e32 v7, 31, v6
	s_waitcnt lgkmcnt(0)
	v_lshl_add_u64 v[14:15], v[6:7], 3, s[0:1]
	global_load_dwordx4 v[10:13], v[14:15], off
	v_mul_f64 v[6:7], v[2:3], v[8:9]
	v_mul_f64 v[8:9], v[2:3], v[0:1]
	s_waitcnt vmcnt(0)
	v_fmac_f64_e32 v[6:7], v[4:5], v[10:11]
	v_fmac_f64_e32 v[8:9], v[4:5], v[12:13]
	global_store_dwordx4 v[14:15], v[6:9], off
.LBB98_23:
	s_endpgm
	.section	.rodata,"a",@progbits
	.p2align	6, 0x0
	.amdhsa_kernel _ZN9rocsparseL19gebsrmvn_2xn_kernelILj128ELj6ELj16EdEEvi20rocsparse_direction_NS_24const_host_device_scalarIT2_EEPKiS6_PKS3_S8_S4_PS3_21rocsparse_index_base_b
		.amdhsa_group_segment_fixed_size 0
		.amdhsa_private_segment_fixed_size 0
		.amdhsa_kernarg_size 72
		.amdhsa_user_sgpr_count 2
		.amdhsa_user_sgpr_dispatch_ptr 0
		.amdhsa_user_sgpr_queue_ptr 0
		.amdhsa_user_sgpr_kernarg_segment_ptr 1
		.amdhsa_user_sgpr_dispatch_id 0
		.amdhsa_user_sgpr_kernarg_preload_length 0
		.amdhsa_user_sgpr_kernarg_preload_offset 0
		.amdhsa_user_sgpr_private_segment_size 0
		.amdhsa_uses_dynamic_stack 0
		.amdhsa_enable_private_segment 0
		.amdhsa_system_sgpr_workgroup_id_x 1
		.amdhsa_system_sgpr_workgroup_id_y 0
		.amdhsa_system_sgpr_workgroup_id_z 0
		.amdhsa_system_sgpr_workgroup_info 0
		.amdhsa_system_vgpr_workitem_id 0
		.amdhsa_next_free_vgpr 60
		.amdhsa_next_free_sgpr 18
		.amdhsa_accum_offset 60
		.amdhsa_reserve_vcc 1
		.amdhsa_float_round_mode_32 0
		.amdhsa_float_round_mode_16_64 0
		.amdhsa_float_denorm_mode_32 3
		.amdhsa_float_denorm_mode_16_64 3
		.amdhsa_dx10_clamp 1
		.amdhsa_ieee_mode 1
		.amdhsa_fp16_overflow 0
		.amdhsa_tg_split 0
		.amdhsa_exception_fp_ieee_invalid_op 0
		.amdhsa_exception_fp_denorm_src 0
		.amdhsa_exception_fp_ieee_div_zero 0
		.amdhsa_exception_fp_ieee_overflow 0
		.amdhsa_exception_fp_ieee_underflow 0
		.amdhsa_exception_fp_ieee_inexact 0
		.amdhsa_exception_int_div_zero 0
	.end_amdhsa_kernel
	.section	.text._ZN9rocsparseL19gebsrmvn_2xn_kernelILj128ELj6ELj16EdEEvi20rocsparse_direction_NS_24const_host_device_scalarIT2_EEPKiS6_PKS3_S8_S4_PS3_21rocsparse_index_base_b,"axG",@progbits,_ZN9rocsparseL19gebsrmvn_2xn_kernelILj128ELj6ELj16EdEEvi20rocsparse_direction_NS_24const_host_device_scalarIT2_EEPKiS6_PKS3_S8_S4_PS3_21rocsparse_index_base_b,comdat
.Lfunc_end98:
	.size	_ZN9rocsparseL19gebsrmvn_2xn_kernelILj128ELj6ELj16EdEEvi20rocsparse_direction_NS_24const_host_device_scalarIT2_EEPKiS6_PKS3_S8_S4_PS3_21rocsparse_index_base_b, .Lfunc_end98-_ZN9rocsparseL19gebsrmvn_2xn_kernelILj128ELj6ELj16EdEEvi20rocsparse_direction_NS_24const_host_device_scalarIT2_EEPKiS6_PKS3_S8_S4_PS3_21rocsparse_index_base_b
                                        ; -- End function
	.section	.AMDGPU.csdata,"",@progbits
; Kernel info:
; codeLenInByte = 1388
; NumSgprs: 24
; NumVgprs: 60
; NumAgprs: 0
; TotalNumVgprs: 60
; ScratchSize: 0
; MemoryBound: 0
; FloatMode: 240
; IeeeMode: 1
; LDSByteSize: 0 bytes/workgroup (compile time only)
; SGPRBlocks: 2
; VGPRBlocks: 7
; NumSGPRsForWavesPerEU: 24
; NumVGPRsForWavesPerEU: 60
; AccumOffset: 60
; Occupancy: 8
; WaveLimiterHint : 1
; COMPUTE_PGM_RSRC2:SCRATCH_EN: 0
; COMPUTE_PGM_RSRC2:USER_SGPR: 2
; COMPUTE_PGM_RSRC2:TRAP_HANDLER: 0
; COMPUTE_PGM_RSRC2:TGID_X_EN: 1
; COMPUTE_PGM_RSRC2:TGID_Y_EN: 0
; COMPUTE_PGM_RSRC2:TGID_Z_EN: 0
; COMPUTE_PGM_RSRC2:TIDIG_COMP_CNT: 0
; COMPUTE_PGM_RSRC3_GFX90A:ACCUM_OFFSET: 14
; COMPUTE_PGM_RSRC3_GFX90A:TG_SPLIT: 0
	.section	.text._ZN9rocsparseL19gebsrmvn_2xn_kernelILj128ELj6ELj32EdEEvi20rocsparse_direction_NS_24const_host_device_scalarIT2_EEPKiS6_PKS3_S8_S4_PS3_21rocsparse_index_base_b,"axG",@progbits,_ZN9rocsparseL19gebsrmvn_2xn_kernelILj128ELj6ELj32EdEEvi20rocsparse_direction_NS_24const_host_device_scalarIT2_EEPKiS6_PKS3_S8_S4_PS3_21rocsparse_index_base_b,comdat
	.globl	_ZN9rocsparseL19gebsrmvn_2xn_kernelILj128ELj6ELj32EdEEvi20rocsparse_direction_NS_24const_host_device_scalarIT2_EEPKiS6_PKS3_S8_S4_PS3_21rocsparse_index_base_b ; -- Begin function _ZN9rocsparseL19gebsrmvn_2xn_kernelILj128ELj6ELj32EdEEvi20rocsparse_direction_NS_24const_host_device_scalarIT2_EEPKiS6_PKS3_S8_S4_PS3_21rocsparse_index_base_b
	.p2align	8
	.type	_ZN9rocsparseL19gebsrmvn_2xn_kernelILj128ELj6ELj32EdEEvi20rocsparse_direction_NS_24const_host_device_scalarIT2_EEPKiS6_PKS3_S8_S4_PS3_21rocsparse_index_base_b,@function
_ZN9rocsparseL19gebsrmvn_2xn_kernelILj128ELj6ELj32EdEEvi20rocsparse_direction_NS_24const_host_device_scalarIT2_EEPKiS6_PKS3_S8_S4_PS3_21rocsparse_index_base_b: ; @_ZN9rocsparseL19gebsrmvn_2xn_kernelILj128ELj6ELj32EdEEvi20rocsparse_direction_NS_24const_host_device_scalarIT2_EEPKiS6_PKS3_S8_S4_PS3_21rocsparse_index_base_b
; %bb.0:
	s_load_dwordx2 s[12:13], s[0:1], 0x40
	s_load_dwordx2 s[8:9], s[0:1], 0x8
	;; [unrolled: 1-line block ×3, first 2 shown]
	s_waitcnt lgkmcnt(0)
	s_bitcmp1_b32 s13, 0
	s_cselect_b64 s[10:11], -1, 0
	s_xor_b64 s[6:7], s[10:11], -1
	s_and_b64 vcc, exec, s[10:11]
	v_mov_b64_e32 v[2:3], s[8:9]
	s_cbranch_vccnz .LBB99_2
; %bb.1:
	v_mov_b64_e32 v[2:3], s[8:9]
	flat_load_dwordx2 v[2:3], v[2:3]
.LBB99_2:
	s_andn2_b64 vcc, exec, s[6:7]
	v_mov_b64_e32 v[4:5], s[4:5]
	s_cbranch_vccnz .LBB99_4
; %bb.3:
	v_mov_b64_e32 v[4:5], s[4:5]
	flat_load_dwordx2 v[4:5], v[4:5]
.LBB99_4:
	s_waitcnt vmcnt(0) lgkmcnt(0)
	v_cmp_neq_f64_e32 vcc, 0, v[2:3]
	v_cmp_neq_f64_e64 s[4:5], 1.0, v[4:5]
	s_or_b64 s[4:5], vcc, s[4:5]
	s_and_saveexec_b64 s[6:7], s[4:5]
	s_cbranch_execz .LBB99_23
; %bb.5:
	s_load_dwordx2 s[14:15], s[0:1], 0x0
	v_lshrrev_b32_e32 v1, 5, v0
	v_lshl_or_b32 v6, s2, 2, v1
	s_waitcnt lgkmcnt(0)
	v_cmp_gt_i32_e32 vcc, s14, v6
	s_and_b64 exec, exec, vcc
	s_cbranch_execz .LBB99_23
; %bb.6:
	s_load_dwordx8 s[4:11], s[0:1], 0x10
	v_ashrrev_i32_e32 v7, 31, v6
	s_cmp_lg_u32 s15, 0
	s_waitcnt lgkmcnt(0)
	v_lshl_add_u64 v[8:9], v[6:7], 2, s[4:5]
	global_load_dwordx2 v[8:9], v[8:9], off
	v_and_b32_e32 v7, 31, v0
	s_waitcnt vmcnt(0)
	v_subrev_u32_e32 v0, s12, v8
	v_subrev_u32_e32 v18, s12, v9
	v_add_u32_e32 v10, v0, v7
	v_cmp_lt_i32_e64 s[2:3], v10, v18
	s_cbranch_scc0 .LBB99_12
; %bb.7:
	v_mov_b64_e32 v[8:9], 0
	s_mov_b64 s[4:5], 0
	v_mov_b64_e32 v[0:1], v[8:9]
	s_and_saveexec_b64 s[14:15], s[2:3]
	s_cbranch_execz .LBB99_11
; %bb.8:
	v_mad_u64_u32 v[12:13], s[16:17], v10, 12, 10
	v_mov_b64_e32 v[8:9], 0
	s_mov_b64 s[16:17], 0
	v_mov_b32_e32 v15, 0
	v_mov_b32_e32 v16, v10
	v_mov_b64_e32 v[0:1], v[8:9]
.LBB99_9:                               ; =>This Inner Loop Header: Depth=1
	v_ashrrev_i32_e32 v17, 31, v16
	v_lshl_add_u64 v[20:21], v[16:17], 2, s[6:7]
	global_load_dword v11, v[20:21], off
	v_add_u32_e32 v14, -10, v12
	v_mov_b32_e32 v41, v15
	v_lshl_add_u64 v[28:29], v[14:15], 3, s[8:9]
	v_add_u32_e32 v14, -6, v12
	global_load_dwordx4 v[20:23], v[28:29], off offset:16
	global_load_dwordx4 v[24:27], v[28:29], off
	v_lshl_add_u64 v[28:29], v[14:15], 3, s[8:9]
	global_load_dwordx4 v[28:31], v[28:29], off
	v_mov_b32_e32 v13, v15
	v_lshl_add_u64 v[56:57], v[12:13], 3, s[8:9]
	v_add_u32_e32 v16, 32, v16
	v_cmp_ge_i32_e32 vcc, v16, v18
	s_or_b64 s[16:17], vcc, s[16:17]
	s_waitcnt vmcnt(3)
	v_subrev_u32_e32 v11, s12, v11
	v_mul_lo_u32 v40, v11, 6
	v_lshl_add_u64 v[32:33], v[40:41], 3, s[10:11]
	v_add_u32_e32 v14, 2, v40
	global_load_dwordx4 v[32:35], v[32:33], off
	v_lshl_add_u64 v[36:37], v[14:15], 3, s[10:11]
	global_load_dwordx4 v[36:39], v[36:37], off
	v_add_u32_e32 v14, -4, v12
	v_lshl_add_u64 v[48:49], v[14:15], 3, s[8:9]
	v_add_u32_e32 v14, -2, v12
	v_lshl_add_u64 v[50:51], v[14:15], 3, s[8:9]
	v_add_u32_e32 v14, 4, v40
	global_load_dwordx4 v[40:43], v[48:49], off
	global_load_dwordx4 v[44:47], v[50:51], off
	v_lshl_add_u64 v[58:59], v[14:15], 3, s[10:11]
	global_load_dwordx4 v[48:51], v[58:59], off
	global_load_dwordx4 v[52:55], v[56:57], off
	v_add_u32_e32 v12, 0x180, v12
	s_waitcnt vmcnt(5)
	v_fmac_f64_e32 v[8:9], v[24:25], v[32:33]
	v_fmac_f64_e32 v[0:1], v[26:27], v[32:33]
	;; [unrolled: 1-line block ×4, first 2 shown]
	s_waitcnt vmcnt(4)
	v_fmac_f64_e32 v[8:9], v[28:29], v[36:37]
	v_fmac_f64_e32 v[0:1], v[30:31], v[36:37]
	s_waitcnt vmcnt(3)
	v_fmac_f64_e32 v[8:9], v[40:41], v[38:39]
	v_fmac_f64_e32 v[0:1], v[42:43], v[38:39]
	;; [unrolled: 3-line block ×4, first 2 shown]
	s_andn2_b64 exec, exec, s[16:17]
	s_cbranch_execnz .LBB99_9
; %bb.10:
	s_or_b64 exec, exec, s[16:17]
.LBB99_11:
	s_or_b64 exec, exec, s[14:15]
	s_andn2_b64 vcc, exec, s[4:5]
	s_cbranch_vccz .LBB99_13
	s_branch .LBB99_18
.LBB99_12:
                                        ; implicit-def: $vgpr8_vgpr9
                                        ; implicit-def: $vgpr0_vgpr1
.LBB99_13:
	v_mov_b64_e32 v[8:9], 0
	v_mov_b64_e32 v[0:1], v[8:9]
	s_and_saveexec_b64 s[4:5], s[2:3]
	s_cbranch_execz .LBB99_17
; %bb.14:
	v_mad_u64_u32 v[12:13], s[2:3], v10, 12, 11
	v_mov_b64_e32 v[8:9], 0
	s_mov_b64 s[2:3], 0
	v_mov_b32_e32 v15, 0
	v_mov_b64_e32 v[0:1], v[8:9]
.LBB99_15:                              ; =>This Inner Loop Header: Depth=1
	v_ashrrev_i32_e32 v11, 31, v10
	v_lshl_add_u64 v[16:17], v[10:11], 2, s[6:7]
	global_load_dword v11, v[16:17], off
	v_add_u32_e32 v14, -11, v12
	v_add_u32_e32 v16, -5, v12
	v_mov_b32_e32 v17, v15
	v_mov_b32_e32 v37, v15
	v_lshl_add_u64 v[28:29], v[14:15], 3, s[8:9]
	v_lshl_add_u64 v[16:17], v[16:17], 3, s[8:9]
	v_add_u32_e32 v14, -4, v12
	global_load_dwordx4 v[20:23], v[28:29], off offset:16
	global_load_dwordx4 v[24:27], v[28:29], off
	v_lshl_add_u64 v[28:29], v[14:15], 3, s[8:9]
	global_load_dwordx2 v[42:43], v[16:17], off
	global_load_dwordx2 v[44:45], v[28:29], off
	v_mov_b32_e32 v13, v15
	v_lshl_add_u64 v[40:41], v[12:13], 3, s[8:9]
	v_add_u32_e32 v10, 32, v10
	v_cmp_ge_i32_e32 vcc, v10, v18
	s_or_b64 s[2:3], vcc, s[2:3]
	s_waitcnt vmcnt(4)
	v_subrev_u32_e32 v11, s12, v11
	v_mul_lo_u32 v36, v11, 6
	v_lshl_add_u64 v[16:17], v[36:37], 3, s[10:11]
	v_add_u32_e32 v14, 2, v36
	global_load_dwordx4 v[28:31], v[16:17], off
	v_lshl_add_u64 v[16:17], v[14:15], 3, s[10:11]
	v_add_u32_e32 v14, -3, v12
	global_load_dwordx4 v[32:35], v[16:17], off
	v_lshl_add_u64 v[16:17], v[14:15], 3, s[8:9]
	v_add_u32_e32 v14, -2, v12
	v_lshl_add_u64 v[38:39], v[14:15], 3, s[8:9]
	v_add_u32_e32 v14, -7, v12
	global_load_dwordx2 v[16:17], v[16:17], off
	v_lshl_add_u64 v[46:47], v[14:15], 3, s[8:9]
	v_add_u32_e32 v14, 4, v36
	v_lshl_add_u64 v[36:37], v[14:15], 3, s[10:11]
	v_add_u32_e32 v14, -1, v12
	global_load_dwordx2 v[48:49], v[38:39], off
	global_load_dwordx2 v[50:51], v[46:47], off
	v_lshl_add_u64 v[46:47], v[14:15], 3, s[8:9]
	global_load_dwordx4 v[36:39], v[36:37], off
	v_add_u32_e32 v14, -6, v12
	v_lshl_add_u64 v[52:53], v[14:15], 3, s[8:9]
	global_load_dwordx2 v[54:55], v[46:47], off
	global_load_dwordx2 v[56:57], v[52:53], off
	;; [unrolled: 1-line block ×3, first 2 shown]
	v_add_u32_e32 v12, 0x180, v12
	s_waitcnt vmcnt(8)
	v_fmac_f64_e32 v[8:9], v[24:25], v[28:29]
	v_fmac_f64_e32 v[0:1], v[42:43], v[28:29]
	;; [unrolled: 1-line block ×4, first 2 shown]
	s_waitcnt vmcnt(7)
	v_fmac_f64_e32 v[8:9], v[20:21], v[32:33]
	v_fmac_f64_e32 v[8:9], v[22:23], v[34:35]
	s_waitcnt vmcnt(6)
	v_fmac_f64_e32 v[0:1], v[16:17], v[32:33]
	s_waitcnt vmcnt(5)
	;; [unrolled: 2-line block ×6, first 2 shown]
	v_fmac_f64_e32 v[0:1], v[58:59], v[38:39]
	s_andn2_b64 exec, exec, s[2:3]
	s_cbranch_execnz .LBB99_15
; %bb.16:
	s_or_b64 exec, exec, s[2:3]
.LBB99_17:
	s_or_b64 exec, exec, s[4:5]
.LBB99_18:
	v_mov_b32_dpp v10, v8 row_shr:1 row_mask:0xf bank_mask:0xf
	v_mov_b32_dpp v11, v9 row_shr:1 row_mask:0xf bank_mask:0xf
	;; [unrolled: 1-line block ×4, first 2 shown]
	v_add_f64 v[8:9], v[8:9], v[10:11]
	v_add_f64 v[0:1], v[0:1], v[12:13]
	v_cmp_eq_u32_e32 vcc, 31, v7
	v_mov_b32_dpp v10, v8 row_shr:2 row_mask:0xf bank_mask:0xf
	v_mov_b32_dpp v11, v9 row_shr:2 row_mask:0xf bank_mask:0xf
	v_mov_b32_dpp v12, v0 row_shr:2 row_mask:0xf bank_mask:0xf
	v_mov_b32_dpp v13, v1 row_shr:2 row_mask:0xf bank_mask:0xf
	v_add_f64 v[8:9], v[8:9], v[10:11]
	v_add_f64 v[0:1], v[0:1], v[12:13]
	s_nop 0
	v_mov_b32_dpp v10, v8 row_shr:4 row_mask:0xf bank_mask:0xe
	v_mov_b32_dpp v11, v9 row_shr:4 row_mask:0xf bank_mask:0xe
	v_mov_b32_dpp v12, v0 row_shr:4 row_mask:0xf bank_mask:0xe
	v_mov_b32_dpp v13, v1 row_shr:4 row_mask:0xf bank_mask:0xe
	v_add_f64 v[8:9], v[8:9], v[10:11]
	v_add_f64 v[0:1], v[0:1], v[12:13]
	s_nop 0
	;; [unrolled: 7-line block ×3, first 2 shown]
	v_mov_b32_dpp v10, v8 row_bcast:15 row_mask:0xa bank_mask:0xf
	v_mov_b32_dpp v11, v9 row_bcast:15 row_mask:0xa bank_mask:0xf
	;; [unrolled: 1-line block ×4, first 2 shown]
	s_and_b64 exec, exec, vcc
	s_cbranch_execz .LBB99_23
; %bb.19:
	s_load_dwordx2 s[0:1], s[0:1], 0x38
	v_add_f64 v[8:9], v[8:9], v[10:11]
	v_add_f64 v[0:1], v[0:1], v[12:13]
	v_cmp_eq_f64_e32 vcc, 0, v[4:5]
	s_and_saveexec_b64 s[2:3], vcc
	s_xor_b64 s[2:3], exec, s[2:3]
	s_cbranch_execz .LBB99_21
; %bb.20:
	v_lshlrev_b32_e32 v6, 1, v6
	v_ashrrev_i32_e32 v7, 31, v6
	v_mul_f64 v[4:5], v[2:3], v[8:9]
	s_waitcnt lgkmcnt(0)
	v_lshl_add_u64 v[8:9], v[6:7], 3, s[0:1]
	v_mul_f64 v[6:7], v[2:3], v[0:1]
	global_store_dwordx4 v[8:9], v[4:7], off
                                        ; implicit-def: $vgpr6
                                        ; implicit-def: $vgpr2_vgpr3
                                        ; implicit-def: $vgpr8_vgpr9
                                        ; implicit-def: $vgpr4_vgpr5
                                        ; implicit-def: $vgpr0_vgpr1
.LBB99_21:
	s_andn2_saveexec_b64 s[2:3], s[2:3]
	s_cbranch_execz .LBB99_23
; %bb.22:
	v_lshlrev_b32_e32 v6, 1, v6
	v_ashrrev_i32_e32 v7, 31, v6
	s_waitcnt lgkmcnt(0)
	v_lshl_add_u64 v[14:15], v[6:7], 3, s[0:1]
	global_load_dwordx4 v[10:13], v[14:15], off
	v_mul_f64 v[6:7], v[2:3], v[8:9]
	v_mul_f64 v[8:9], v[2:3], v[0:1]
	s_waitcnt vmcnt(0)
	v_fmac_f64_e32 v[6:7], v[4:5], v[10:11]
	v_fmac_f64_e32 v[8:9], v[4:5], v[12:13]
	global_store_dwordx4 v[14:15], v[6:9], off
.LBB99_23:
	s_endpgm
	.section	.rodata,"a",@progbits
	.p2align	6, 0x0
	.amdhsa_kernel _ZN9rocsparseL19gebsrmvn_2xn_kernelILj128ELj6ELj32EdEEvi20rocsparse_direction_NS_24const_host_device_scalarIT2_EEPKiS6_PKS3_S8_S4_PS3_21rocsparse_index_base_b
		.amdhsa_group_segment_fixed_size 0
		.amdhsa_private_segment_fixed_size 0
		.amdhsa_kernarg_size 72
		.amdhsa_user_sgpr_count 2
		.amdhsa_user_sgpr_dispatch_ptr 0
		.amdhsa_user_sgpr_queue_ptr 0
		.amdhsa_user_sgpr_kernarg_segment_ptr 1
		.amdhsa_user_sgpr_dispatch_id 0
		.amdhsa_user_sgpr_kernarg_preload_length 0
		.amdhsa_user_sgpr_kernarg_preload_offset 0
		.amdhsa_user_sgpr_private_segment_size 0
		.amdhsa_uses_dynamic_stack 0
		.amdhsa_enable_private_segment 0
		.amdhsa_system_sgpr_workgroup_id_x 1
		.amdhsa_system_sgpr_workgroup_id_y 0
		.amdhsa_system_sgpr_workgroup_id_z 0
		.amdhsa_system_sgpr_workgroup_info 0
		.amdhsa_system_vgpr_workitem_id 0
		.amdhsa_next_free_vgpr 60
		.amdhsa_next_free_sgpr 18
		.amdhsa_accum_offset 60
		.amdhsa_reserve_vcc 1
		.amdhsa_float_round_mode_32 0
		.amdhsa_float_round_mode_16_64 0
		.amdhsa_float_denorm_mode_32 3
		.amdhsa_float_denorm_mode_16_64 3
		.amdhsa_dx10_clamp 1
		.amdhsa_ieee_mode 1
		.amdhsa_fp16_overflow 0
		.amdhsa_tg_split 0
		.amdhsa_exception_fp_ieee_invalid_op 0
		.amdhsa_exception_fp_denorm_src 0
		.amdhsa_exception_fp_ieee_div_zero 0
		.amdhsa_exception_fp_ieee_overflow 0
		.amdhsa_exception_fp_ieee_underflow 0
		.amdhsa_exception_fp_ieee_inexact 0
		.amdhsa_exception_int_div_zero 0
	.end_amdhsa_kernel
	.section	.text._ZN9rocsparseL19gebsrmvn_2xn_kernelILj128ELj6ELj32EdEEvi20rocsparse_direction_NS_24const_host_device_scalarIT2_EEPKiS6_PKS3_S8_S4_PS3_21rocsparse_index_base_b,"axG",@progbits,_ZN9rocsparseL19gebsrmvn_2xn_kernelILj128ELj6ELj32EdEEvi20rocsparse_direction_NS_24const_host_device_scalarIT2_EEPKiS6_PKS3_S8_S4_PS3_21rocsparse_index_base_b,comdat
.Lfunc_end99:
	.size	_ZN9rocsparseL19gebsrmvn_2xn_kernelILj128ELj6ELj32EdEEvi20rocsparse_direction_NS_24const_host_device_scalarIT2_EEPKiS6_PKS3_S8_S4_PS3_21rocsparse_index_base_b, .Lfunc_end99-_ZN9rocsparseL19gebsrmvn_2xn_kernelILj128ELj6ELj32EdEEvi20rocsparse_direction_NS_24const_host_device_scalarIT2_EEPKiS6_PKS3_S8_S4_PS3_21rocsparse_index_base_b
                                        ; -- End function
	.section	.AMDGPU.csdata,"",@progbits
; Kernel info:
; codeLenInByte = 1440
; NumSgprs: 24
; NumVgprs: 60
; NumAgprs: 0
; TotalNumVgprs: 60
; ScratchSize: 0
; MemoryBound: 0
; FloatMode: 240
; IeeeMode: 1
; LDSByteSize: 0 bytes/workgroup (compile time only)
; SGPRBlocks: 2
; VGPRBlocks: 7
; NumSGPRsForWavesPerEU: 24
; NumVGPRsForWavesPerEU: 60
; AccumOffset: 60
; Occupancy: 8
; WaveLimiterHint : 1
; COMPUTE_PGM_RSRC2:SCRATCH_EN: 0
; COMPUTE_PGM_RSRC2:USER_SGPR: 2
; COMPUTE_PGM_RSRC2:TRAP_HANDLER: 0
; COMPUTE_PGM_RSRC2:TGID_X_EN: 1
; COMPUTE_PGM_RSRC2:TGID_Y_EN: 0
; COMPUTE_PGM_RSRC2:TGID_Z_EN: 0
; COMPUTE_PGM_RSRC2:TIDIG_COMP_CNT: 0
; COMPUTE_PGM_RSRC3_GFX90A:ACCUM_OFFSET: 14
; COMPUTE_PGM_RSRC3_GFX90A:TG_SPLIT: 0
	.section	.text._ZN9rocsparseL19gebsrmvn_2xn_kernelILj128ELj6ELj64EdEEvi20rocsparse_direction_NS_24const_host_device_scalarIT2_EEPKiS6_PKS3_S8_S4_PS3_21rocsparse_index_base_b,"axG",@progbits,_ZN9rocsparseL19gebsrmvn_2xn_kernelILj128ELj6ELj64EdEEvi20rocsparse_direction_NS_24const_host_device_scalarIT2_EEPKiS6_PKS3_S8_S4_PS3_21rocsparse_index_base_b,comdat
	.globl	_ZN9rocsparseL19gebsrmvn_2xn_kernelILj128ELj6ELj64EdEEvi20rocsparse_direction_NS_24const_host_device_scalarIT2_EEPKiS6_PKS3_S8_S4_PS3_21rocsparse_index_base_b ; -- Begin function _ZN9rocsparseL19gebsrmvn_2xn_kernelILj128ELj6ELj64EdEEvi20rocsparse_direction_NS_24const_host_device_scalarIT2_EEPKiS6_PKS3_S8_S4_PS3_21rocsparse_index_base_b
	.p2align	8
	.type	_ZN9rocsparseL19gebsrmvn_2xn_kernelILj128ELj6ELj64EdEEvi20rocsparse_direction_NS_24const_host_device_scalarIT2_EEPKiS6_PKS3_S8_S4_PS3_21rocsparse_index_base_b,@function
_ZN9rocsparseL19gebsrmvn_2xn_kernelILj128ELj6ELj64EdEEvi20rocsparse_direction_NS_24const_host_device_scalarIT2_EEPKiS6_PKS3_S8_S4_PS3_21rocsparse_index_base_b: ; @_ZN9rocsparseL19gebsrmvn_2xn_kernelILj128ELj6ELj64EdEEvi20rocsparse_direction_NS_24const_host_device_scalarIT2_EEPKiS6_PKS3_S8_S4_PS3_21rocsparse_index_base_b
; %bb.0:
	s_load_dwordx2 s[12:13], s[0:1], 0x40
	s_load_dwordx2 s[8:9], s[0:1], 0x8
	;; [unrolled: 1-line block ×3, first 2 shown]
	s_waitcnt lgkmcnt(0)
	s_bitcmp1_b32 s13, 0
	s_cselect_b64 s[10:11], -1, 0
	s_xor_b64 s[6:7], s[10:11], -1
	s_and_b64 vcc, exec, s[10:11]
	v_mov_b64_e32 v[2:3], s[8:9]
	s_cbranch_vccnz .LBB100_2
; %bb.1:
	v_mov_b64_e32 v[2:3], s[8:9]
	flat_load_dwordx2 v[2:3], v[2:3]
.LBB100_2:
	s_andn2_b64 vcc, exec, s[6:7]
	v_mov_b64_e32 v[4:5], s[4:5]
	s_cbranch_vccnz .LBB100_4
; %bb.3:
	v_mov_b64_e32 v[4:5], s[4:5]
	flat_load_dwordx2 v[4:5], v[4:5]
.LBB100_4:
	s_waitcnt vmcnt(0) lgkmcnt(0)
	v_cmp_neq_f64_e32 vcc, 0, v[2:3]
	v_cmp_neq_f64_e64 s[4:5], 1.0, v[4:5]
	s_or_b64 s[4:5], vcc, s[4:5]
	s_and_saveexec_b64 s[6:7], s[4:5]
	s_cbranch_execz .LBB100_23
; %bb.5:
	s_load_dwordx2 s[14:15], s[0:1], 0x0
	v_lshrrev_b32_e32 v1, 6, v0
	v_lshl_or_b32 v6, s2, 1, v1
	s_waitcnt lgkmcnt(0)
	v_cmp_gt_i32_e32 vcc, s14, v6
	s_and_b64 exec, exec, vcc
	s_cbranch_execz .LBB100_23
; %bb.6:
	s_load_dwordx8 s[4:11], s[0:1], 0x10
	v_ashrrev_i32_e32 v7, 31, v6
	s_cmp_lg_u32 s15, 0
	s_waitcnt lgkmcnt(0)
	v_lshl_add_u64 v[8:9], v[6:7], 2, s[4:5]
	global_load_dwordx2 v[8:9], v[8:9], off
	v_and_b32_e32 v7, 63, v0
	s_waitcnt vmcnt(0)
	v_subrev_u32_e32 v0, s12, v8
	v_subrev_u32_e32 v18, s12, v9
	v_add_u32_e32 v10, v0, v7
	v_cmp_lt_i32_e64 s[2:3], v10, v18
	s_cbranch_scc0 .LBB100_12
; %bb.7:
	v_mov_b64_e32 v[8:9], 0
	s_mov_b64 s[4:5], 0
	v_mov_b64_e32 v[0:1], v[8:9]
	s_and_saveexec_b64 s[14:15], s[2:3]
	s_cbranch_execz .LBB100_11
; %bb.8:
	v_mad_u64_u32 v[12:13], s[16:17], v10, 12, 10
	v_mov_b64_e32 v[8:9], 0
	s_mov_b64 s[16:17], 0
	v_mov_b32_e32 v15, 0
	v_mov_b32_e32 v16, v10
	v_mov_b64_e32 v[0:1], v[8:9]
.LBB100_9:                              ; =>This Inner Loop Header: Depth=1
	v_ashrrev_i32_e32 v17, 31, v16
	v_lshl_add_u64 v[20:21], v[16:17], 2, s[6:7]
	global_load_dword v11, v[20:21], off
	v_add_u32_e32 v14, -10, v12
	v_mov_b32_e32 v41, v15
	v_lshl_add_u64 v[28:29], v[14:15], 3, s[8:9]
	v_add_u32_e32 v14, -6, v12
	global_load_dwordx4 v[20:23], v[28:29], off offset:16
	global_load_dwordx4 v[24:27], v[28:29], off
	v_lshl_add_u64 v[28:29], v[14:15], 3, s[8:9]
	global_load_dwordx4 v[28:31], v[28:29], off
	v_mov_b32_e32 v13, v15
	v_lshl_add_u64 v[56:57], v[12:13], 3, s[8:9]
	v_add_u32_e32 v16, 64, v16
	v_cmp_ge_i32_e32 vcc, v16, v18
	s_or_b64 s[16:17], vcc, s[16:17]
	s_waitcnt vmcnt(3)
	v_subrev_u32_e32 v11, s12, v11
	v_mul_lo_u32 v40, v11, 6
	v_lshl_add_u64 v[32:33], v[40:41], 3, s[10:11]
	v_add_u32_e32 v14, 2, v40
	global_load_dwordx4 v[32:35], v[32:33], off
	v_lshl_add_u64 v[36:37], v[14:15], 3, s[10:11]
	global_load_dwordx4 v[36:39], v[36:37], off
	v_add_u32_e32 v14, -4, v12
	v_lshl_add_u64 v[48:49], v[14:15], 3, s[8:9]
	v_add_u32_e32 v14, -2, v12
	v_lshl_add_u64 v[50:51], v[14:15], 3, s[8:9]
	v_add_u32_e32 v14, 4, v40
	global_load_dwordx4 v[40:43], v[48:49], off
	global_load_dwordx4 v[44:47], v[50:51], off
	v_lshl_add_u64 v[58:59], v[14:15], 3, s[10:11]
	global_load_dwordx4 v[48:51], v[58:59], off
	global_load_dwordx4 v[52:55], v[56:57], off
	v_add_u32_e32 v12, 0x300, v12
	s_waitcnt vmcnt(5)
	v_fmac_f64_e32 v[8:9], v[24:25], v[32:33]
	v_fmac_f64_e32 v[0:1], v[26:27], v[32:33]
	;; [unrolled: 1-line block ×4, first 2 shown]
	s_waitcnt vmcnt(4)
	v_fmac_f64_e32 v[8:9], v[28:29], v[36:37]
	v_fmac_f64_e32 v[0:1], v[30:31], v[36:37]
	s_waitcnt vmcnt(3)
	v_fmac_f64_e32 v[8:9], v[40:41], v[38:39]
	v_fmac_f64_e32 v[0:1], v[42:43], v[38:39]
	;; [unrolled: 3-line block ×4, first 2 shown]
	s_andn2_b64 exec, exec, s[16:17]
	s_cbranch_execnz .LBB100_9
; %bb.10:
	s_or_b64 exec, exec, s[16:17]
.LBB100_11:
	s_or_b64 exec, exec, s[14:15]
	s_andn2_b64 vcc, exec, s[4:5]
	s_cbranch_vccz .LBB100_13
	s_branch .LBB100_18
.LBB100_12:
                                        ; implicit-def: $vgpr8_vgpr9
                                        ; implicit-def: $vgpr0_vgpr1
.LBB100_13:
	v_mov_b64_e32 v[8:9], 0
	v_mov_b64_e32 v[0:1], v[8:9]
	s_and_saveexec_b64 s[4:5], s[2:3]
	s_cbranch_execz .LBB100_17
; %bb.14:
	v_mad_u64_u32 v[12:13], s[2:3], v10, 12, 11
	v_mov_b64_e32 v[8:9], 0
	s_mov_b64 s[2:3], 0
	v_mov_b32_e32 v15, 0
	v_mov_b64_e32 v[0:1], v[8:9]
.LBB100_15:                             ; =>This Inner Loop Header: Depth=1
	v_ashrrev_i32_e32 v11, 31, v10
	v_lshl_add_u64 v[16:17], v[10:11], 2, s[6:7]
	global_load_dword v11, v[16:17], off
	v_add_u32_e32 v14, -11, v12
	v_add_u32_e32 v16, -5, v12
	v_mov_b32_e32 v17, v15
	v_mov_b32_e32 v37, v15
	v_lshl_add_u64 v[28:29], v[14:15], 3, s[8:9]
	v_lshl_add_u64 v[16:17], v[16:17], 3, s[8:9]
	v_add_u32_e32 v14, -4, v12
	global_load_dwordx4 v[20:23], v[28:29], off offset:16
	global_load_dwordx4 v[24:27], v[28:29], off
	v_lshl_add_u64 v[28:29], v[14:15], 3, s[8:9]
	global_load_dwordx2 v[42:43], v[16:17], off
	global_load_dwordx2 v[44:45], v[28:29], off
	v_mov_b32_e32 v13, v15
	v_lshl_add_u64 v[40:41], v[12:13], 3, s[8:9]
	v_add_u32_e32 v10, 64, v10
	v_cmp_ge_i32_e32 vcc, v10, v18
	s_or_b64 s[2:3], vcc, s[2:3]
	s_waitcnt vmcnt(4)
	v_subrev_u32_e32 v11, s12, v11
	v_mul_lo_u32 v36, v11, 6
	v_lshl_add_u64 v[16:17], v[36:37], 3, s[10:11]
	v_add_u32_e32 v14, 2, v36
	global_load_dwordx4 v[28:31], v[16:17], off
	v_lshl_add_u64 v[16:17], v[14:15], 3, s[10:11]
	v_add_u32_e32 v14, -3, v12
	global_load_dwordx4 v[32:35], v[16:17], off
	v_lshl_add_u64 v[16:17], v[14:15], 3, s[8:9]
	v_add_u32_e32 v14, -2, v12
	v_lshl_add_u64 v[38:39], v[14:15], 3, s[8:9]
	v_add_u32_e32 v14, -7, v12
	global_load_dwordx2 v[16:17], v[16:17], off
	v_lshl_add_u64 v[46:47], v[14:15], 3, s[8:9]
	v_add_u32_e32 v14, 4, v36
	v_lshl_add_u64 v[36:37], v[14:15], 3, s[10:11]
	v_add_u32_e32 v14, -1, v12
	global_load_dwordx2 v[48:49], v[38:39], off
	global_load_dwordx2 v[50:51], v[46:47], off
	v_lshl_add_u64 v[46:47], v[14:15], 3, s[8:9]
	global_load_dwordx4 v[36:39], v[36:37], off
	v_add_u32_e32 v14, -6, v12
	v_lshl_add_u64 v[52:53], v[14:15], 3, s[8:9]
	global_load_dwordx2 v[54:55], v[46:47], off
	global_load_dwordx2 v[56:57], v[52:53], off
	;; [unrolled: 1-line block ×3, first 2 shown]
	v_add_u32_e32 v12, 0x300, v12
	s_waitcnt vmcnt(8)
	v_fmac_f64_e32 v[8:9], v[24:25], v[28:29]
	v_fmac_f64_e32 v[0:1], v[42:43], v[28:29]
	;; [unrolled: 1-line block ×4, first 2 shown]
	s_waitcnt vmcnt(7)
	v_fmac_f64_e32 v[8:9], v[20:21], v[32:33]
	v_fmac_f64_e32 v[8:9], v[22:23], v[34:35]
	s_waitcnt vmcnt(6)
	v_fmac_f64_e32 v[0:1], v[16:17], v[32:33]
	s_waitcnt vmcnt(5)
	;; [unrolled: 2-line block ×6, first 2 shown]
	v_fmac_f64_e32 v[0:1], v[58:59], v[38:39]
	s_andn2_b64 exec, exec, s[2:3]
	s_cbranch_execnz .LBB100_15
; %bb.16:
	s_or_b64 exec, exec, s[2:3]
.LBB100_17:
	s_or_b64 exec, exec, s[4:5]
.LBB100_18:
	v_mov_b32_dpp v10, v8 row_shr:1 row_mask:0xf bank_mask:0xf
	v_mov_b32_dpp v11, v9 row_shr:1 row_mask:0xf bank_mask:0xf
	;; [unrolled: 1-line block ×4, first 2 shown]
	v_add_f64 v[8:9], v[8:9], v[10:11]
	v_add_f64 v[0:1], v[0:1], v[12:13]
	v_cmp_eq_u32_e32 vcc, 63, v7
	v_mov_b32_dpp v10, v8 row_shr:2 row_mask:0xf bank_mask:0xf
	v_mov_b32_dpp v11, v9 row_shr:2 row_mask:0xf bank_mask:0xf
	v_mov_b32_dpp v12, v0 row_shr:2 row_mask:0xf bank_mask:0xf
	v_mov_b32_dpp v13, v1 row_shr:2 row_mask:0xf bank_mask:0xf
	v_add_f64 v[8:9], v[8:9], v[10:11]
	v_add_f64 v[0:1], v[0:1], v[12:13]
	s_nop 0
	v_mov_b32_dpp v10, v8 row_shr:4 row_mask:0xf bank_mask:0xe
	v_mov_b32_dpp v11, v9 row_shr:4 row_mask:0xf bank_mask:0xe
	v_mov_b32_dpp v12, v0 row_shr:4 row_mask:0xf bank_mask:0xe
	v_mov_b32_dpp v13, v1 row_shr:4 row_mask:0xf bank_mask:0xe
	v_add_f64 v[8:9], v[8:9], v[10:11]
	v_add_f64 v[0:1], v[0:1], v[12:13]
	s_nop 0
	v_mov_b32_dpp v10, v8 row_shr:8 row_mask:0xf bank_mask:0xc
	v_mov_b32_dpp v11, v9 row_shr:8 row_mask:0xf bank_mask:0xc
	v_mov_b32_dpp v12, v0 row_shr:8 row_mask:0xf bank_mask:0xc
	v_mov_b32_dpp v13, v1 row_shr:8 row_mask:0xf bank_mask:0xc
	v_add_f64 v[8:9], v[8:9], v[10:11]
	v_add_f64 v[0:1], v[0:1], v[12:13]
	s_nop 0
	v_mov_b32_dpp v10, v8 row_bcast:15 row_mask:0xa bank_mask:0xf
	v_mov_b32_dpp v11, v9 row_bcast:15 row_mask:0xa bank_mask:0xf
	;; [unrolled: 1-line block ×4, first 2 shown]
	v_add_f64 v[8:9], v[8:9], v[10:11]
	v_add_f64 v[0:1], v[0:1], v[12:13]
	s_nop 0
	v_mov_b32_dpp v10, v8 row_bcast:31 row_mask:0xc bank_mask:0xf
	v_mov_b32_dpp v11, v9 row_bcast:31 row_mask:0xc bank_mask:0xf
	;; [unrolled: 1-line block ×4, first 2 shown]
	s_and_b64 exec, exec, vcc
	s_cbranch_execz .LBB100_23
; %bb.19:
	s_load_dwordx2 s[0:1], s[0:1], 0x38
	v_add_f64 v[8:9], v[8:9], v[10:11]
	v_add_f64 v[0:1], v[0:1], v[12:13]
	v_cmp_eq_f64_e32 vcc, 0, v[4:5]
	s_and_saveexec_b64 s[2:3], vcc
	s_xor_b64 s[2:3], exec, s[2:3]
	s_cbranch_execz .LBB100_21
; %bb.20:
	v_lshlrev_b32_e32 v6, 1, v6
	v_ashrrev_i32_e32 v7, 31, v6
	v_mul_f64 v[4:5], v[2:3], v[8:9]
	s_waitcnt lgkmcnt(0)
	v_lshl_add_u64 v[8:9], v[6:7], 3, s[0:1]
	v_mul_f64 v[6:7], v[2:3], v[0:1]
	global_store_dwordx4 v[8:9], v[4:7], off
                                        ; implicit-def: $vgpr6
                                        ; implicit-def: $vgpr2_vgpr3
                                        ; implicit-def: $vgpr8_vgpr9
                                        ; implicit-def: $vgpr4_vgpr5
                                        ; implicit-def: $vgpr0_vgpr1
.LBB100_21:
	s_andn2_saveexec_b64 s[2:3], s[2:3]
	s_cbranch_execz .LBB100_23
; %bb.22:
	v_lshlrev_b32_e32 v6, 1, v6
	v_ashrrev_i32_e32 v7, 31, v6
	s_waitcnt lgkmcnt(0)
	v_lshl_add_u64 v[14:15], v[6:7], 3, s[0:1]
	global_load_dwordx4 v[10:13], v[14:15], off
	v_mul_f64 v[6:7], v[2:3], v[8:9]
	v_mul_f64 v[8:9], v[2:3], v[0:1]
	s_waitcnt vmcnt(0)
	v_fmac_f64_e32 v[6:7], v[4:5], v[10:11]
	v_fmac_f64_e32 v[8:9], v[4:5], v[12:13]
	global_store_dwordx4 v[14:15], v[6:9], off
.LBB100_23:
	s_endpgm
	.section	.rodata,"a",@progbits
	.p2align	6, 0x0
	.amdhsa_kernel _ZN9rocsparseL19gebsrmvn_2xn_kernelILj128ELj6ELj64EdEEvi20rocsparse_direction_NS_24const_host_device_scalarIT2_EEPKiS6_PKS3_S8_S4_PS3_21rocsparse_index_base_b
		.amdhsa_group_segment_fixed_size 0
		.amdhsa_private_segment_fixed_size 0
		.amdhsa_kernarg_size 72
		.amdhsa_user_sgpr_count 2
		.amdhsa_user_sgpr_dispatch_ptr 0
		.amdhsa_user_sgpr_queue_ptr 0
		.amdhsa_user_sgpr_kernarg_segment_ptr 1
		.amdhsa_user_sgpr_dispatch_id 0
		.amdhsa_user_sgpr_kernarg_preload_length 0
		.amdhsa_user_sgpr_kernarg_preload_offset 0
		.amdhsa_user_sgpr_private_segment_size 0
		.amdhsa_uses_dynamic_stack 0
		.amdhsa_enable_private_segment 0
		.amdhsa_system_sgpr_workgroup_id_x 1
		.amdhsa_system_sgpr_workgroup_id_y 0
		.amdhsa_system_sgpr_workgroup_id_z 0
		.amdhsa_system_sgpr_workgroup_info 0
		.amdhsa_system_vgpr_workitem_id 0
		.amdhsa_next_free_vgpr 60
		.amdhsa_next_free_sgpr 18
		.amdhsa_accum_offset 60
		.amdhsa_reserve_vcc 1
		.amdhsa_float_round_mode_32 0
		.amdhsa_float_round_mode_16_64 0
		.amdhsa_float_denorm_mode_32 3
		.amdhsa_float_denorm_mode_16_64 3
		.amdhsa_dx10_clamp 1
		.amdhsa_ieee_mode 1
		.amdhsa_fp16_overflow 0
		.amdhsa_tg_split 0
		.amdhsa_exception_fp_ieee_invalid_op 0
		.amdhsa_exception_fp_denorm_src 0
		.amdhsa_exception_fp_ieee_div_zero 0
		.amdhsa_exception_fp_ieee_overflow 0
		.amdhsa_exception_fp_ieee_underflow 0
		.amdhsa_exception_fp_ieee_inexact 0
		.amdhsa_exception_int_div_zero 0
	.end_amdhsa_kernel
	.section	.text._ZN9rocsparseL19gebsrmvn_2xn_kernelILj128ELj6ELj64EdEEvi20rocsparse_direction_NS_24const_host_device_scalarIT2_EEPKiS6_PKS3_S8_S4_PS3_21rocsparse_index_base_b,"axG",@progbits,_ZN9rocsparseL19gebsrmvn_2xn_kernelILj128ELj6ELj64EdEEvi20rocsparse_direction_NS_24const_host_device_scalarIT2_EEPKiS6_PKS3_S8_S4_PS3_21rocsparse_index_base_b,comdat
.Lfunc_end100:
	.size	_ZN9rocsparseL19gebsrmvn_2xn_kernelILj128ELj6ELj64EdEEvi20rocsparse_direction_NS_24const_host_device_scalarIT2_EEPKiS6_PKS3_S8_S4_PS3_21rocsparse_index_base_b, .Lfunc_end100-_ZN9rocsparseL19gebsrmvn_2xn_kernelILj128ELj6ELj64EdEEvi20rocsparse_direction_NS_24const_host_device_scalarIT2_EEPKiS6_PKS3_S8_S4_PS3_21rocsparse_index_base_b
                                        ; -- End function
	.section	.AMDGPU.csdata,"",@progbits
; Kernel info:
; codeLenInByte = 1492
; NumSgprs: 24
; NumVgprs: 60
; NumAgprs: 0
; TotalNumVgprs: 60
; ScratchSize: 0
; MemoryBound: 0
; FloatMode: 240
; IeeeMode: 1
; LDSByteSize: 0 bytes/workgroup (compile time only)
; SGPRBlocks: 2
; VGPRBlocks: 7
; NumSGPRsForWavesPerEU: 24
; NumVGPRsForWavesPerEU: 60
; AccumOffset: 60
; Occupancy: 8
; WaveLimiterHint : 1
; COMPUTE_PGM_RSRC2:SCRATCH_EN: 0
; COMPUTE_PGM_RSRC2:USER_SGPR: 2
; COMPUTE_PGM_RSRC2:TRAP_HANDLER: 0
; COMPUTE_PGM_RSRC2:TGID_X_EN: 1
; COMPUTE_PGM_RSRC2:TGID_Y_EN: 0
; COMPUTE_PGM_RSRC2:TGID_Z_EN: 0
; COMPUTE_PGM_RSRC2:TIDIG_COMP_CNT: 0
; COMPUTE_PGM_RSRC3_GFX90A:ACCUM_OFFSET: 14
; COMPUTE_PGM_RSRC3_GFX90A:TG_SPLIT: 0
	.section	.text._ZN9rocsparseL19gebsrmvn_2xn_kernelILj128ELj7ELj4EdEEvi20rocsparse_direction_NS_24const_host_device_scalarIT2_EEPKiS6_PKS3_S8_S4_PS3_21rocsparse_index_base_b,"axG",@progbits,_ZN9rocsparseL19gebsrmvn_2xn_kernelILj128ELj7ELj4EdEEvi20rocsparse_direction_NS_24const_host_device_scalarIT2_EEPKiS6_PKS3_S8_S4_PS3_21rocsparse_index_base_b,comdat
	.globl	_ZN9rocsparseL19gebsrmvn_2xn_kernelILj128ELj7ELj4EdEEvi20rocsparse_direction_NS_24const_host_device_scalarIT2_EEPKiS6_PKS3_S8_S4_PS3_21rocsparse_index_base_b ; -- Begin function _ZN9rocsparseL19gebsrmvn_2xn_kernelILj128ELj7ELj4EdEEvi20rocsparse_direction_NS_24const_host_device_scalarIT2_EEPKiS6_PKS3_S8_S4_PS3_21rocsparse_index_base_b
	.p2align	8
	.type	_ZN9rocsparseL19gebsrmvn_2xn_kernelILj128ELj7ELj4EdEEvi20rocsparse_direction_NS_24const_host_device_scalarIT2_EEPKiS6_PKS3_S8_S4_PS3_21rocsparse_index_base_b,@function
_ZN9rocsparseL19gebsrmvn_2xn_kernelILj128ELj7ELj4EdEEvi20rocsparse_direction_NS_24const_host_device_scalarIT2_EEPKiS6_PKS3_S8_S4_PS3_21rocsparse_index_base_b: ; @_ZN9rocsparseL19gebsrmvn_2xn_kernelILj128ELj7ELj4EdEEvi20rocsparse_direction_NS_24const_host_device_scalarIT2_EEPKiS6_PKS3_S8_S4_PS3_21rocsparse_index_base_b
; %bb.0:
	s_load_dwordx2 s[12:13], s[0:1], 0x40
	s_load_dwordx2 s[8:9], s[0:1], 0x8
	;; [unrolled: 1-line block ×3, first 2 shown]
	s_waitcnt lgkmcnt(0)
	s_bitcmp1_b32 s13, 0
	s_cselect_b64 s[10:11], -1, 0
	s_xor_b64 s[6:7], s[10:11], -1
	s_and_b64 vcc, exec, s[10:11]
	v_mov_b64_e32 v[2:3], s[8:9]
	s_cbranch_vccnz .LBB101_2
; %bb.1:
	v_mov_b64_e32 v[2:3], s[8:9]
	flat_load_dwordx2 v[2:3], v[2:3]
.LBB101_2:
	s_andn2_b64 vcc, exec, s[6:7]
	v_mov_b64_e32 v[4:5], s[4:5]
	s_cbranch_vccnz .LBB101_4
; %bb.3:
	v_mov_b64_e32 v[4:5], s[4:5]
	flat_load_dwordx2 v[4:5], v[4:5]
.LBB101_4:
	s_waitcnt vmcnt(0) lgkmcnt(0)
	v_cmp_neq_f64_e32 vcc, 0, v[2:3]
	v_cmp_neq_f64_e64 s[4:5], 1.0, v[4:5]
	s_or_b64 s[4:5], vcc, s[4:5]
	s_and_saveexec_b64 s[6:7], s[4:5]
	s_cbranch_execz .LBB101_23
; %bb.5:
	s_load_dwordx2 s[14:15], s[0:1], 0x0
	v_lshrrev_b32_e32 v1, 2, v0
	v_lshl_or_b32 v6, s2, 5, v1
	s_waitcnt lgkmcnt(0)
	v_cmp_gt_i32_e32 vcc, s14, v6
	s_and_b64 exec, exec, vcc
	s_cbranch_execz .LBB101_23
; %bb.6:
	s_load_dwordx8 s[4:11], s[0:1], 0x10
	v_ashrrev_i32_e32 v7, 31, v6
	s_cmp_lg_u32 s15, 0
	s_waitcnt lgkmcnt(0)
	v_lshl_add_u64 v[8:9], v[6:7], 2, s[4:5]
	global_load_dwordx2 v[8:9], v[8:9], off
	v_and_b32_e32 v7, 3, v0
	s_waitcnt vmcnt(0)
	v_subrev_u32_e32 v0, s12, v8
	v_subrev_u32_e32 v18, s12, v9
	v_add_u32_e32 v8, v0, v7
	v_cmp_lt_i32_e64 s[2:3], v8, v18
	s_cbranch_scc0 .LBB101_12
; %bb.7:
	v_mov_b64_e32 v[0:1], 0
	s_mov_b64 s[4:5], 0
	v_mov_b64_e32 v[10:11], v[0:1]
	s_and_saveexec_b64 s[14:15], s[2:3]
	s_cbranch_execz .LBB101_11
; %bb.8:
	v_mad_u64_u32 v[12:13], s[16:17], v8, 14, 12
	v_mov_b64_e32 v[0:1], 0
	s_mov_b64 s[16:17], 0
	v_mov_b32_e32 v15, 0
	v_mov_b32_e32 v16, v8
	v_mov_b64_e32 v[10:11], v[0:1]
.LBB101_9:                              ; =>This Inner Loop Header: Depth=1
	v_ashrrev_i32_e32 v17, 31, v16
	v_lshl_add_u64 v[20:21], v[16:17], 2, s[6:7]
	global_load_dword v9, v[20:21], off
	v_add_u32_e32 v14, -12, v12
	v_mov_b32_e32 v13, v15
	v_mov_b32_e32 v49, v15
	v_lshl_add_u64 v[20:21], v[14:15], 3, s[8:9]
	v_add_u32_e32 v14, -10, v12
	v_lshl_add_u64 v[32:33], v[12:13], 3, s[8:9]
	global_load_dwordx4 v[20:23], v[20:21], off
	v_lshl_add_u64 v[34:35], v[14:15], 3, s[8:9]
	global_load_dwordx4 v[24:27], v[32:33], off
	global_load_dwordx4 v[28:31], v[34:35], off
	v_add_u32_e32 v16, 4, v16
	v_cmp_ge_i32_e32 vcc, v16, v18
	s_or_b64 s[16:17], vcc, s[16:17]
	s_waitcnt vmcnt(3)
	v_subrev_u32_e32 v9, s12, v9
	v_mul_lo_u32 v48, v9, 7
	v_lshl_add_u64 v[32:33], v[48:49], 3, s[10:11]
	v_add_u32_e32 v14, 1, v48
	global_load_dwordx2 v[50:51], v[32:33], off
	v_lshl_add_u64 v[32:33], v[14:15], 3, s[10:11]
	v_add_u32_e32 v14, -8, v12
	global_load_dwordx2 v[52:53], v[32:33], off
	v_lshl_add_u64 v[32:33], v[14:15], 3, s[8:9]
	v_add_u32_e32 v14, 2, v48
	v_lshl_add_u64 v[36:37], v[14:15], 3, s[10:11]
	v_add_u32_e32 v14, -6, v12
	global_load_dwordx2 v[54:55], v[36:37], off
	v_lshl_add_u64 v[36:37], v[14:15], 3, s[8:9]
	v_add_u32_e32 v14, 3, v48
	v_lshl_add_u64 v[40:41], v[14:15], 3, s[10:11]
	v_add_u32_e32 v14, -4, v12
	global_load_dwordx2 v[56:57], v[40:41], off
	v_lshl_add_u64 v[40:41], v[14:15], 3, s[8:9]
	v_add_u32_e32 v14, 4, v48
	global_load_dwordx4 v[32:35], v[32:33], off
	v_lshl_add_u64 v[44:45], v[14:15], 3, s[10:11]
	v_add_u32_e32 v14, -2, v12
	global_load_dwordx4 v[36:39], v[36:37], off
	v_add_u32_e32 v12, 56, v12
	global_load_dwordx2 v[58:59], v[44:45], off
	v_lshl_add_u64 v[44:45], v[14:15], 3, s[8:9]
	v_add_u32_e32 v14, 5, v48
	global_load_dwordx4 v[40:43], v[40:41], off
	v_lshl_add_u64 v[60:61], v[14:15], 3, s[10:11]
	v_add_u32_e32 v14, 6, v48
	global_load_dwordx4 v[44:47], v[44:45], off
	s_waitcnt vmcnt(8)
	v_fmac_f64_e32 v[0:1], v[20:21], v[50:51]
	global_load_dwordx2 v[48:49], v[60:61], off
	v_lshl_add_u64 v[60:61], v[14:15], 3, s[10:11]
	global_load_dwordx2 v[60:61], v[60:61], off
	v_fmac_f64_e32 v[10:11], v[22:23], v[50:51]
	s_waitcnt vmcnt(9)
	v_fmac_f64_e32 v[0:1], v[28:29], v[52:53]
	v_fmac_f64_e32 v[10:11], v[30:31], v[52:53]
	s_waitcnt vmcnt(6)
	v_fmac_f64_e32 v[0:1], v[32:33], v[54:55]
	;; [unrolled: 3-line block ×6, first 2 shown]
	v_fmac_f64_e32 v[10:11], v[26:27], v[60:61]
	s_andn2_b64 exec, exec, s[16:17]
	s_cbranch_execnz .LBB101_9
; %bb.10:
	s_or_b64 exec, exec, s[16:17]
.LBB101_11:
	s_or_b64 exec, exec, s[14:15]
	s_andn2_b64 vcc, exec, s[4:5]
	s_cbranch_vccz .LBB101_13
	s_branch .LBB101_18
.LBB101_12:
                                        ; implicit-def: $vgpr0_vgpr1
                                        ; implicit-def: $vgpr10_vgpr11
.LBB101_13:
	v_mov_b64_e32 v[0:1], 0
	v_mov_b64_e32 v[10:11], v[0:1]
	s_and_saveexec_b64 s[4:5], s[2:3]
	s_cbranch_execz .LBB101_17
; %bb.14:
	v_mad_u64_u32 v[12:13], s[2:3], v8, 14, 13
	v_mov_b64_e32 v[0:1], 0
	s_mov_b64 s[2:3], 0
	v_mov_b32_e32 v15, 0
	v_mov_b64_e32 v[10:11], v[0:1]
.LBB101_15:                             ; =>This Inner Loop Header: Depth=1
	v_ashrrev_i32_e32 v9, 31, v8
	v_lshl_add_u64 v[16:17], v[8:9], 2, s[6:7]
	global_load_dword v9, v[16:17], off
	v_add_u32_e32 v14, -13, v12
	v_add_u32_e32 v16, -6, v12
	v_mov_b32_e32 v17, v15
	v_mov_b32_e32 v13, v15
	v_lshl_add_u64 v[26:27], v[14:15], 3, s[8:9]
	v_lshl_add_u64 v[16:17], v[16:17], 3, s[8:9]
	;; [unrolled: 1-line block ×3, first 2 shown]
	global_load_dwordx4 v[20:23], v[26:27], off
	global_load_dwordx2 v[30:31], v[16:17], off
	global_load_dwordx2 v[32:33], v[28:29], off
	v_mov_b32_e32 v25, v15
	v_add_u32_e32 v8, 4, v8
	v_cmp_ge_i32_e32 vcc, v8, v18
	s_or_b64 s[2:3], vcc, s[2:3]
	s_waitcnt vmcnt(3)
	v_subrev_u32_e32 v9, s12, v9
	v_mul_lo_u32 v24, v9, 7
	v_add_u32_e32 v14, 1, v24
	v_lshl_add_u64 v[26:27], v[14:15], 3, s[10:11]
	v_add_u32_e32 v14, -5, v12
	v_lshl_add_u64 v[28:29], v[14:15], 3, s[8:9]
	v_add_u32_e32 v14, -11, v12
	v_lshl_add_u64 v[16:17], v[24:25], 3, s[10:11]
	v_lshl_add_u64 v[34:35], v[14:15], 3, s[8:9]
	v_add_u32_e32 v14, 2, v24
	global_load_dwordx2 v[16:17], v[16:17], off
	s_nop 0
	global_load_dwordx2 v[26:27], v[26:27], off
	s_nop 0
	global_load_dwordx2 v[36:37], v[28:29], off
	global_load_dwordx2 v[38:39], v[34:35], off
	v_lshl_add_u64 v[28:29], v[14:15], 3, s[10:11]
	v_add_u32_e32 v14, -4, v12
	v_lshl_add_u64 v[34:35], v[14:15], 3, s[8:9]
	v_add_u32_e32 v14, -10, v12
	v_lshl_add_u64 v[40:41], v[14:15], 3, s[8:9]
	v_add_u32_e32 v14, 3, v24
	global_load_dwordx2 v[28:29], v[28:29], off
	s_nop 0
	global_load_dwordx2 v[42:43], v[34:35], off
	global_load_dwordx2 v[44:45], v[40:41], off
	v_lshl_add_u64 v[34:35], v[14:15], 3, s[10:11]
	v_add_u32_e32 v14, -3, v12
	v_lshl_add_u64 v[40:41], v[14:15], 3, s[8:9]
	v_add_u32_e32 v14, -9, v12
	v_lshl_add_u64 v[46:47], v[14:15], 3, s[8:9]
	v_add_u32_e32 v14, 4, v24
	;; [unrolled: 10-line block ×4, first 2 shown]
	global_load_dwordx2 v[46:47], v[46:47], off
	s_nop 0
	global_load_dwordx2 v[24:25], v[52:53], off
	global_load_dwordx2 v[60:61], v[58:59], off
	v_lshl_add_u64 v[52:53], v[14:15], 3, s[10:11]
	global_load_dwordx2 v[52:53], v[52:53], off
	v_add_u32_e32 v12, 56, v12
	s_waitcnt vmcnt(16)
	v_fmac_f64_e32 v[0:1], v[20:21], v[16:17]
	v_fmac_f64_e32 v[10:11], v[30:31], v[16:17]
	s_waitcnt vmcnt(15)
	v_fmac_f64_e32 v[0:1], v[22:23], v[26:27]
	s_waitcnt vmcnt(14)
	;; [unrolled: 2-line block ×11, first 2 shown]
	v_fmac_f64_e32 v[0:1], v[60:61], v[52:53]
	v_fmac_f64_e32 v[10:11], v[32:33], v[52:53]
	s_andn2_b64 exec, exec, s[2:3]
	s_cbranch_execnz .LBB101_15
; %bb.16:
	s_or_b64 exec, exec, s[2:3]
.LBB101_17:
	s_or_b64 exec, exec, s[4:5]
.LBB101_18:
	v_mov_b32_dpp v8, v0 row_shr:1 row_mask:0xf bank_mask:0xf
	v_mov_b32_dpp v9, v1 row_shr:1 row_mask:0xf bank_mask:0xf
	;; [unrolled: 1-line block ×4, first 2 shown]
	v_add_f64 v[0:1], v[0:1], v[8:9]
	v_add_f64 v[10:11], v[10:11], v[12:13]
	v_cmp_eq_u32_e32 vcc, 3, v7
	v_mov_b32_dpp v8, v0 row_shr:2 row_mask:0xf bank_mask:0xf
	v_mov_b32_dpp v9, v1 row_shr:2 row_mask:0xf bank_mask:0xf
	;; [unrolled: 1-line block ×4, first 2 shown]
	s_and_b64 exec, exec, vcc
	s_cbranch_execz .LBB101_23
; %bb.19:
	s_load_dwordx2 s[0:1], s[0:1], 0x38
	v_add_f64 v[8:9], v[0:1], v[8:9]
	v_add_f64 v[0:1], v[10:11], v[12:13]
	v_cmp_eq_f64_e32 vcc, 0, v[4:5]
	s_and_saveexec_b64 s[2:3], vcc
	s_xor_b64 s[2:3], exec, s[2:3]
	s_cbranch_execz .LBB101_21
; %bb.20:
	v_lshlrev_b32_e32 v6, 1, v6
	v_ashrrev_i32_e32 v7, 31, v6
	v_mul_f64 v[4:5], v[2:3], v[8:9]
	s_waitcnt lgkmcnt(0)
	v_lshl_add_u64 v[8:9], v[6:7], 3, s[0:1]
	v_mul_f64 v[6:7], v[2:3], v[0:1]
	global_store_dwordx4 v[8:9], v[4:7], off
                                        ; implicit-def: $vgpr6
                                        ; implicit-def: $vgpr2_vgpr3
                                        ; implicit-def: $vgpr8_vgpr9
                                        ; implicit-def: $vgpr4_vgpr5
                                        ; implicit-def: $vgpr0_vgpr1
.LBB101_21:
	s_andn2_saveexec_b64 s[2:3], s[2:3]
	s_cbranch_execz .LBB101_23
; %bb.22:
	v_lshlrev_b32_e32 v6, 1, v6
	v_ashrrev_i32_e32 v7, 31, v6
	s_waitcnt lgkmcnt(0)
	v_lshl_add_u64 v[14:15], v[6:7], 3, s[0:1]
	global_load_dwordx4 v[10:13], v[14:15], off
	v_mul_f64 v[6:7], v[2:3], v[8:9]
	v_mul_f64 v[8:9], v[2:3], v[0:1]
	s_waitcnt vmcnt(0)
	v_fmac_f64_e32 v[6:7], v[4:5], v[10:11]
	v_fmac_f64_e32 v[8:9], v[4:5], v[12:13]
	global_store_dwordx4 v[14:15], v[6:9], off
.LBB101_23:
	s_endpgm
	.section	.rodata,"a",@progbits
	.p2align	6, 0x0
	.amdhsa_kernel _ZN9rocsparseL19gebsrmvn_2xn_kernelILj128ELj7ELj4EdEEvi20rocsparse_direction_NS_24const_host_device_scalarIT2_EEPKiS6_PKS3_S8_S4_PS3_21rocsparse_index_base_b
		.amdhsa_group_segment_fixed_size 0
		.amdhsa_private_segment_fixed_size 0
		.amdhsa_kernarg_size 72
		.amdhsa_user_sgpr_count 2
		.amdhsa_user_sgpr_dispatch_ptr 0
		.amdhsa_user_sgpr_queue_ptr 0
		.amdhsa_user_sgpr_kernarg_segment_ptr 1
		.amdhsa_user_sgpr_dispatch_id 0
		.amdhsa_user_sgpr_kernarg_preload_length 0
		.amdhsa_user_sgpr_kernarg_preload_offset 0
		.amdhsa_user_sgpr_private_segment_size 0
		.amdhsa_uses_dynamic_stack 0
		.amdhsa_enable_private_segment 0
		.amdhsa_system_sgpr_workgroup_id_x 1
		.amdhsa_system_sgpr_workgroup_id_y 0
		.amdhsa_system_sgpr_workgroup_id_z 0
		.amdhsa_system_sgpr_workgroup_info 0
		.amdhsa_system_vgpr_workitem_id 0
		.amdhsa_next_free_vgpr 62
		.amdhsa_next_free_sgpr 18
		.amdhsa_accum_offset 64
		.amdhsa_reserve_vcc 1
		.amdhsa_float_round_mode_32 0
		.amdhsa_float_round_mode_16_64 0
		.amdhsa_float_denorm_mode_32 3
		.amdhsa_float_denorm_mode_16_64 3
		.amdhsa_dx10_clamp 1
		.amdhsa_ieee_mode 1
		.amdhsa_fp16_overflow 0
		.amdhsa_tg_split 0
		.amdhsa_exception_fp_ieee_invalid_op 0
		.amdhsa_exception_fp_denorm_src 0
		.amdhsa_exception_fp_ieee_div_zero 0
		.amdhsa_exception_fp_ieee_overflow 0
		.amdhsa_exception_fp_ieee_underflow 0
		.amdhsa_exception_fp_ieee_inexact 0
		.amdhsa_exception_int_div_zero 0
	.end_amdhsa_kernel
	.section	.text._ZN9rocsparseL19gebsrmvn_2xn_kernelILj128ELj7ELj4EdEEvi20rocsparse_direction_NS_24const_host_device_scalarIT2_EEPKiS6_PKS3_S8_S4_PS3_21rocsparse_index_base_b,"axG",@progbits,_ZN9rocsparseL19gebsrmvn_2xn_kernelILj128ELj7ELj4EdEEvi20rocsparse_direction_NS_24const_host_device_scalarIT2_EEPKiS6_PKS3_S8_S4_PS3_21rocsparse_index_base_b,comdat
.Lfunc_end101:
	.size	_ZN9rocsparseL19gebsrmvn_2xn_kernelILj128ELj7ELj4EdEEvi20rocsparse_direction_NS_24const_host_device_scalarIT2_EEPKiS6_PKS3_S8_S4_PS3_21rocsparse_index_base_b, .Lfunc_end101-_ZN9rocsparseL19gebsrmvn_2xn_kernelILj128ELj7ELj4EdEEvi20rocsparse_direction_NS_24const_host_device_scalarIT2_EEPKiS6_PKS3_S8_S4_PS3_21rocsparse_index_base_b
                                        ; -- End function
	.section	.AMDGPU.csdata,"",@progbits
; Kernel info:
; codeLenInByte = 1604
; NumSgprs: 24
; NumVgprs: 62
; NumAgprs: 0
; TotalNumVgprs: 62
; ScratchSize: 0
; MemoryBound: 0
; FloatMode: 240
; IeeeMode: 1
; LDSByteSize: 0 bytes/workgroup (compile time only)
; SGPRBlocks: 2
; VGPRBlocks: 7
; NumSGPRsForWavesPerEU: 24
; NumVGPRsForWavesPerEU: 62
; AccumOffset: 64
; Occupancy: 8
; WaveLimiterHint : 1
; COMPUTE_PGM_RSRC2:SCRATCH_EN: 0
; COMPUTE_PGM_RSRC2:USER_SGPR: 2
; COMPUTE_PGM_RSRC2:TRAP_HANDLER: 0
; COMPUTE_PGM_RSRC2:TGID_X_EN: 1
; COMPUTE_PGM_RSRC2:TGID_Y_EN: 0
; COMPUTE_PGM_RSRC2:TGID_Z_EN: 0
; COMPUTE_PGM_RSRC2:TIDIG_COMP_CNT: 0
; COMPUTE_PGM_RSRC3_GFX90A:ACCUM_OFFSET: 15
; COMPUTE_PGM_RSRC3_GFX90A:TG_SPLIT: 0
	.section	.text._ZN9rocsparseL19gebsrmvn_2xn_kernelILj128ELj7ELj8EdEEvi20rocsparse_direction_NS_24const_host_device_scalarIT2_EEPKiS6_PKS3_S8_S4_PS3_21rocsparse_index_base_b,"axG",@progbits,_ZN9rocsparseL19gebsrmvn_2xn_kernelILj128ELj7ELj8EdEEvi20rocsparse_direction_NS_24const_host_device_scalarIT2_EEPKiS6_PKS3_S8_S4_PS3_21rocsparse_index_base_b,comdat
	.globl	_ZN9rocsparseL19gebsrmvn_2xn_kernelILj128ELj7ELj8EdEEvi20rocsparse_direction_NS_24const_host_device_scalarIT2_EEPKiS6_PKS3_S8_S4_PS3_21rocsparse_index_base_b ; -- Begin function _ZN9rocsparseL19gebsrmvn_2xn_kernelILj128ELj7ELj8EdEEvi20rocsparse_direction_NS_24const_host_device_scalarIT2_EEPKiS6_PKS3_S8_S4_PS3_21rocsparse_index_base_b
	.p2align	8
	.type	_ZN9rocsparseL19gebsrmvn_2xn_kernelILj128ELj7ELj8EdEEvi20rocsparse_direction_NS_24const_host_device_scalarIT2_EEPKiS6_PKS3_S8_S4_PS3_21rocsparse_index_base_b,@function
_ZN9rocsparseL19gebsrmvn_2xn_kernelILj128ELj7ELj8EdEEvi20rocsparse_direction_NS_24const_host_device_scalarIT2_EEPKiS6_PKS3_S8_S4_PS3_21rocsparse_index_base_b: ; @_ZN9rocsparseL19gebsrmvn_2xn_kernelILj128ELj7ELj8EdEEvi20rocsparse_direction_NS_24const_host_device_scalarIT2_EEPKiS6_PKS3_S8_S4_PS3_21rocsparse_index_base_b
; %bb.0:
	s_load_dwordx2 s[12:13], s[0:1], 0x40
	s_load_dwordx2 s[8:9], s[0:1], 0x8
	;; [unrolled: 1-line block ×3, first 2 shown]
	s_waitcnt lgkmcnt(0)
	s_bitcmp1_b32 s13, 0
	s_cselect_b64 s[10:11], -1, 0
	s_xor_b64 s[6:7], s[10:11], -1
	s_and_b64 vcc, exec, s[10:11]
	v_mov_b64_e32 v[2:3], s[8:9]
	s_cbranch_vccnz .LBB102_2
; %bb.1:
	v_mov_b64_e32 v[2:3], s[8:9]
	flat_load_dwordx2 v[2:3], v[2:3]
.LBB102_2:
	s_andn2_b64 vcc, exec, s[6:7]
	v_mov_b64_e32 v[4:5], s[4:5]
	s_cbranch_vccnz .LBB102_4
; %bb.3:
	v_mov_b64_e32 v[4:5], s[4:5]
	flat_load_dwordx2 v[4:5], v[4:5]
.LBB102_4:
	s_waitcnt vmcnt(0) lgkmcnt(0)
	v_cmp_neq_f64_e32 vcc, 0, v[2:3]
	v_cmp_neq_f64_e64 s[4:5], 1.0, v[4:5]
	s_or_b64 s[4:5], vcc, s[4:5]
	s_and_saveexec_b64 s[6:7], s[4:5]
	s_cbranch_execz .LBB102_23
; %bb.5:
	s_load_dwordx2 s[14:15], s[0:1], 0x0
	v_lshrrev_b32_e32 v1, 3, v0
	v_lshl_or_b32 v6, s2, 4, v1
	s_waitcnt lgkmcnt(0)
	v_cmp_gt_i32_e32 vcc, s14, v6
	s_and_b64 exec, exec, vcc
	s_cbranch_execz .LBB102_23
; %bb.6:
	s_load_dwordx8 s[4:11], s[0:1], 0x10
	v_ashrrev_i32_e32 v7, 31, v6
	s_cmp_lg_u32 s15, 0
	s_waitcnt lgkmcnt(0)
	v_lshl_add_u64 v[8:9], v[6:7], 2, s[4:5]
	global_load_dwordx2 v[8:9], v[8:9], off
	v_and_b32_e32 v7, 7, v0
	s_waitcnt vmcnt(0)
	v_subrev_u32_e32 v0, s12, v8
	v_subrev_u32_e32 v18, s12, v9
	v_add_u32_e32 v8, v0, v7
	v_cmp_lt_i32_e64 s[2:3], v8, v18
	s_cbranch_scc0 .LBB102_12
; %bb.7:
	v_mov_b64_e32 v[0:1], 0
	s_mov_b64 s[4:5], 0
	v_mov_b64_e32 v[10:11], v[0:1]
	s_and_saveexec_b64 s[14:15], s[2:3]
	s_cbranch_execz .LBB102_11
; %bb.8:
	v_mad_u64_u32 v[12:13], s[16:17], v8, 14, 12
	v_mov_b64_e32 v[0:1], 0
	s_mov_b64 s[16:17], 0
	v_mov_b32_e32 v15, 0
	v_mov_b32_e32 v16, v8
	v_mov_b64_e32 v[10:11], v[0:1]
.LBB102_9:                              ; =>This Inner Loop Header: Depth=1
	v_ashrrev_i32_e32 v17, 31, v16
	v_lshl_add_u64 v[20:21], v[16:17], 2, s[6:7]
	global_load_dword v9, v[20:21], off
	v_add_u32_e32 v14, -12, v12
	v_mov_b32_e32 v13, v15
	v_mov_b32_e32 v49, v15
	v_lshl_add_u64 v[20:21], v[14:15], 3, s[8:9]
	v_add_u32_e32 v14, -10, v12
	v_lshl_add_u64 v[32:33], v[12:13], 3, s[8:9]
	global_load_dwordx4 v[20:23], v[20:21], off
	v_lshl_add_u64 v[34:35], v[14:15], 3, s[8:9]
	global_load_dwordx4 v[24:27], v[32:33], off
	global_load_dwordx4 v[28:31], v[34:35], off
	v_add_u32_e32 v16, 8, v16
	v_cmp_ge_i32_e32 vcc, v16, v18
	s_or_b64 s[16:17], vcc, s[16:17]
	s_waitcnt vmcnt(3)
	v_subrev_u32_e32 v9, s12, v9
	v_mul_lo_u32 v48, v9, 7
	v_lshl_add_u64 v[32:33], v[48:49], 3, s[10:11]
	v_add_u32_e32 v14, 1, v48
	global_load_dwordx2 v[50:51], v[32:33], off
	v_lshl_add_u64 v[32:33], v[14:15], 3, s[10:11]
	v_add_u32_e32 v14, -8, v12
	global_load_dwordx2 v[52:53], v[32:33], off
	v_lshl_add_u64 v[32:33], v[14:15], 3, s[8:9]
	v_add_u32_e32 v14, 2, v48
	v_lshl_add_u64 v[36:37], v[14:15], 3, s[10:11]
	v_add_u32_e32 v14, -6, v12
	global_load_dwordx2 v[54:55], v[36:37], off
	v_lshl_add_u64 v[36:37], v[14:15], 3, s[8:9]
	v_add_u32_e32 v14, 3, v48
	;; [unrolled: 5-line block ×3, first 2 shown]
	global_load_dwordx4 v[32:35], v[32:33], off
	v_lshl_add_u64 v[44:45], v[14:15], 3, s[10:11]
	v_add_u32_e32 v14, -2, v12
	global_load_dwordx4 v[36:39], v[36:37], off
	v_add_u32_e32 v12, 0x70, v12
	global_load_dwordx2 v[58:59], v[44:45], off
	v_lshl_add_u64 v[44:45], v[14:15], 3, s[8:9]
	v_add_u32_e32 v14, 5, v48
	global_load_dwordx4 v[40:43], v[40:41], off
	v_lshl_add_u64 v[60:61], v[14:15], 3, s[10:11]
	v_add_u32_e32 v14, 6, v48
	global_load_dwordx4 v[44:47], v[44:45], off
	s_waitcnt vmcnt(8)
	v_fmac_f64_e32 v[0:1], v[20:21], v[50:51]
	global_load_dwordx2 v[48:49], v[60:61], off
	v_lshl_add_u64 v[60:61], v[14:15], 3, s[10:11]
	global_load_dwordx2 v[60:61], v[60:61], off
	v_fmac_f64_e32 v[10:11], v[22:23], v[50:51]
	s_waitcnt vmcnt(9)
	v_fmac_f64_e32 v[0:1], v[28:29], v[52:53]
	v_fmac_f64_e32 v[10:11], v[30:31], v[52:53]
	s_waitcnt vmcnt(6)
	v_fmac_f64_e32 v[0:1], v[32:33], v[54:55]
	;; [unrolled: 3-line block ×6, first 2 shown]
	v_fmac_f64_e32 v[10:11], v[26:27], v[60:61]
	s_andn2_b64 exec, exec, s[16:17]
	s_cbranch_execnz .LBB102_9
; %bb.10:
	s_or_b64 exec, exec, s[16:17]
.LBB102_11:
	s_or_b64 exec, exec, s[14:15]
	s_andn2_b64 vcc, exec, s[4:5]
	s_cbranch_vccz .LBB102_13
	s_branch .LBB102_18
.LBB102_12:
                                        ; implicit-def: $vgpr0_vgpr1
                                        ; implicit-def: $vgpr10_vgpr11
.LBB102_13:
	v_mov_b64_e32 v[0:1], 0
	v_mov_b64_e32 v[10:11], v[0:1]
	s_and_saveexec_b64 s[4:5], s[2:3]
	s_cbranch_execz .LBB102_17
; %bb.14:
	v_mad_u64_u32 v[12:13], s[2:3], v8, 14, 13
	v_mov_b64_e32 v[0:1], 0
	s_mov_b64 s[2:3], 0
	v_mov_b32_e32 v15, 0
	v_mov_b64_e32 v[10:11], v[0:1]
.LBB102_15:                             ; =>This Inner Loop Header: Depth=1
	v_ashrrev_i32_e32 v9, 31, v8
	v_lshl_add_u64 v[16:17], v[8:9], 2, s[6:7]
	global_load_dword v9, v[16:17], off
	v_add_u32_e32 v14, -13, v12
	v_add_u32_e32 v16, -6, v12
	v_mov_b32_e32 v17, v15
	v_mov_b32_e32 v13, v15
	v_lshl_add_u64 v[26:27], v[14:15], 3, s[8:9]
	v_lshl_add_u64 v[16:17], v[16:17], 3, s[8:9]
	;; [unrolled: 1-line block ×3, first 2 shown]
	global_load_dwordx4 v[20:23], v[26:27], off
	global_load_dwordx2 v[30:31], v[16:17], off
	global_load_dwordx2 v[32:33], v[28:29], off
	v_mov_b32_e32 v25, v15
	v_add_u32_e32 v8, 8, v8
	v_cmp_ge_i32_e32 vcc, v8, v18
	s_or_b64 s[2:3], vcc, s[2:3]
	s_waitcnt vmcnt(3)
	v_subrev_u32_e32 v9, s12, v9
	v_mul_lo_u32 v24, v9, 7
	v_add_u32_e32 v14, 1, v24
	v_lshl_add_u64 v[26:27], v[14:15], 3, s[10:11]
	v_add_u32_e32 v14, -5, v12
	v_lshl_add_u64 v[28:29], v[14:15], 3, s[8:9]
	v_add_u32_e32 v14, -11, v12
	v_lshl_add_u64 v[16:17], v[24:25], 3, s[10:11]
	v_lshl_add_u64 v[34:35], v[14:15], 3, s[8:9]
	v_add_u32_e32 v14, 2, v24
	global_load_dwordx2 v[16:17], v[16:17], off
	s_nop 0
	global_load_dwordx2 v[26:27], v[26:27], off
	s_nop 0
	global_load_dwordx2 v[36:37], v[28:29], off
	global_load_dwordx2 v[38:39], v[34:35], off
	v_lshl_add_u64 v[28:29], v[14:15], 3, s[10:11]
	v_add_u32_e32 v14, -4, v12
	v_lshl_add_u64 v[34:35], v[14:15], 3, s[8:9]
	v_add_u32_e32 v14, -10, v12
	v_lshl_add_u64 v[40:41], v[14:15], 3, s[8:9]
	v_add_u32_e32 v14, 3, v24
	global_load_dwordx2 v[28:29], v[28:29], off
	s_nop 0
	global_load_dwordx2 v[42:43], v[34:35], off
	global_load_dwordx2 v[44:45], v[40:41], off
	v_lshl_add_u64 v[34:35], v[14:15], 3, s[10:11]
	v_add_u32_e32 v14, -3, v12
	v_lshl_add_u64 v[40:41], v[14:15], 3, s[8:9]
	v_add_u32_e32 v14, -9, v12
	v_lshl_add_u64 v[46:47], v[14:15], 3, s[8:9]
	v_add_u32_e32 v14, 4, v24
	;; [unrolled: 10-line block ×4, first 2 shown]
	global_load_dwordx2 v[46:47], v[46:47], off
	s_nop 0
	global_load_dwordx2 v[24:25], v[52:53], off
	global_load_dwordx2 v[60:61], v[58:59], off
	v_lshl_add_u64 v[52:53], v[14:15], 3, s[10:11]
	global_load_dwordx2 v[52:53], v[52:53], off
	v_add_u32_e32 v12, 0x70, v12
	s_waitcnt vmcnt(16)
	v_fmac_f64_e32 v[0:1], v[20:21], v[16:17]
	v_fmac_f64_e32 v[10:11], v[30:31], v[16:17]
	s_waitcnt vmcnt(15)
	v_fmac_f64_e32 v[0:1], v[22:23], v[26:27]
	s_waitcnt vmcnt(14)
	;; [unrolled: 2-line block ×11, first 2 shown]
	v_fmac_f64_e32 v[0:1], v[60:61], v[52:53]
	v_fmac_f64_e32 v[10:11], v[32:33], v[52:53]
	s_andn2_b64 exec, exec, s[2:3]
	s_cbranch_execnz .LBB102_15
; %bb.16:
	s_or_b64 exec, exec, s[2:3]
.LBB102_17:
	s_or_b64 exec, exec, s[4:5]
.LBB102_18:
	v_mov_b32_dpp v8, v0 row_shr:1 row_mask:0xf bank_mask:0xf
	v_mov_b32_dpp v9, v1 row_shr:1 row_mask:0xf bank_mask:0xf
	;; [unrolled: 1-line block ×4, first 2 shown]
	v_add_f64 v[0:1], v[0:1], v[8:9]
	v_add_f64 v[10:11], v[10:11], v[12:13]
	v_cmp_eq_u32_e32 vcc, 7, v7
	v_mov_b32_dpp v8, v0 row_shr:2 row_mask:0xf bank_mask:0xf
	v_mov_b32_dpp v9, v1 row_shr:2 row_mask:0xf bank_mask:0xf
	;; [unrolled: 1-line block ×4, first 2 shown]
	v_add_f64 v[0:1], v[0:1], v[8:9]
	v_add_f64 v[10:11], v[10:11], v[12:13]
	s_nop 0
	v_mov_b32_dpp v8, v0 row_shr:4 row_mask:0xf bank_mask:0xe
	v_mov_b32_dpp v9, v1 row_shr:4 row_mask:0xf bank_mask:0xe
	;; [unrolled: 1-line block ×4, first 2 shown]
	s_and_b64 exec, exec, vcc
	s_cbranch_execz .LBB102_23
; %bb.19:
	s_load_dwordx2 s[0:1], s[0:1], 0x38
	v_add_f64 v[8:9], v[0:1], v[8:9]
	v_add_f64 v[0:1], v[10:11], v[12:13]
	v_cmp_eq_f64_e32 vcc, 0, v[4:5]
	s_and_saveexec_b64 s[2:3], vcc
	s_xor_b64 s[2:3], exec, s[2:3]
	s_cbranch_execz .LBB102_21
; %bb.20:
	v_lshlrev_b32_e32 v6, 1, v6
	v_ashrrev_i32_e32 v7, 31, v6
	v_mul_f64 v[4:5], v[2:3], v[8:9]
	s_waitcnt lgkmcnt(0)
	v_lshl_add_u64 v[8:9], v[6:7], 3, s[0:1]
	v_mul_f64 v[6:7], v[2:3], v[0:1]
	global_store_dwordx4 v[8:9], v[4:7], off
                                        ; implicit-def: $vgpr6
                                        ; implicit-def: $vgpr2_vgpr3
                                        ; implicit-def: $vgpr8_vgpr9
                                        ; implicit-def: $vgpr4_vgpr5
                                        ; implicit-def: $vgpr0_vgpr1
.LBB102_21:
	s_andn2_saveexec_b64 s[2:3], s[2:3]
	s_cbranch_execz .LBB102_23
; %bb.22:
	v_lshlrev_b32_e32 v6, 1, v6
	v_ashrrev_i32_e32 v7, 31, v6
	s_waitcnt lgkmcnt(0)
	v_lshl_add_u64 v[14:15], v[6:7], 3, s[0:1]
	global_load_dwordx4 v[10:13], v[14:15], off
	v_mul_f64 v[6:7], v[2:3], v[8:9]
	v_mul_f64 v[8:9], v[2:3], v[0:1]
	s_waitcnt vmcnt(0)
	v_fmac_f64_e32 v[6:7], v[4:5], v[10:11]
	v_fmac_f64_e32 v[8:9], v[4:5], v[12:13]
	global_store_dwordx4 v[14:15], v[6:9], off
.LBB102_23:
	s_endpgm
	.section	.rodata,"a",@progbits
	.p2align	6, 0x0
	.amdhsa_kernel _ZN9rocsparseL19gebsrmvn_2xn_kernelILj128ELj7ELj8EdEEvi20rocsparse_direction_NS_24const_host_device_scalarIT2_EEPKiS6_PKS3_S8_S4_PS3_21rocsparse_index_base_b
		.amdhsa_group_segment_fixed_size 0
		.amdhsa_private_segment_fixed_size 0
		.amdhsa_kernarg_size 72
		.amdhsa_user_sgpr_count 2
		.amdhsa_user_sgpr_dispatch_ptr 0
		.amdhsa_user_sgpr_queue_ptr 0
		.amdhsa_user_sgpr_kernarg_segment_ptr 1
		.amdhsa_user_sgpr_dispatch_id 0
		.amdhsa_user_sgpr_kernarg_preload_length 0
		.amdhsa_user_sgpr_kernarg_preload_offset 0
		.amdhsa_user_sgpr_private_segment_size 0
		.amdhsa_uses_dynamic_stack 0
		.amdhsa_enable_private_segment 0
		.amdhsa_system_sgpr_workgroup_id_x 1
		.amdhsa_system_sgpr_workgroup_id_y 0
		.amdhsa_system_sgpr_workgroup_id_z 0
		.amdhsa_system_sgpr_workgroup_info 0
		.amdhsa_system_vgpr_workitem_id 0
		.amdhsa_next_free_vgpr 62
		.amdhsa_next_free_sgpr 18
		.amdhsa_accum_offset 64
		.amdhsa_reserve_vcc 1
		.amdhsa_float_round_mode_32 0
		.amdhsa_float_round_mode_16_64 0
		.amdhsa_float_denorm_mode_32 3
		.amdhsa_float_denorm_mode_16_64 3
		.amdhsa_dx10_clamp 1
		.amdhsa_ieee_mode 1
		.amdhsa_fp16_overflow 0
		.amdhsa_tg_split 0
		.amdhsa_exception_fp_ieee_invalid_op 0
		.amdhsa_exception_fp_denorm_src 0
		.amdhsa_exception_fp_ieee_div_zero 0
		.amdhsa_exception_fp_ieee_overflow 0
		.amdhsa_exception_fp_ieee_underflow 0
		.amdhsa_exception_fp_ieee_inexact 0
		.amdhsa_exception_int_div_zero 0
	.end_amdhsa_kernel
	.section	.text._ZN9rocsparseL19gebsrmvn_2xn_kernelILj128ELj7ELj8EdEEvi20rocsparse_direction_NS_24const_host_device_scalarIT2_EEPKiS6_PKS3_S8_S4_PS3_21rocsparse_index_base_b,"axG",@progbits,_ZN9rocsparseL19gebsrmvn_2xn_kernelILj128ELj7ELj8EdEEvi20rocsparse_direction_NS_24const_host_device_scalarIT2_EEPKiS6_PKS3_S8_S4_PS3_21rocsparse_index_base_b,comdat
.Lfunc_end102:
	.size	_ZN9rocsparseL19gebsrmvn_2xn_kernelILj128ELj7ELj8EdEEvi20rocsparse_direction_NS_24const_host_device_scalarIT2_EEPKiS6_PKS3_S8_S4_PS3_21rocsparse_index_base_b, .Lfunc_end102-_ZN9rocsparseL19gebsrmvn_2xn_kernelILj128ELj7ELj8EdEEvi20rocsparse_direction_NS_24const_host_device_scalarIT2_EEPKiS6_PKS3_S8_S4_PS3_21rocsparse_index_base_b
                                        ; -- End function
	.section	.AMDGPU.csdata,"",@progbits
; Kernel info:
; codeLenInByte = 1664
; NumSgprs: 24
; NumVgprs: 62
; NumAgprs: 0
; TotalNumVgprs: 62
; ScratchSize: 0
; MemoryBound: 0
; FloatMode: 240
; IeeeMode: 1
; LDSByteSize: 0 bytes/workgroup (compile time only)
; SGPRBlocks: 2
; VGPRBlocks: 7
; NumSGPRsForWavesPerEU: 24
; NumVGPRsForWavesPerEU: 62
; AccumOffset: 64
; Occupancy: 8
; WaveLimiterHint : 1
; COMPUTE_PGM_RSRC2:SCRATCH_EN: 0
; COMPUTE_PGM_RSRC2:USER_SGPR: 2
; COMPUTE_PGM_RSRC2:TRAP_HANDLER: 0
; COMPUTE_PGM_RSRC2:TGID_X_EN: 1
; COMPUTE_PGM_RSRC2:TGID_Y_EN: 0
; COMPUTE_PGM_RSRC2:TGID_Z_EN: 0
; COMPUTE_PGM_RSRC2:TIDIG_COMP_CNT: 0
; COMPUTE_PGM_RSRC3_GFX90A:ACCUM_OFFSET: 15
; COMPUTE_PGM_RSRC3_GFX90A:TG_SPLIT: 0
	.section	.text._ZN9rocsparseL19gebsrmvn_2xn_kernelILj128ELj7ELj16EdEEvi20rocsparse_direction_NS_24const_host_device_scalarIT2_EEPKiS6_PKS3_S8_S4_PS3_21rocsparse_index_base_b,"axG",@progbits,_ZN9rocsparseL19gebsrmvn_2xn_kernelILj128ELj7ELj16EdEEvi20rocsparse_direction_NS_24const_host_device_scalarIT2_EEPKiS6_PKS3_S8_S4_PS3_21rocsparse_index_base_b,comdat
	.globl	_ZN9rocsparseL19gebsrmvn_2xn_kernelILj128ELj7ELj16EdEEvi20rocsparse_direction_NS_24const_host_device_scalarIT2_EEPKiS6_PKS3_S8_S4_PS3_21rocsparse_index_base_b ; -- Begin function _ZN9rocsparseL19gebsrmvn_2xn_kernelILj128ELj7ELj16EdEEvi20rocsparse_direction_NS_24const_host_device_scalarIT2_EEPKiS6_PKS3_S8_S4_PS3_21rocsparse_index_base_b
	.p2align	8
	.type	_ZN9rocsparseL19gebsrmvn_2xn_kernelILj128ELj7ELj16EdEEvi20rocsparse_direction_NS_24const_host_device_scalarIT2_EEPKiS6_PKS3_S8_S4_PS3_21rocsparse_index_base_b,@function
_ZN9rocsparseL19gebsrmvn_2xn_kernelILj128ELj7ELj16EdEEvi20rocsparse_direction_NS_24const_host_device_scalarIT2_EEPKiS6_PKS3_S8_S4_PS3_21rocsparse_index_base_b: ; @_ZN9rocsparseL19gebsrmvn_2xn_kernelILj128ELj7ELj16EdEEvi20rocsparse_direction_NS_24const_host_device_scalarIT2_EEPKiS6_PKS3_S8_S4_PS3_21rocsparse_index_base_b
; %bb.0:
	s_load_dwordx2 s[12:13], s[0:1], 0x40
	s_load_dwordx2 s[8:9], s[0:1], 0x8
	;; [unrolled: 1-line block ×3, first 2 shown]
	s_waitcnt lgkmcnt(0)
	s_bitcmp1_b32 s13, 0
	s_cselect_b64 s[10:11], -1, 0
	s_xor_b64 s[6:7], s[10:11], -1
	s_and_b64 vcc, exec, s[10:11]
	v_mov_b64_e32 v[2:3], s[8:9]
	s_cbranch_vccnz .LBB103_2
; %bb.1:
	v_mov_b64_e32 v[2:3], s[8:9]
	flat_load_dwordx2 v[2:3], v[2:3]
.LBB103_2:
	s_andn2_b64 vcc, exec, s[6:7]
	v_mov_b64_e32 v[4:5], s[4:5]
	s_cbranch_vccnz .LBB103_4
; %bb.3:
	v_mov_b64_e32 v[4:5], s[4:5]
	flat_load_dwordx2 v[4:5], v[4:5]
.LBB103_4:
	s_waitcnt vmcnt(0) lgkmcnt(0)
	v_cmp_neq_f64_e32 vcc, 0, v[2:3]
	v_cmp_neq_f64_e64 s[4:5], 1.0, v[4:5]
	s_or_b64 s[4:5], vcc, s[4:5]
	s_and_saveexec_b64 s[6:7], s[4:5]
	s_cbranch_execz .LBB103_23
; %bb.5:
	s_load_dwordx2 s[14:15], s[0:1], 0x0
	v_lshrrev_b32_e32 v1, 4, v0
	v_lshl_or_b32 v6, s2, 3, v1
	s_waitcnt lgkmcnt(0)
	v_cmp_gt_i32_e32 vcc, s14, v6
	s_and_b64 exec, exec, vcc
	s_cbranch_execz .LBB103_23
; %bb.6:
	s_load_dwordx8 s[4:11], s[0:1], 0x10
	v_ashrrev_i32_e32 v7, 31, v6
	s_cmp_lg_u32 s15, 0
	s_waitcnt lgkmcnt(0)
	v_lshl_add_u64 v[8:9], v[6:7], 2, s[4:5]
	global_load_dwordx2 v[8:9], v[8:9], off
	v_and_b32_e32 v7, 15, v0
	s_waitcnt vmcnt(0)
	v_subrev_u32_e32 v0, s12, v8
	v_subrev_u32_e32 v18, s12, v9
	v_add_u32_e32 v10, v0, v7
	v_cmp_lt_i32_e64 s[2:3], v10, v18
	s_cbranch_scc0 .LBB103_12
; %bb.7:
	v_mov_b64_e32 v[0:1], 0
	s_mov_b64 s[4:5], 0
	v_mov_b64_e32 v[8:9], v[0:1]
	s_and_saveexec_b64 s[14:15], s[2:3]
	s_cbranch_execz .LBB103_11
; %bb.8:
	v_mad_u64_u32 v[12:13], s[16:17], v10, 14, 12
	v_mov_b64_e32 v[0:1], 0
	s_mov_b64 s[16:17], 0
	v_mov_b32_e32 v15, 0
	v_mov_b32_e32 v16, v10
	v_mov_b64_e32 v[8:9], v[0:1]
.LBB103_9:                              ; =>This Inner Loop Header: Depth=1
	v_ashrrev_i32_e32 v17, 31, v16
	v_lshl_add_u64 v[20:21], v[16:17], 2, s[6:7]
	global_load_dword v11, v[20:21], off
	v_add_u32_e32 v14, -12, v12
	v_mov_b32_e32 v13, v15
	v_mov_b32_e32 v49, v15
	v_lshl_add_u64 v[20:21], v[14:15], 3, s[8:9]
	v_add_u32_e32 v14, -10, v12
	v_lshl_add_u64 v[32:33], v[12:13], 3, s[8:9]
	global_load_dwordx4 v[20:23], v[20:21], off
	v_lshl_add_u64 v[34:35], v[14:15], 3, s[8:9]
	global_load_dwordx4 v[24:27], v[32:33], off
	global_load_dwordx4 v[28:31], v[34:35], off
	v_add_u32_e32 v16, 16, v16
	v_cmp_ge_i32_e32 vcc, v16, v18
	s_or_b64 s[16:17], vcc, s[16:17]
	s_waitcnt vmcnt(3)
	v_subrev_u32_e32 v11, s12, v11
	v_mul_lo_u32 v48, v11, 7
	v_lshl_add_u64 v[32:33], v[48:49], 3, s[10:11]
	v_add_u32_e32 v14, 1, v48
	global_load_dwordx2 v[50:51], v[32:33], off
	v_lshl_add_u64 v[32:33], v[14:15], 3, s[10:11]
	v_add_u32_e32 v14, -8, v12
	global_load_dwordx2 v[52:53], v[32:33], off
	v_lshl_add_u64 v[32:33], v[14:15], 3, s[8:9]
	v_add_u32_e32 v14, 2, v48
	v_lshl_add_u64 v[36:37], v[14:15], 3, s[10:11]
	v_add_u32_e32 v14, -6, v12
	global_load_dwordx2 v[54:55], v[36:37], off
	v_lshl_add_u64 v[36:37], v[14:15], 3, s[8:9]
	v_add_u32_e32 v14, 3, v48
	;; [unrolled: 5-line block ×3, first 2 shown]
	global_load_dwordx4 v[32:35], v[32:33], off
	v_lshl_add_u64 v[44:45], v[14:15], 3, s[10:11]
	v_add_u32_e32 v14, -2, v12
	global_load_dwordx4 v[36:39], v[36:37], off
	v_add_u32_e32 v12, 0xe0, v12
	global_load_dwordx2 v[58:59], v[44:45], off
	v_lshl_add_u64 v[44:45], v[14:15], 3, s[8:9]
	v_add_u32_e32 v14, 5, v48
	global_load_dwordx4 v[40:43], v[40:41], off
	v_lshl_add_u64 v[60:61], v[14:15], 3, s[10:11]
	v_add_u32_e32 v14, 6, v48
	global_load_dwordx4 v[44:47], v[44:45], off
	s_waitcnt vmcnt(8)
	v_fmac_f64_e32 v[0:1], v[20:21], v[50:51]
	global_load_dwordx2 v[48:49], v[60:61], off
	v_lshl_add_u64 v[60:61], v[14:15], 3, s[10:11]
	global_load_dwordx2 v[60:61], v[60:61], off
	v_fmac_f64_e32 v[8:9], v[22:23], v[50:51]
	s_waitcnt vmcnt(9)
	v_fmac_f64_e32 v[0:1], v[28:29], v[52:53]
	v_fmac_f64_e32 v[8:9], v[30:31], v[52:53]
	s_waitcnt vmcnt(6)
	v_fmac_f64_e32 v[0:1], v[32:33], v[54:55]
	;; [unrolled: 3-line block ×6, first 2 shown]
	v_fmac_f64_e32 v[8:9], v[26:27], v[60:61]
	s_andn2_b64 exec, exec, s[16:17]
	s_cbranch_execnz .LBB103_9
; %bb.10:
	s_or_b64 exec, exec, s[16:17]
.LBB103_11:
	s_or_b64 exec, exec, s[14:15]
	s_andn2_b64 vcc, exec, s[4:5]
	s_cbranch_vccz .LBB103_13
	s_branch .LBB103_18
.LBB103_12:
                                        ; implicit-def: $vgpr0_vgpr1
                                        ; implicit-def: $vgpr8_vgpr9
.LBB103_13:
	v_mov_b64_e32 v[0:1], 0
	v_mov_b64_e32 v[8:9], v[0:1]
	s_and_saveexec_b64 s[4:5], s[2:3]
	s_cbranch_execz .LBB103_17
; %bb.14:
	v_mad_u64_u32 v[12:13], s[2:3], v10, 14, 13
	v_mov_b64_e32 v[0:1], 0
	s_mov_b64 s[2:3], 0
	v_mov_b32_e32 v15, 0
	v_mov_b64_e32 v[8:9], v[0:1]
.LBB103_15:                             ; =>This Inner Loop Header: Depth=1
	v_ashrrev_i32_e32 v11, 31, v10
	v_lshl_add_u64 v[16:17], v[10:11], 2, s[6:7]
	global_load_dword v11, v[16:17], off
	v_add_u32_e32 v14, -13, v12
	v_add_u32_e32 v16, -6, v12
	v_mov_b32_e32 v17, v15
	v_mov_b32_e32 v13, v15
	v_lshl_add_u64 v[26:27], v[14:15], 3, s[8:9]
	v_lshl_add_u64 v[16:17], v[16:17], 3, s[8:9]
	;; [unrolled: 1-line block ×3, first 2 shown]
	global_load_dwordx4 v[20:23], v[26:27], off
	global_load_dwordx2 v[30:31], v[16:17], off
	global_load_dwordx2 v[32:33], v[28:29], off
	v_mov_b32_e32 v25, v15
	v_add_u32_e32 v10, 16, v10
	v_cmp_ge_i32_e32 vcc, v10, v18
	s_or_b64 s[2:3], vcc, s[2:3]
	s_waitcnt vmcnt(3)
	v_subrev_u32_e32 v11, s12, v11
	v_mul_lo_u32 v24, v11, 7
	v_add_u32_e32 v14, 1, v24
	v_lshl_add_u64 v[26:27], v[14:15], 3, s[10:11]
	v_add_u32_e32 v14, -5, v12
	v_lshl_add_u64 v[28:29], v[14:15], 3, s[8:9]
	v_add_u32_e32 v14, -11, v12
	v_lshl_add_u64 v[16:17], v[24:25], 3, s[10:11]
	v_lshl_add_u64 v[34:35], v[14:15], 3, s[8:9]
	v_add_u32_e32 v14, 2, v24
	global_load_dwordx2 v[16:17], v[16:17], off
	s_nop 0
	global_load_dwordx2 v[26:27], v[26:27], off
	s_nop 0
	global_load_dwordx2 v[36:37], v[28:29], off
	global_load_dwordx2 v[38:39], v[34:35], off
	v_lshl_add_u64 v[28:29], v[14:15], 3, s[10:11]
	v_add_u32_e32 v14, -4, v12
	v_lshl_add_u64 v[34:35], v[14:15], 3, s[8:9]
	v_add_u32_e32 v14, -10, v12
	v_lshl_add_u64 v[40:41], v[14:15], 3, s[8:9]
	v_add_u32_e32 v14, 3, v24
	global_load_dwordx2 v[28:29], v[28:29], off
	s_nop 0
	global_load_dwordx2 v[42:43], v[34:35], off
	global_load_dwordx2 v[44:45], v[40:41], off
	v_lshl_add_u64 v[34:35], v[14:15], 3, s[10:11]
	v_add_u32_e32 v14, -3, v12
	v_lshl_add_u64 v[40:41], v[14:15], 3, s[8:9]
	v_add_u32_e32 v14, -9, v12
	v_lshl_add_u64 v[46:47], v[14:15], 3, s[8:9]
	v_add_u32_e32 v14, 4, v24
	;; [unrolled: 10-line block ×4, first 2 shown]
	global_load_dwordx2 v[46:47], v[46:47], off
	s_nop 0
	global_load_dwordx2 v[24:25], v[52:53], off
	global_load_dwordx2 v[60:61], v[58:59], off
	v_lshl_add_u64 v[52:53], v[14:15], 3, s[10:11]
	global_load_dwordx2 v[52:53], v[52:53], off
	v_add_u32_e32 v12, 0xe0, v12
	s_waitcnt vmcnt(16)
	v_fmac_f64_e32 v[0:1], v[20:21], v[16:17]
	v_fmac_f64_e32 v[8:9], v[30:31], v[16:17]
	s_waitcnt vmcnt(15)
	v_fmac_f64_e32 v[0:1], v[22:23], v[26:27]
	s_waitcnt vmcnt(14)
	;; [unrolled: 2-line block ×11, first 2 shown]
	v_fmac_f64_e32 v[0:1], v[60:61], v[52:53]
	v_fmac_f64_e32 v[8:9], v[32:33], v[52:53]
	s_andn2_b64 exec, exec, s[2:3]
	s_cbranch_execnz .LBB103_15
; %bb.16:
	s_or_b64 exec, exec, s[2:3]
.LBB103_17:
	s_or_b64 exec, exec, s[4:5]
.LBB103_18:
	v_mov_b32_dpp v10, v0 row_shr:1 row_mask:0xf bank_mask:0xf
	v_mov_b32_dpp v11, v1 row_shr:1 row_mask:0xf bank_mask:0xf
	;; [unrolled: 1-line block ×4, first 2 shown]
	v_add_f64 v[0:1], v[0:1], v[10:11]
	v_add_f64 v[8:9], v[8:9], v[12:13]
	v_cmp_eq_u32_e32 vcc, 15, v7
	v_mov_b32_dpp v10, v0 row_shr:2 row_mask:0xf bank_mask:0xf
	v_mov_b32_dpp v11, v1 row_shr:2 row_mask:0xf bank_mask:0xf
	;; [unrolled: 1-line block ×4, first 2 shown]
	v_add_f64 v[0:1], v[0:1], v[10:11]
	v_add_f64 v[8:9], v[8:9], v[12:13]
	s_nop 0
	v_mov_b32_dpp v10, v0 row_shr:4 row_mask:0xf bank_mask:0xe
	v_mov_b32_dpp v11, v1 row_shr:4 row_mask:0xf bank_mask:0xe
	;; [unrolled: 1-line block ×4, first 2 shown]
	v_add_f64 v[0:1], v[0:1], v[10:11]
	v_add_f64 v[12:13], v[8:9], v[12:13]
	s_nop 0
	v_mov_b32_dpp v10, v0 row_shr:8 row_mask:0xf bank_mask:0xc
	v_mov_b32_dpp v11, v1 row_shr:8 row_mask:0xf bank_mask:0xc
	;; [unrolled: 1-line block ×4, first 2 shown]
	s_and_b64 exec, exec, vcc
	s_cbranch_execz .LBB103_23
; %bb.19:
	s_load_dwordx2 s[0:1], s[0:1], 0x38
	v_add_f64 v[8:9], v[0:1], v[10:11]
	v_add_f64 v[0:1], v[12:13], v[14:15]
	v_cmp_eq_f64_e32 vcc, 0, v[4:5]
	s_and_saveexec_b64 s[2:3], vcc
	s_xor_b64 s[2:3], exec, s[2:3]
	s_cbranch_execz .LBB103_21
; %bb.20:
	v_lshlrev_b32_e32 v6, 1, v6
	v_ashrrev_i32_e32 v7, 31, v6
	v_mul_f64 v[4:5], v[2:3], v[8:9]
	s_waitcnt lgkmcnt(0)
	v_lshl_add_u64 v[8:9], v[6:7], 3, s[0:1]
	v_mul_f64 v[6:7], v[2:3], v[0:1]
	global_store_dwordx4 v[8:9], v[4:7], off
                                        ; implicit-def: $vgpr6
                                        ; implicit-def: $vgpr2_vgpr3
                                        ; implicit-def: $vgpr8_vgpr9
                                        ; implicit-def: $vgpr4_vgpr5
                                        ; implicit-def: $vgpr0_vgpr1
.LBB103_21:
	s_andn2_saveexec_b64 s[2:3], s[2:3]
	s_cbranch_execz .LBB103_23
; %bb.22:
	v_lshlrev_b32_e32 v6, 1, v6
	v_ashrrev_i32_e32 v7, 31, v6
	s_waitcnt lgkmcnt(0)
	v_lshl_add_u64 v[14:15], v[6:7], 3, s[0:1]
	global_load_dwordx4 v[10:13], v[14:15], off
	v_mul_f64 v[6:7], v[2:3], v[8:9]
	v_mul_f64 v[8:9], v[2:3], v[0:1]
	s_waitcnt vmcnt(0)
	v_fmac_f64_e32 v[6:7], v[4:5], v[10:11]
	v_fmac_f64_e32 v[8:9], v[4:5], v[12:13]
	global_store_dwordx4 v[14:15], v[6:9], off
.LBB103_23:
	s_endpgm
	.section	.rodata,"a",@progbits
	.p2align	6, 0x0
	.amdhsa_kernel _ZN9rocsparseL19gebsrmvn_2xn_kernelILj128ELj7ELj16EdEEvi20rocsparse_direction_NS_24const_host_device_scalarIT2_EEPKiS6_PKS3_S8_S4_PS3_21rocsparse_index_base_b
		.amdhsa_group_segment_fixed_size 0
		.amdhsa_private_segment_fixed_size 0
		.amdhsa_kernarg_size 72
		.amdhsa_user_sgpr_count 2
		.amdhsa_user_sgpr_dispatch_ptr 0
		.amdhsa_user_sgpr_queue_ptr 0
		.amdhsa_user_sgpr_kernarg_segment_ptr 1
		.amdhsa_user_sgpr_dispatch_id 0
		.amdhsa_user_sgpr_kernarg_preload_length 0
		.amdhsa_user_sgpr_kernarg_preload_offset 0
		.amdhsa_user_sgpr_private_segment_size 0
		.amdhsa_uses_dynamic_stack 0
		.amdhsa_enable_private_segment 0
		.amdhsa_system_sgpr_workgroup_id_x 1
		.amdhsa_system_sgpr_workgroup_id_y 0
		.amdhsa_system_sgpr_workgroup_id_z 0
		.amdhsa_system_sgpr_workgroup_info 0
		.amdhsa_system_vgpr_workitem_id 0
		.amdhsa_next_free_vgpr 62
		.amdhsa_next_free_sgpr 18
		.amdhsa_accum_offset 64
		.amdhsa_reserve_vcc 1
		.amdhsa_float_round_mode_32 0
		.amdhsa_float_round_mode_16_64 0
		.amdhsa_float_denorm_mode_32 3
		.amdhsa_float_denorm_mode_16_64 3
		.amdhsa_dx10_clamp 1
		.amdhsa_ieee_mode 1
		.amdhsa_fp16_overflow 0
		.amdhsa_tg_split 0
		.amdhsa_exception_fp_ieee_invalid_op 0
		.amdhsa_exception_fp_denorm_src 0
		.amdhsa_exception_fp_ieee_div_zero 0
		.amdhsa_exception_fp_ieee_overflow 0
		.amdhsa_exception_fp_ieee_underflow 0
		.amdhsa_exception_fp_ieee_inexact 0
		.amdhsa_exception_int_div_zero 0
	.end_amdhsa_kernel
	.section	.text._ZN9rocsparseL19gebsrmvn_2xn_kernelILj128ELj7ELj16EdEEvi20rocsparse_direction_NS_24const_host_device_scalarIT2_EEPKiS6_PKS3_S8_S4_PS3_21rocsparse_index_base_b,"axG",@progbits,_ZN9rocsparseL19gebsrmvn_2xn_kernelILj128ELj7ELj16EdEEvi20rocsparse_direction_NS_24const_host_device_scalarIT2_EEPKiS6_PKS3_S8_S4_PS3_21rocsparse_index_base_b,comdat
.Lfunc_end103:
	.size	_ZN9rocsparseL19gebsrmvn_2xn_kernelILj128ELj7ELj16EdEEvi20rocsparse_direction_NS_24const_host_device_scalarIT2_EEPKiS6_PKS3_S8_S4_PS3_21rocsparse_index_base_b, .Lfunc_end103-_ZN9rocsparseL19gebsrmvn_2xn_kernelILj128ELj7ELj16EdEEvi20rocsparse_direction_NS_24const_host_device_scalarIT2_EEPKiS6_PKS3_S8_S4_PS3_21rocsparse_index_base_b
                                        ; -- End function
	.section	.AMDGPU.csdata,"",@progbits
; Kernel info:
; codeLenInByte = 1716
; NumSgprs: 24
; NumVgprs: 62
; NumAgprs: 0
; TotalNumVgprs: 62
; ScratchSize: 0
; MemoryBound: 0
; FloatMode: 240
; IeeeMode: 1
; LDSByteSize: 0 bytes/workgroup (compile time only)
; SGPRBlocks: 2
; VGPRBlocks: 7
; NumSGPRsForWavesPerEU: 24
; NumVGPRsForWavesPerEU: 62
; AccumOffset: 64
; Occupancy: 8
; WaveLimiterHint : 1
; COMPUTE_PGM_RSRC2:SCRATCH_EN: 0
; COMPUTE_PGM_RSRC2:USER_SGPR: 2
; COMPUTE_PGM_RSRC2:TRAP_HANDLER: 0
; COMPUTE_PGM_RSRC2:TGID_X_EN: 1
; COMPUTE_PGM_RSRC2:TGID_Y_EN: 0
; COMPUTE_PGM_RSRC2:TGID_Z_EN: 0
; COMPUTE_PGM_RSRC2:TIDIG_COMP_CNT: 0
; COMPUTE_PGM_RSRC3_GFX90A:ACCUM_OFFSET: 15
; COMPUTE_PGM_RSRC3_GFX90A:TG_SPLIT: 0
	.section	.text._ZN9rocsparseL19gebsrmvn_2xn_kernelILj128ELj7ELj32EdEEvi20rocsparse_direction_NS_24const_host_device_scalarIT2_EEPKiS6_PKS3_S8_S4_PS3_21rocsparse_index_base_b,"axG",@progbits,_ZN9rocsparseL19gebsrmvn_2xn_kernelILj128ELj7ELj32EdEEvi20rocsparse_direction_NS_24const_host_device_scalarIT2_EEPKiS6_PKS3_S8_S4_PS3_21rocsparse_index_base_b,comdat
	.globl	_ZN9rocsparseL19gebsrmvn_2xn_kernelILj128ELj7ELj32EdEEvi20rocsparse_direction_NS_24const_host_device_scalarIT2_EEPKiS6_PKS3_S8_S4_PS3_21rocsparse_index_base_b ; -- Begin function _ZN9rocsparseL19gebsrmvn_2xn_kernelILj128ELj7ELj32EdEEvi20rocsparse_direction_NS_24const_host_device_scalarIT2_EEPKiS6_PKS3_S8_S4_PS3_21rocsparse_index_base_b
	.p2align	8
	.type	_ZN9rocsparseL19gebsrmvn_2xn_kernelILj128ELj7ELj32EdEEvi20rocsparse_direction_NS_24const_host_device_scalarIT2_EEPKiS6_PKS3_S8_S4_PS3_21rocsparse_index_base_b,@function
_ZN9rocsparseL19gebsrmvn_2xn_kernelILj128ELj7ELj32EdEEvi20rocsparse_direction_NS_24const_host_device_scalarIT2_EEPKiS6_PKS3_S8_S4_PS3_21rocsparse_index_base_b: ; @_ZN9rocsparseL19gebsrmvn_2xn_kernelILj128ELj7ELj32EdEEvi20rocsparse_direction_NS_24const_host_device_scalarIT2_EEPKiS6_PKS3_S8_S4_PS3_21rocsparse_index_base_b
; %bb.0:
	s_load_dwordx2 s[12:13], s[0:1], 0x40
	s_load_dwordx2 s[8:9], s[0:1], 0x8
	;; [unrolled: 1-line block ×3, first 2 shown]
	s_waitcnt lgkmcnt(0)
	s_bitcmp1_b32 s13, 0
	s_cselect_b64 s[10:11], -1, 0
	s_xor_b64 s[6:7], s[10:11], -1
	s_and_b64 vcc, exec, s[10:11]
	v_mov_b64_e32 v[2:3], s[8:9]
	s_cbranch_vccnz .LBB104_2
; %bb.1:
	v_mov_b64_e32 v[2:3], s[8:9]
	flat_load_dwordx2 v[2:3], v[2:3]
.LBB104_2:
	s_andn2_b64 vcc, exec, s[6:7]
	v_mov_b64_e32 v[4:5], s[4:5]
	s_cbranch_vccnz .LBB104_4
; %bb.3:
	v_mov_b64_e32 v[4:5], s[4:5]
	flat_load_dwordx2 v[4:5], v[4:5]
.LBB104_4:
	s_waitcnt vmcnt(0) lgkmcnt(0)
	v_cmp_neq_f64_e32 vcc, 0, v[2:3]
	v_cmp_neq_f64_e64 s[4:5], 1.0, v[4:5]
	s_or_b64 s[4:5], vcc, s[4:5]
	s_and_saveexec_b64 s[6:7], s[4:5]
	s_cbranch_execz .LBB104_23
; %bb.5:
	s_load_dwordx2 s[14:15], s[0:1], 0x0
	v_lshrrev_b32_e32 v1, 5, v0
	v_lshl_or_b32 v6, s2, 2, v1
	s_waitcnt lgkmcnt(0)
	v_cmp_gt_i32_e32 vcc, s14, v6
	s_and_b64 exec, exec, vcc
	s_cbranch_execz .LBB104_23
; %bb.6:
	s_load_dwordx8 s[4:11], s[0:1], 0x10
	v_ashrrev_i32_e32 v7, 31, v6
	s_cmp_lg_u32 s15, 0
	s_waitcnt lgkmcnt(0)
	v_lshl_add_u64 v[8:9], v[6:7], 2, s[4:5]
	global_load_dwordx2 v[8:9], v[8:9], off
	v_and_b32_e32 v7, 31, v0
	s_waitcnt vmcnt(0)
	v_subrev_u32_e32 v0, s12, v8
	v_subrev_u32_e32 v18, s12, v9
	v_add_u32_e32 v10, v0, v7
	v_cmp_lt_i32_e64 s[2:3], v10, v18
	s_cbranch_scc0 .LBB104_12
; %bb.7:
	v_mov_b64_e32 v[8:9], 0
	s_mov_b64 s[4:5], 0
	v_mov_b64_e32 v[0:1], v[8:9]
	s_and_saveexec_b64 s[14:15], s[2:3]
	s_cbranch_execz .LBB104_11
; %bb.8:
	v_mad_u64_u32 v[12:13], s[16:17], v10, 14, 12
	v_mov_b64_e32 v[8:9], 0
	s_mov_b64 s[16:17], 0
	v_mov_b32_e32 v15, 0
	v_mov_b32_e32 v16, v10
	v_mov_b64_e32 v[0:1], v[8:9]
.LBB104_9:                              ; =>This Inner Loop Header: Depth=1
	v_ashrrev_i32_e32 v17, 31, v16
	v_lshl_add_u64 v[20:21], v[16:17], 2, s[6:7]
	global_load_dword v11, v[20:21], off
	v_add_u32_e32 v14, -12, v12
	v_mov_b32_e32 v13, v15
	v_mov_b32_e32 v49, v15
	v_lshl_add_u64 v[20:21], v[14:15], 3, s[8:9]
	v_add_u32_e32 v14, -10, v12
	v_lshl_add_u64 v[32:33], v[12:13], 3, s[8:9]
	global_load_dwordx4 v[20:23], v[20:21], off
	v_lshl_add_u64 v[34:35], v[14:15], 3, s[8:9]
	global_load_dwordx4 v[24:27], v[32:33], off
	global_load_dwordx4 v[28:31], v[34:35], off
	v_add_u32_e32 v16, 32, v16
	v_cmp_ge_i32_e32 vcc, v16, v18
	s_or_b64 s[16:17], vcc, s[16:17]
	s_waitcnt vmcnt(3)
	v_subrev_u32_e32 v11, s12, v11
	v_mul_lo_u32 v48, v11, 7
	v_lshl_add_u64 v[32:33], v[48:49], 3, s[10:11]
	v_add_u32_e32 v14, 1, v48
	global_load_dwordx2 v[50:51], v[32:33], off
	v_lshl_add_u64 v[32:33], v[14:15], 3, s[10:11]
	v_add_u32_e32 v14, -8, v12
	global_load_dwordx2 v[52:53], v[32:33], off
	v_lshl_add_u64 v[32:33], v[14:15], 3, s[8:9]
	v_add_u32_e32 v14, 2, v48
	v_lshl_add_u64 v[36:37], v[14:15], 3, s[10:11]
	v_add_u32_e32 v14, -6, v12
	global_load_dwordx2 v[54:55], v[36:37], off
	v_lshl_add_u64 v[36:37], v[14:15], 3, s[8:9]
	v_add_u32_e32 v14, 3, v48
	;; [unrolled: 5-line block ×3, first 2 shown]
	global_load_dwordx4 v[32:35], v[32:33], off
	v_lshl_add_u64 v[44:45], v[14:15], 3, s[10:11]
	v_add_u32_e32 v14, -2, v12
	global_load_dwordx4 v[36:39], v[36:37], off
	v_add_u32_e32 v12, 0x1c0, v12
	global_load_dwordx2 v[58:59], v[44:45], off
	v_lshl_add_u64 v[44:45], v[14:15], 3, s[8:9]
	v_add_u32_e32 v14, 5, v48
	global_load_dwordx4 v[40:43], v[40:41], off
	v_lshl_add_u64 v[60:61], v[14:15], 3, s[10:11]
	v_add_u32_e32 v14, 6, v48
	global_load_dwordx4 v[44:47], v[44:45], off
	s_waitcnt vmcnt(8)
	v_fmac_f64_e32 v[8:9], v[20:21], v[50:51]
	global_load_dwordx2 v[48:49], v[60:61], off
	v_lshl_add_u64 v[60:61], v[14:15], 3, s[10:11]
	global_load_dwordx2 v[60:61], v[60:61], off
	v_fmac_f64_e32 v[0:1], v[22:23], v[50:51]
	s_waitcnt vmcnt(9)
	v_fmac_f64_e32 v[8:9], v[28:29], v[52:53]
	v_fmac_f64_e32 v[0:1], v[30:31], v[52:53]
	s_waitcnt vmcnt(6)
	v_fmac_f64_e32 v[8:9], v[32:33], v[54:55]
	;; [unrolled: 3-line block ×6, first 2 shown]
	v_fmac_f64_e32 v[0:1], v[26:27], v[60:61]
	s_andn2_b64 exec, exec, s[16:17]
	s_cbranch_execnz .LBB104_9
; %bb.10:
	s_or_b64 exec, exec, s[16:17]
.LBB104_11:
	s_or_b64 exec, exec, s[14:15]
	s_andn2_b64 vcc, exec, s[4:5]
	s_cbranch_vccz .LBB104_13
	s_branch .LBB104_18
.LBB104_12:
                                        ; implicit-def: $vgpr8_vgpr9
                                        ; implicit-def: $vgpr0_vgpr1
.LBB104_13:
	v_mov_b64_e32 v[8:9], 0
	v_mov_b64_e32 v[0:1], v[8:9]
	s_and_saveexec_b64 s[4:5], s[2:3]
	s_cbranch_execz .LBB104_17
; %bb.14:
	v_mad_u64_u32 v[12:13], s[2:3], v10, 14, 13
	v_mov_b64_e32 v[8:9], 0
	s_mov_b64 s[2:3], 0
	v_mov_b32_e32 v15, 0
	v_mov_b64_e32 v[0:1], v[8:9]
.LBB104_15:                             ; =>This Inner Loop Header: Depth=1
	v_ashrrev_i32_e32 v11, 31, v10
	v_lshl_add_u64 v[16:17], v[10:11], 2, s[6:7]
	global_load_dword v11, v[16:17], off
	v_add_u32_e32 v14, -13, v12
	v_add_u32_e32 v16, -6, v12
	v_mov_b32_e32 v17, v15
	v_mov_b32_e32 v13, v15
	v_lshl_add_u64 v[26:27], v[14:15], 3, s[8:9]
	v_lshl_add_u64 v[16:17], v[16:17], 3, s[8:9]
	v_lshl_add_u64 v[28:29], v[12:13], 3, s[8:9]
	global_load_dwordx4 v[20:23], v[26:27], off
	global_load_dwordx2 v[30:31], v[16:17], off
	global_load_dwordx2 v[32:33], v[28:29], off
	v_mov_b32_e32 v25, v15
	v_add_u32_e32 v10, 32, v10
	v_cmp_ge_i32_e32 vcc, v10, v18
	s_or_b64 s[2:3], vcc, s[2:3]
	s_waitcnt vmcnt(3)
	v_subrev_u32_e32 v11, s12, v11
	v_mul_lo_u32 v24, v11, 7
	v_add_u32_e32 v14, 1, v24
	v_lshl_add_u64 v[26:27], v[14:15], 3, s[10:11]
	v_add_u32_e32 v14, -5, v12
	v_lshl_add_u64 v[28:29], v[14:15], 3, s[8:9]
	v_add_u32_e32 v14, -11, v12
	v_lshl_add_u64 v[16:17], v[24:25], 3, s[10:11]
	v_lshl_add_u64 v[34:35], v[14:15], 3, s[8:9]
	v_add_u32_e32 v14, 2, v24
	global_load_dwordx2 v[16:17], v[16:17], off
	s_nop 0
	global_load_dwordx2 v[26:27], v[26:27], off
	s_nop 0
	global_load_dwordx2 v[36:37], v[28:29], off
	global_load_dwordx2 v[38:39], v[34:35], off
	v_lshl_add_u64 v[28:29], v[14:15], 3, s[10:11]
	v_add_u32_e32 v14, -4, v12
	v_lshl_add_u64 v[34:35], v[14:15], 3, s[8:9]
	v_add_u32_e32 v14, -10, v12
	v_lshl_add_u64 v[40:41], v[14:15], 3, s[8:9]
	v_add_u32_e32 v14, 3, v24
	global_load_dwordx2 v[28:29], v[28:29], off
	s_nop 0
	global_load_dwordx2 v[42:43], v[34:35], off
	global_load_dwordx2 v[44:45], v[40:41], off
	v_lshl_add_u64 v[34:35], v[14:15], 3, s[10:11]
	v_add_u32_e32 v14, -3, v12
	v_lshl_add_u64 v[40:41], v[14:15], 3, s[8:9]
	v_add_u32_e32 v14, -9, v12
	v_lshl_add_u64 v[46:47], v[14:15], 3, s[8:9]
	v_add_u32_e32 v14, 4, v24
	;; [unrolled: 10-line block ×4, first 2 shown]
	global_load_dwordx2 v[46:47], v[46:47], off
	s_nop 0
	global_load_dwordx2 v[24:25], v[52:53], off
	global_load_dwordx2 v[60:61], v[58:59], off
	v_lshl_add_u64 v[52:53], v[14:15], 3, s[10:11]
	global_load_dwordx2 v[52:53], v[52:53], off
	v_add_u32_e32 v12, 0x1c0, v12
	s_waitcnt vmcnt(16)
	v_fmac_f64_e32 v[8:9], v[20:21], v[16:17]
	v_fmac_f64_e32 v[0:1], v[30:31], v[16:17]
	s_waitcnt vmcnt(15)
	v_fmac_f64_e32 v[8:9], v[22:23], v[26:27]
	s_waitcnt vmcnt(14)
	v_fmac_f64_e32 v[0:1], v[36:37], v[26:27]
	s_waitcnt vmcnt(12)
	v_fmac_f64_e32 v[8:9], v[38:39], v[28:29]
	s_waitcnt vmcnt(11)
	v_fmac_f64_e32 v[0:1], v[42:43], v[28:29]
	s_waitcnt vmcnt(9)
	v_fmac_f64_e32 v[8:9], v[44:45], v[34:35]
	s_waitcnt vmcnt(8)
	v_fmac_f64_e32 v[0:1], v[48:49], v[34:35]
	s_waitcnt vmcnt(6)
	v_fmac_f64_e32 v[8:9], v[50:51], v[40:41]
	s_waitcnt vmcnt(5)
	v_fmac_f64_e32 v[0:1], v[54:55], v[40:41]
	s_waitcnt vmcnt(3)
	v_fmac_f64_e32 v[8:9], v[56:57], v[46:47]
	s_waitcnt vmcnt(2)
	v_fmac_f64_e32 v[0:1], v[24:25], v[46:47]
	s_waitcnt vmcnt(0)
	v_fmac_f64_e32 v[8:9], v[60:61], v[52:53]
	v_fmac_f64_e32 v[0:1], v[32:33], v[52:53]
	s_andn2_b64 exec, exec, s[2:3]
	s_cbranch_execnz .LBB104_15
; %bb.16:
	s_or_b64 exec, exec, s[2:3]
.LBB104_17:
	s_or_b64 exec, exec, s[4:5]
.LBB104_18:
	v_mov_b32_dpp v10, v8 row_shr:1 row_mask:0xf bank_mask:0xf
	v_mov_b32_dpp v11, v9 row_shr:1 row_mask:0xf bank_mask:0xf
	;; [unrolled: 1-line block ×4, first 2 shown]
	v_add_f64 v[8:9], v[8:9], v[10:11]
	v_add_f64 v[0:1], v[0:1], v[12:13]
	v_cmp_eq_u32_e32 vcc, 31, v7
	v_mov_b32_dpp v10, v8 row_shr:2 row_mask:0xf bank_mask:0xf
	v_mov_b32_dpp v11, v9 row_shr:2 row_mask:0xf bank_mask:0xf
	v_mov_b32_dpp v12, v0 row_shr:2 row_mask:0xf bank_mask:0xf
	v_mov_b32_dpp v13, v1 row_shr:2 row_mask:0xf bank_mask:0xf
	v_add_f64 v[8:9], v[8:9], v[10:11]
	v_add_f64 v[0:1], v[0:1], v[12:13]
	s_nop 0
	v_mov_b32_dpp v10, v8 row_shr:4 row_mask:0xf bank_mask:0xe
	v_mov_b32_dpp v11, v9 row_shr:4 row_mask:0xf bank_mask:0xe
	v_mov_b32_dpp v12, v0 row_shr:4 row_mask:0xf bank_mask:0xe
	v_mov_b32_dpp v13, v1 row_shr:4 row_mask:0xf bank_mask:0xe
	v_add_f64 v[8:9], v[8:9], v[10:11]
	v_add_f64 v[0:1], v[0:1], v[12:13]
	s_nop 0
	;; [unrolled: 7-line block ×3, first 2 shown]
	v_mov_b32_dpp v10, v8 row_bcast:15 row_mask:0xa bank_mask:0xf
	v_mov_b32_dpp v11, v9 row_bcast:15 row_mask:0xa bank_mask:0xf
	;; [unrolled: 1-line block ×4, first 2 shown]
	s_and_b64 exec, exec, vcc
	s_cbranch_execz .LBB104_23
; %bb.19:
	s_load_dwordx2 s[0:1], s[0:1], 0x38
	v_add_f64 v[8:9], v[8:9], v[10:11]
	v_add_f64 v[0:1], v[0:1], v[12:13]
	v_cmp_eq_f64_e32 vcc, 0, v[4:5]
	s_and_saveexec_b64 s[2:3], vcc
	s_xor_b64 s[2:3], exec, s[2:3]
	s_cbranch_execz .LBB104_21
; %bb.20:
	v_lshlrev_b32_e32 v6, 1, v6
	v_ashrrev_i32_e32 v7, 31, v6
	v_mul_f64 v[4:5], v[2:3], v[8:9]
	s_waitcnt lgkmcnt(0)
	v_lshl_add_u64 v[8:9], v[6:7], 3, s[0:1]
	v_mul_f64 v[6:7], v[2:3], v[0:1]
	global_store_dwordx4 v[8:9], v[4:7], off
                                        ; implicit-def: $vgpr6
                                        ; implicit-def: $vgpr2_vgpr3
                                        ; implicit-def: $vgpr8_vgpr9
                                        ; implicit-def: $vgpr4_vgpr5
                                        ; implicit-def: $vgpr0_vgpr1
.LBB104_21:
	s_andn2_saveexec_b64 s[2:3], s[2:3]
	s_cbranch_execz .LBB104_23
; %bb.22:
	v_lshlrev_b32_e32 v6, 1, v6
	v_ashrrev_i32_e32 v7, 31, v6
	s_waitcnt lgkmcnt(0)
	v_lshl_add_u64 v[14:15], v[6:7], 3, s[0:1]
	global_load_dwordx4 v[10:13], v[14:15], off
	v_mul_f64 v[6:7], v[2:3], v[8:9]
	v_mul_f64 v[8:9], v[2:3], v[0:1]
	s_waitcnt vmcnt(0)
	v_fmac_f64_e32 v[6:7], v[4:5], v[10:11]
	v_fmac_f64_e32 v[8:9], v[4:5], v[12:13]
	global_store_dwordx4 v[14:15], v[6:9], off
.LBB104_23:
	s_endpgm
	.section	.rodata,"a",@progbits
	.p2align	6, 0x0
	.amdhsa_kernel _ZN9rocsparseL19gebsrmvn_2xn_kernelILj128ELj7ELj32EdEEvi20rocsparse_direction_NS_24const_host_device_scalarIT2_EEPKiS6_PKS3_S8_S4_PS3_21rocsparse_index_base_b
		.amdhsa_group_segment_fixed_size 0
		.amdhsa_private_segment_fixed_size 0
		.amdhsa_kernarg_size 72
		.amdhsa_user_sgpr_count 2
		.amdhsa_user_sgpr_dispatch_ptr 0
		.amdhsa_user_sgpr_queue_ptr 0
		.amdhsa_user_sgpr_kernarg_segment_ptr 1
		.amdhsa_user_sgpr_dispatch_id 0
		.amdhsa_user_sgpr_kernarg_preload_length 0
		.amdhsa_user_sgpr_kernarg_preload_offset 0
		.amdhsa_user_sgpr_private_segment_size 0
		.amdhsa_uses_dynamic_stack 0
		.amdhsa_enable_private_segment 0
		.amdhsa_system_sgpr_workgroup_id_x 1
		.amdhsa_system_sgpr_workgroup_id_y 0
		.amdhsa_system_sgpr_workgroup_id_z 0
		.amdhsa_system_sgpr_workgroup_info 0
		.amdhsa_system_vgpr_workitem_id 0
		.amdhsa_next_free_vgpr 62
		.amdhsa_next_free_sgpr 18
		.amdhsa_accum_offset 64
		.amdhsa_reserve_vcc 1
		.amdhsa_float_round_mode_32 0
		.amdhsa_float_round_mode_16_64 0
		.amdhsa_float_denorm_mode_32 3
		.amdhsa_float_denorm_mode_16_64 3
		.amdhsa_dx10_clamp 1
		.amdhsa_ieee_mode 1
		.amdhsa_fp16_overflow 0
		.amdhsa_tg_split 0
		.amdhsa_exception_fp_ieee_invalid_op 0
		.amdhsa_exception_fp_denorm_src 0
		.amdhsa_exception_fp_ieee_div_zero 0
		.amdhsa_exception_fp_ieee_overflow 0
		.amdhsa_exception_fp_ieee_underflow 0
		.amdhsa_exception_fp_ieee_inexact 0
		.amdhsa_exception_int_div_zero 0
	.end_amdhsa_kernel
	.section	.text._ZN9rocsparseL19gebsrmvn_2xn_kernelILj128ELj7ELj32EdEEvi20rocsparse_direction_NS_24const_host_device_scalarIT2_EEPKiS6_PKS3_S8_S4_PS3_21rocsparse_index_base_b,"axG",@progbits,_ZN9rocsparseL19gebsrmvn_2xn_kernelILj128ELj7ELj32EdEEvi20rocsparse_direction_NS_24const_host_device_scalarIT2_EEPKiS6_PKS3_S8_S4_PS3_21rocsparse_index_base_b,comdat
.Lfunc_end104:
	.size	_ZN9rocsparseL19gebsrmvn_2xn_kernelILj128ELj7ELj32EdEEvi20rocsparse_direction_NS_24const_host_device_scalarIT2_EEPKiS6_PKS3_S8_S4_PS3_21rocsparse_index_base_b, .Lfunc_end104-_ZN9rocsparseL19gebsrmvn_2xn_kernelILj128ELj7ELj32EdEEvi20rocsparse_direction_NS_24const_host_device_scalarIT2_EEPKiS6_PKS3_S8_S4_PS3_21rocsparse_index_base_b
                                        ; -- End function
	.section	.AMDGPU.csdata,"",@progbits
; Kernel info:
; codeLenInByte = 1768
; NumSgprs: 24
; NumVgprs: 62
; NumAgprs: 0
; TotalNumVgprs: 62
; ScratchSize: 0
; MemoryBound: 0
; FloatMode: 240
; IeeeMode: 1
; LDSByteSize: 0 bytes/workgroup (compile time only)
; SGPRBlocks: 2
; VGPRBlocks: 7
; NumSGPRsForWavesPerEU: 24
; NumVGPRsForWavesPerEU: 62
; AccumOffset: 64
; Occupancy: 8
; WaveLimiterHint : 1
; COMPUTE_PGM_RSRC2:SCRATCH_EN: 0
; COMPUTE_PGM_RSRC2:USER_SGPR: 2
; COMPUTE_PGM_RSRC2:TRAP_HANDLER: 0
; COMPUTE_PGM_RSRC2:TGID_X_EN: 1
; COMPUTE_PGM_RSRC2:TGID_Y_EN: 0
; COMPUTE_PGM_RSRC2:TGID_Z_EN: 0
; COMPUTE_PGM_RSRC2:TIDIG_COMP_CNT: 0
; COMPUTE_PGM_RSRC3_GFX90A:ACCUM_OFFSET: 15
; COMPUTE_PGM_RSRC3_GFX90A:TG_SPLIT: 0
	.section	.text._ZN9rocsparseL19gebsrmvn_2xn_kernelILj128ELj7ELj64EdEEvi20rocsparse_direction_NS_24const_host_device_scalarIT2_EEPKiS6_PKS3_S8_S4_PS3_21rocsparse_index_base_b,"axG",@progbits,_ZN9rocsparseL19gebsrmvn_2xn_kernelILj128ELj7ELj64EdEEvi20rocsparse_direction_NS_24const_host_device_scalarIT2_EEPKiS6_PKS3_S8_S4_PS3_21rocsparse_index_base_b,comdat
	.globl	_ZN9rocsparseL19gebsrmvn_2xn_kernelILj128ELj7ELj64EdEEvi20rocsparse_direction_NS_24const_host_device_scalarIT2_EEPKiS6_PKS3_S8_S4_PS3_21rocsparse_index_base_b ; -- Begin function _ZN9rocsparseL19gebsrmvn_2xn_kernelILj128ELj7ELj64EdEEvi20rocsparse_direction_NS_24const_host_device_scalarIT2_EEPKiS6_PKS3_S8_S4_PS3_21rocsparse_index_base_b
	.p2align	8
	.type	_ZN9rocsparseL19gebsrmvn_2xn_kernelILj128ELj7ELj64EdEEvi20rocsparse_direction_NS_24const_host_device_scalarIT2_EEPKiS6_PKS3_S8_S4_PS3_21rocsparse_index_base_b,@function
_ZN9rocsparseL19gebsrmvn_2xn_kernelILj128ELj7ELj64EdEEvi20rocsparse_direction_NS_24const_host_device_scalarIT2_EEPKiS6_PKS3_S8_S4_PS3_21rocsparse_index_base_b: ; @_ZN9rocsparseL19gebsrmvn_2xn_kernelILj128ELj7ELj64EdEEvi20rocsparse_direction_NS_24const_host_device_scalarIT2_EEPKiS6_PKS3_S8_S4_PS3_21rocsparse_index_base_b
; %bb.0:
	s_load_dwordx2 s[12:13], s[0:1], 0x40
	s_load_dwordx2 s[8:9], s[0:1], 0x8
	s_load_dwordx2 s[4:5], s[0:1], 0x30
	s_waitcnt lgkmcnt(0)
	s_bitcmp1_b32 s13, 0
	s_cselect_b64 s[10:11], -1, 0
	s_xor_b64 s[6:7], s[10:11], -1
	s_and_b64 vcc, exec, s[10:11]
	v_mov_b64_e32 v[2:3], s[8:9]
	s_cbranch_vccnz .LBB105_2
; %bb.1:
	v_mov_b64_e32 v[2:3], s[8:9]
	flat_load_dwordx2 v[2:3], v[2:3]
.LBB105_2:
	s_andn2_b64 vcc, exec, s[6:7]
	v_mov_b64_e32 v[4:5], s[4:5]
	s_cbranch_vccnz .LBB105_4
; %bb.3:
	v_mov_b64_e32 v[4:5], s[4:5]
	flat_load_dwordx2 v[4:5], v[4:5]
.LBB105_4:
	s_waitcnt vmcnt(0) lgkmcnt(0)
	v_cmp_neq_f64_e32 vcc, 0, v[2:3]
	v_cmp_neq_f64_e64 s[4:5], 1.0, v[4:5]
	s_or_b64 s[4:5], vcc, s[4:5]
	s_and_saveexec_b64 s[6:7], s[4:5]
	s_cbranch_execz .LBB105_23
; %bb.5:
	s_load_dwordx2 s[14:15], s[0:1], 0x0
	v_lshrrev_b32_e32 v1, 6, v0
	v_lshl_or_b32 v6, s2, 1, v1
	s_waitcnt lgkmcnt(0)
	v_cmp_gt_i32_e32 vcc, s14, v6
	s_and_b64 exec, exec, vcc
	s_cbranch_execz .LBB105_23
; %bb.6:
	s_load_dwordx8 s[4:11], s[0:1], 0x10
	v_ashrrev_i32_e32 v7, 31, v6
	s_cmp_lg_u32 s15, 0
	s_waitcnt lgkmcnt(0)
	v_lshl_add_u64 v[8:9], v[6:7], 2, s[4:5]
	global_load_dwordx2 v[8:9], v[8:9], off
	v_and_b32_e32 v7, 63, v0
	s_waitcnt vmcnt(0)
	v_subrev_u32_e32 v0, s12, v8
	v_subrev_u32_e32 v18, s12, v9
	v_add_u32_e32 v10, v0, v7
	v_cmp_lt_i32_e64 s[2:3], v10, v18
	s_cbranch_scc0 .LBB105_12
; %bb.7:
	v_mov_b64_e32 v[8:9], 0
	s_mov_b64 s[4:5], 0
	v_mov_b64_e32 v[0:1], v[8:9]
	s_and_saveexec_b64 s[14:15], s[2:3]
	s_cbranch_execz .LBB105_11
; %bb.8:
	v_mad_u64_u32 v[12:13], s[16:17], v10, 14, 12
	v_mov_b64_e32 v[8:9], 0
	s_mov_b64 s[16:17], 0
	v_mov_b32_e32 v15, 0
	v_mov_b32_e32 v16, v10
	v_mov_b64_e32 v[0:1], v[8:9]
.LBB105_9:                              ; =>This Inner Loop Header: Depth=1
	v_ashrrev_i32_e32 v17, 31, v16
	v_lshl_add_u64 v[20:21], v[16:17], 2, s[6:7]
	global_load_dword v11, v[20:21], off
	v_add_u32_e32 v14, -12, v12
	v_mov_b32_e32 v13, v15
	v_mov_b32_e32 v49, v15
	v_lshl_add_u64 v[20:21], v[14:15], 3, s[8:9]
	v_add_u32_e32 v14, -10, v12
	v_lshl_add_u64 v[32:33], v[12:13], 3, s[8:9]
	global_load_dwordx4 v[20:23], v[20:21], off
	v_lshl_add_u64 v[34:35], v[14:15], 3, s[8:9]
	global_load_dwordx4 v[24:27], v[32:33], off
	global_load_dwordx4 v[28:31], v[34:35], off
	v_add_u32_e32 v16, 64, v16
	v_cmp_ge_i32_e32 vcc, v16, v18
	s_or_b64 s[16:17], vcc, s[16:17]
	s_waitcnt vmcnt(3)
	v_subrev_u32_e32 v11, s12, v11
	v_mul_lo_u32 v48, v11, 7
	v_lshl_add_u64 v[32:33], v[48:49], 3, s[10:11]
	v_add_u32_e32 v14, 1, v48
	global_load_dwordx2 v[50:51], v[32:33], off
	v_lshl_add_u64 v[32:33], v[14:15], 3, s[10:11]
	v_add_u32_e32 v14, -8, v12
	global_load_dwordx2 v[52:53], v[32:33], off
	v_lshl_add_u64 v[32:33], v[14:15], 3, s[8:9]
	v_add_u32_e32 v14, 2, v48
	v_lshl_add_u64 v[36:37], v[14:15], 3, s[10:11]
	v_add_u32_e32 v14, -6, v12
	global_load_dwordx2 v[54:55], v[36:37], off
	v_lshl_add_u64 v[36:37], v[14:15], 3, s[8:9]
	v_add_u32_e32 v14, 3, v48
	;; [unrolled: 5-line block ×3, first 2 shown]
	global_load_dwordx4 v[32:35], v[32:33], off
	v_lshl_add_u64 v[44:45], v[14:15], 3, s[10:11]
	v_add_u32_e32 v14, -2, v12
	global_load_dwordx4 v[36:39], v[36:37], off
	v_add_u32_e32 v12, 0x380, v12
	global_load_dwordx2 v[58:59], v[44:45], off
	v_lshl_add_u64 v[44:45], v[14:15], 3, s[8:9]
	v_add_u32_e32 v14, 5, v48
	global_load_dwordx4 v[40:43], v[40:41], off
	v_lshl_add_u64 v[60:61], v[14:15], 3, s[10:11]
	v_add_u32_e32 v14, 6, v48
	global_load_dwordx4 v[44:47], v[44:45], off
	s_waitcnt vmcnt(8)
	v_fmac_f64_e32 v[8:9], v[20:21], v[50:51]
	global_load_dwordx2 v[48:49], v[60:61], off
	v_lshl_add_u64 v[60:61], v[14:15], 3, s[10:11]
	global_load_dwordx2 v[60:61], v[60:61], off
	v_fmac_f64_e32 v[0:1], v[22:23], v[50:51]
	s_waitcnt vmcnt(9)
	v_fmac_f64_e32 v[8:9], v[28:29], v[52:53]
	v_fmac_f64_e32 v[0:1], v[30:31], v[52:53]
	s_waitcnt vmcnt(6)
	v_fmac_f64_e32 v[8:9], v[32:33], v[54:55]
	;; [unrolled: 3-line block ×6, first 2 shown]
	v_fmac_f64_e32 v[0:1], v[26:27], v[60:61]
	s_andn2_b64 exec, exec, s[16:17]
	s_cbranch_execnz .LBB105_9
; %bb.10:
	s_or_b64 exec, exec, s[16:17]
.LBB105_11:
	s_or_b64 exec, exec, s[14:15]
	s_andn2_b64 vcc, exec, s[4:5]
	s_cbranch_vccz .LBB105_13
	s_branch .LBB105_18
.LBB105_12:
                                        ; implicit-def: $vgpr8_vgpr9
                                        ; implicit-def: $vgpr0_vgpr1
.LBB105_13:
	v_mov_b64_e32 v[8:9], 0
	v_mov_b64_e32 v[0:1], v[8:9]
	s_and_saveexec_b64 s[4:5], s[2:3]
	s_cbranch_execz .LBB105_17
; %bb.14:
	v_mad_u64_u32 v[12:13], s[2:3], v10, 14, 13
	v_mov_b64_e32 v[8:9], 0
	s_mov_b64 s[2:3], 0
	v_mov_b32_e32 v15, 0
	v_mov_b64_e32 v[0:1], v[8:9]
.LBB105_15:                             ; =>This Inner Loop Header: Depth=1
	v_ashrrev_i32_e32 v11, 31, v10
	v_lshl_add_u64 v[16:17], v[10:11], 2, s[6:7]
	global_load_dword v11, v[16:17], off
	v_add_u32_e32 v14, -13, v12
	v_add_u32_e32 v16, -6, v12
	v_mov_b32_e32 v17, v15
	v_mov_b32_e32 v13, v15
	v_lshl_add_u64 v[26:27], v[14:15], 3, s[8:9]
	v_lshl_add_u64 v[16:17], v[16:17], 3, s[8:9]
	;; [unrolled: 1-line block ×3, first 2 shown]
	global_load_dwordx4 v[20:23], v[26:27], off
	global_load_dwordx2 v[30:31], v[16:17], off
	global_load_dwordx2 v[32:33], v[28:29], off
	v_mov_b32_e32 v25, v15
	v_add_u32_e32 v10, 64, v10
	v_cmp_ge_i32_e32 vcc, v10, v18
	s_or_b64 s[2:3], vcc, s[2:3]
	s_waitcnt vmcnt(3)
	v_subrev_u32_e32 v11, s12, v11
	v_mul_lo_u32 v24, v11, 7
	v_add_u32_e32 v14, 1, v24
	v_lshl_add_u64 v[26:27], v[14:15], 3, s[10:11]
	v_add_u32_e32 v14, -5, v12
	v_lshl_add_u64 v[28:29], v[14:15], 3, s[8:9]
	v_add_u32_e32 v14, -11, v12
	v_lshl_add_u64 v[16:17], v[24:25], 3, s[10:11]
	v_lshl_add_u64 v[34:35], v[14:15], 3, s[8:9]
	v_add_u32_e32 v14, 2, v24
	global_load_dwordx2 v[16:17], v[16:17], off
	s_nop 0
	global_load_dwordx2 v[26:27], v[26:27], off
	s_nop 0
	global_load_dwordx2 v[36:37], v[28:29], off
	global_load_dwordx2 v[38:39], v[34:35], off
	v_lshl_add_u64 v[28:29], v[14:15], 3, s[10:11]
	v_add_u32_e32 v14, -4, v12
	v_lshl_add_u64 v[34:35], v[14:15], 3, s[8:9]
	v_add_u32_e32 v14, -10, v12
	v_lshl_add_u64 v[40:41], v[14:15], 3, s[8:9]
	v_add_u32_e32 v14, 3, v24
	global_load_dwordx2 v[28:29], v[28:29], off
	s_nop 0
	global_load_dwordx2 v[42:43], v[34:35], off
	global_load_dwordx2 v[44:45], v[40:41], off
	v_lshl_add_u64 v[34:35], v[14:15], 3, s[10:11]
	v_add_u32_e32 v14, -3, v12
	v_lshl_add_u64 v[40:41], v[14:15], 3, s[8:9]
	v_add_u32_e32 v14, -9, v12
	v_lshl_add_u64 v[46:47], v[14:15], 3, s[8:9]
	v_add_u32_e32 v14, 4, v24
	;; [unrolled: 10-line block ×4, first 2 shown]
	global_load_dwordx2 v[46:47], v[46:47], off
	s_nop 0
	global_load_dwordx2 v[24:25], v[52:53], off
	global_load_dwordx2 v[60:61], v[58:59], off
	v_lshl_add_u64 v[52:53], v[14:15], 3, s[10:11]
	global_load_dwordx2 v[52:53], v[52:53], off
	v_add_u32_e32 v12, 0x380, v12
	s_waitcnt vmcnt(16)
	v_fmac_f64_e32 v[8:9], v[20:21], v[16:17]
	v_fmac_f64_e32 v[0:1], v[30:31], v[16:17]
	s_waitcnt vmcnt(15)
	v_fmac_f64_e32 v[8:9], v[22:23], v[26:27]
	s_waitcnt vmcnt(14)
	;; [unrolled: 2-line block ×11, first 2 shown]
	v_fmac_f64_e32 v[8:9], v[60:61], v[52:53]
	v_fmac_f64_e32 v[0:1], v[32:33], v[52:53]
	s_andn2_b64 exec, exec, s[2:3]
	s_cbranch_execnz .LBB105_15
; %bb.16:
	s_or_b64 exec, exec, s[2:3]
.LBB105_17:
	s_or_b64 exec, exec, s[4:5]
.LBB105_18:
	v_mov_b32_dpp v10, v8 row_shr:1 row_mask:0xf bank_mask:0xf
	v_mov_b32_dpp v11, v9 row_shr:1 row_mask:0xf bank_mask:0xf
	v_mov_b32_dpp v12, v0 row_shr:1 row_mask:0xf bank_mask:0xf
	v_mov_b32_dpp v13, v1 row_shr:1 row_mask:0xf bank_mask:0xf
	v_add_f64 v[8:9], v[8:9], v[10:11]
	v_add_f64 v[0:1], v[0:1], v[12:13]
	v_cmp_eq_u32_e32 vcc, 63, v7
	v_mov_b32_dpp v10, v8 row_shr:2 row_mask:0xf bank_mask:0xf
	v_mov_b32_dpp v11, v9 row_shr:2 row_mask:0xf bank_mask:0xf
	v_mov_b32_dpp v12, v0 row_shr:2 row_mask:0xf bank_mask:0xf
	v_mov_b32_dpp v13, v1 row_shr:2 row_mask:0xf bank_mask:0xf
	v_add_f64 v[8:9], v[8:9], v[10:11]
	v_add_f64 v[0:1], v[0:1], v[12:13]
	s_nop 0
	v_mov_b32_dpp v10, v8 row_shr:4 row_mask:0xf bank_mask:0xe
	v_mov_b32_dpp v11, v9 row_shr:4 row_mask:0xf bank_mask:0xe
	v_mov_b32_dpp v12, v0 row_shr:4 row_mask:0xf bank_mask:0xe
	v_mov_b32_dpp v13, v1 row_shr:4 row_mask:0xf bank_mask:0xe
	v_add_f64 v[8:9], v[8:9], v[10:11]
	v_add_f64 v[0:1], v[0:1], v[12:13]
	s_nop 0
	;; [unrolled: 7-line block ×3, first 2 shown]
	v_mov_b32_dpp v10, v8 row_bcast:15 row_mask:0xa bank_mask:0xf
	v_mov_b32_dpp v11, v9 row_bcast:15 row_mask:0xa bank_mask:0xf
	;; [unrolled: 1-line block ×4, first 2 shown]
	v_add_f64 v[8:9], v[8:9], v[10:11]
	v_add_f64 v[0:1], v[0:1], v[12:13]
	s_nop 0
	v_mov_b32_dpp v10, v8 row_bcast:31 row_mask:0xc bank_mask:0xf
	v_mov_b32_dpp v11, v9 row_bcast:31 row_mask:0xc bank_mask:0xf
	;; [unrolled: 1-line block ×4, first 2 shown]
	s_and_b64 exec, exec, vcc
	s_cbranch_execz .LBB105_23
; %bb.19:
	s_load_dwordx2 s[0:1], s[0:1], 0x38
	v_add_f64 v[8:9], v[8:9], v[10:11]
	v_add_f64 v[0:1], v[0:1], v[12:13]
	v_cmp_eq_f64_e32 vcc, 0, v[4:5]
	s_and_saveexec_b64 s[2:3], vcc
	s_xor_b64 s[2:3], exec, s[2:3]
	s_cbranch_execz .LBB105_21
; %bb.20:
	v_lshlrev_b32_e32 v6, 1, v6
	v_ashrrev_i32_e32 v7, 31, v6
	v_mul_f64 v[4:5], v[2:3], v[8:9]
	s_waitcnt lgkmcnt(0)
	v_lshl_add_u64 v[8:9], v[6:7], 3, s[0:1]
	v_mul_f64 v[6:7], v[2:3], v[0:1]
	global_store_dwordx4 v[8:9], v[4:7], off
                                        ; implicit-def: $vgpr6
                                        ; implicit-def: $vgpr2_vgpr3
                                        ; implicit-def: $vgpr8_vgpr9
                                        ; implicit-def: $vgpr4_vgpr5
                                        ; implicit-def: $vgpr0_vgpr1
.LBB105_21:
	s_andn2_saveexec_b64 s[2:3], s[2:3]
	s_cbranch_execz .LBB105_23
; %bb.22:
	v_lshlrev_b32_e32 v6, 1, v6
	v_ashrrev_i32_e32 v7, 31, v6
	s_waitcnt lgkmcnt(0)
	v_lshl_add_u64 v[14:15], v[6:7], 3, s[0:1]
	global_load_dwordx4 v[10:13], v[14:15], off
	v_mul_f64 v[6:7], v[2:3], v[8:9]
	v_mul_f64 v[8:9], v[2:3], v[0:1]
	s_waitcnt vmcnt(0)
	v_fmac_f64_e32 v[6:7], v[4:5], v[10:11]
	v_fmac_f64_e32 v[8:9], v[4:5], v[12:13]
	global_store_dwordx4 v[14:15], v[6:9], off
.LBB105_23:
	s_endpgm
	.section	.rodata,"a",@progbits
	.p2align	6, 0x0
	.amdhsa_kernel _ZN9rocsparseL19gebsrmvn_2xn_kernelILj128ELj7ELj64EdEEvi20rocsparse_direction_NS_24const_host_device_scalarIT2_EEPKiS6_PKS3_S8_S4_PS3_21rocsparse_index_base_b
		.amdhsa_group_segment_fixed_size 0
		.amdhsa_private_segment_fixed_size 0
		.amdhsa_kernarg_size 72
		.amdhsa_user_sgpr_count 2
		.amdhsa_user_sgpr_dispatch_ptr 0
		.amdhsa_user_sgpr_queue_ptr 0
		.amdhsa_user_sgpr_kernarg_segment_ptr 1
		.amdhsa_user_sgpr_dispatch_id 0
		.amdhsa_user_sgpr_kernarg_preload_length 0
		.amdhsa_user_sgpr_kernarg_preload_offset 0
		.amdhsa_user_sgpr_private_segment_size 0
		.amdhsa_uses_dynamic_stack 0
		.amdhsa_enable_private_segment 0
		.amdhsa_system_sgpr_workgroup_id_x 1
		.amdhsa_system_sgpr_workgroup_id_y 0
		.amdhsa_system_sgpr_workgroup_id_z 0
		.amdhsa_system_sgpr_workgroup_info 0
		.amdhsa_system_vgpr_workitem_id 0
		.amdhsa_next_free_vgpr 62
		.amdhsa_next_free_sgpr 18
		.amdhsa_accum_offset 64
		.amdhsa_reserve_vcc 1
		.amdhsa_float_round_mode_32 0
		.amdhsa_float_round_mode_16_64 0
		.amdhsa_float_denorm_mode_32 3
		.amdhsa_float_denorm_mode_16_64 3
		.amdhsa_dx10_clamp 1
		.amdhsa_ieee_mode 1
		.amdhsa_fp16_overflow 0
		.amdhsa_tg_split 0
		.amdhsa_exception_fp_ieee_invalid_op 0
		.amdhsa_exception_fp_denorm_src 0
		.amdhsa_exception_fp_ieee_div_zero 0
		.amdhsa_exception_fp_ieee_overflow 0
		.amdhsa_exception_fp_ieee_underflow 0
		.amdhsa_exception_fp_ieee_inexact 0
		.amdhsa_exception_int_div_zero 0
	.end_amdhsa_kernel
	.section	.text._ZN9rocsparseL19gebsrmvn_2xn_kernelILj128ELj7ELj64EdEEvi20rocsparse_direction_NS_24const_host_device_scalarIT2_EEPKiS6_PKS3_S8_S4_PS3_21rocsparse_index_base_b,"axG",@progbits,_ZN9rocsparseL19gebsrmvn_2xn_kernelILj128ELj7ELj64EdEEvi20rocsparse_direction_NS_24const_host_device_scalarIT2_EEPKiS6_PKS3_S8_S4_PS3_21rocsparse_index_base_b,comdat
.Lfunc_end105:
	.size	_ZN9rocsparseL19gebsrmvn_2xn_kernelILj128ELj7ELj64EdEEvi20rocsparse_direction_NS_24const_host_device_scalarIT2_EEPKiS6_PKS3_S8_S4_PS3_21rocsparse_index_base_b, .Lfunc_end105-_ZN9rocsparseL19gebsrmvn_2xn_kernelILj128ELj7ELj64EdEEvi20rocsparse_direction_NS_24const_host_device_scalarIT2_EEPKiS6_PKS3_S8_S4_PS3_21rocsparse_index_base_b
                                        ; -- End function
	.section	.AMDGPU.csdata,"",@progbits
; Kernel info:
; codeLenInByte = 1820
; NumSgprs: 24
; NumVgprs: 62
; NumAgprs: 0
; TotalNumVgprs: 62
; ScratchSize: 0
; MemoryBound: 0
; FloatMode: 240
; IeeeMode: 1
; LDSByteSize: 0 bytes/workgroup (compile time only)
; SGPRBlocks: 2
; VGPRBlocks: 7
; NumSGPRsForWavesPerEU: 24
; NumVGPRsForWavesPerEU: 62
; AccumOffset: 64
; Occupancy: 8
; WaveLimiterHint : 1
; COMPUTE_PGM_RSRC2:SCRATCH_EN: 0
; COMPUTE_PGM_RSRC2:USER_SGPR: 2
; COMPUTE_PGM_RSRC2:TRAP_HANDLER: 0
; COMPUTE_PGM_RSRC2:TGID_X_EN: 1
; COMPUTE_PGM_RSRC2:TGID_Y_EN: 0
; COMPUTE_PGM_RSRC2:TGID_Z_EN: 0
; COMPUTE_PGM_RSRC2:TIDIG_COMP_CNT: 0
; COMPUTE_PGM_RSRC3_GFX90A:ACCUM_OFFSET: 15
; COMPUTE_PGM_RSRC3_GFX90A:TG_SPLIT: 0
	.section	.text._ZN9rocsparseL19gebsrmvn_2xn_kernelILj128ELj8ELj4EdEEvi20rocsparse_direction_NS_24const_host_device_scalarIT2_EEPKiS6_PKS3_S8_S4_PS3_21rocsparse_index_base_b,"axG",@progbits,_ZN9rocsparseL19gebsrmvn_2xn_kernelILj128ELj8ELj4EdEEvi20rocsparse_direction_NS_24const_host_device_scalarIT2_EEPKiS6_PKS3_S8_S4_PS3_21rocsparse_index_base_b,comdat
	.globl	_ZN9rocsparseL19gebsrmvn_2xn_kernelILj128ELj8ELj4EdEEvi20rocsparse_direction_NS_24const_host_device_scalarIT2_EEPKiS6_PKS3_S8_S4_PS3_21rocsparse_index_base_b ; -- Begin function _ZN9rocsparseL19gebsrmvn_2xn_kernelILj128ELj8ELj4EdEEvi20rocsparse_direction_NS_24const_host_device_scalarIT2_EEPKiS6_PKS3_S8_S4_PS3_21rocsparse_index_base_b
	.p2align	8
	.type	_ZN9rocsparseL19gebsrmvn_2xn_kernelILj128ELj8ELj4EdEEvi20rocsparse_direction_NS_24const_host_device_scalarIT2_EEPKiS6_PKS3_S8_S4_PS3_21rocsparse_index_base_b,@function
_ZN9rocsparseL19gebsrmvn_2xn_kernelILj128ELj8ELj4EdEEvi20rocsparse_direction_NS_24const_host_device_scalarIT2_EEPKiS6_PKS3_S8_S4_PS3_21rocsparse_index_base_b: ; @_ZN9rocsparseL19gebsrmvn_2xn_kernelILj128ELj8ELj4EdEEvi20rocsparse_direction_NS_24const_host_device_scalarIT2_EEPKiS6_PKS3_S8_S4_PS3_21rocsparse_index_base_b
; %bb.0:
	s_load_dwordx2 s[12:13], s[0:1], 0x40
	s_load_dwordx2 s[8:9], s[0:1], 0x8
	;; [unrolled: 1-line block ×3, first 2 shown]
	s_waitcnt lgkmcnt(0)
	s_bitcmp1_b32 s13, 0
	s_cselect_b64 s[10:11], -1, 0
	s_xor_b64 s[6:7], s[10:11], -1
	s_and_b64 vcc, exec, s[10:11]
	v_mov_b64_e32 v[2:3], s[8:9]
	s_cbranch_vccnz .LBB106_2
; %bb.1:
	v_mov_b64_e32 v[2:3], s[8:9]
	flat_load_dwordx2 v[2:3], v[2:3]
.LBB106_2:
	s_andn2_b64 vcc, exec, s[6:7]
	v_mov_b64_e32 v[4:5], s[4:5]
	s_cbranch_vccnz .LBB106_4
; %bb.3:
	v_mov_b64_e32 v[4:5], s[4:5]
	flat_load_dwordx2 v[4:5], v[4:5]
.LBB106_4:
	s_waitcnt vmcnt(0) lgkmcnt(0)
	v_cmp_neq_f64_e32 vcc, 0, v[2:3]
	v_cmp_neq_f64_e64 s[4:5], 1.0, v[4:5]
	s_or_b64 s[4:5], vcc, s[4:5]
	s_and_saveexec_b64 s[6:7], s[4:5]
	s_cbranch_execz .LBB106_23
; %bb.5:
	s_load_dwordx2 s[14:15], s[0:1], 0x0
	v_lshrrev_b32_e32 v1, 2, v0
	v_lshl_or_b32 v6, s2, 5, v1
	s_waitcnt lgkmcnt(0)
	v_cmp_gt_i32_e32 vcc, s14, v6
	s_and_b64 exec, exec, vcc
	s_cbranch_execz .LBB106_23
; %bb.6:
	s_load_dwordx8 s[4:11], s[0:1], 0x10
	v_ashrrev_i32_e32 v7, 31, v6
	s_cmp_lg_u32 s15, 0
	s_waitcnt lgkmcnt(0)
	v_lshl_add_u64 v[8:9], v[6:7], 2, s[4:5]
	global_load_dwordx2 v[8:9], v[8:9], off
	v_and_b32_e32 v7, 3, v0
	s_waitcnt vmcnt(0)
	v_subrev_u32_e32 v0, s12, v8
	v_subrev_u32_e32 v16, s12, v9
	v_add_u32_e32 v8, v0, v7
	v_cmp_lt_i32_e64 s[2:3], v8, v16
	s_cbranch_scc0 .LBB106_12
; %bb.7:
	v_mov_b64_e32 v[0:1], 0
	s_mov_b64 s[4:5], 0
	v_mov_b64_e32 v[10:11], v[0:1]
	s_and_saveexec_b64 s[14:15], s[2:3]
	s_cbranch_execz .LBB106_11
; %bb.8:
	v_mov_b64_e32 v[0:1], 0
	v_lshlrev_b32_e32 v12, 4, v8
	s_mov_b64 s[16:17], 0
	v_mov_b32_e32 v13, 0
	v_mov_b32_e32 v14, v8
	v_mov_b64_e32 v[10:11], v[0:1]
.LBB106_9:                              ; =>This Inner Loop Header: Depth=1
	v_ashrrev_i32_e32 v15, 31, v14
	v_lshl_add_u64 v[18:19], v[14:15], 2, s[6:7]
	global_load_dword v9, v[18:19], off
	v_lshl_add_u64 v[66:67], v[12:13], 3, s[8:9]
	global_load_dwordx4 v[18:21], v[66:67], off offset:48
	global_load_dwordx4 v[22:25], v[66:67], off offset:32
	;; [unrolled: 1-line block ×3, first 2 shown]
	global_load_dwordx4 v[30:33], v[66:67], off
	global_load_dwordx4 v[34:37], v[66:67], off offset:80
	global_load_dwordx4 v[38:41], v[66:67], off offset:64
	v_mov_b32_e32 v43, v13
	v_add_u32_e32 v14, 4, v14
	v_cmp_ge_i32_e32 vcc, v14, v16
	v_add_u32_e32 v12, 64, v12
	s_or_b64 s[16:17], vcc, s[16:17]
	s_waitcnt vmcnt(6)
	v_subrev_u32_e32 v9, s12, v9
	v_lshlrev_b32_e32 v42, 3, v9
	v_lshl_add_u64 v[68:69], v[42:43], 3, s[10:11]
	global_load_dwordx4 v[42:45], v[68:69], off
	global_load_dwordx4 v[46:49], v[68:69], off offset:16
	global_load_dwordx4 v[50:53], v[68:69], off offset:32
	;; [unrolled: 1-line block ×5, first 2 shown]
	s_waitcnt vmcnt(5)
	v_fmac_f64_e32 v[0:1], v[30:31], v[42:43]
	v_fmac_f64_e32 v[10:11], v[32:33], v[42:43]
	v_fmac_f64_e32 v[0:1], v[26:27], v[44:45]
	v_fmac_f64_e32 v[10:11], v[28:29], v[44:45]
	s_waitcnt vmcnt(4)
	v_fmac_f64_e32 v[0:1], v[22:23], v[46:47]
	v_fmac_f64_e32 v[10:11], v[24:25], v[46:47]
	v_fmac_f64_e32 v[0:1], v[18:19], v[48:49]
	v_fmac_f64_e32 v[10:11], v[20:21], v[48:49]
	;; [unrolled: 5-line block ×3, first 2 shown]
	s_waitcnt vmcnt(1)
	v_fmac_f64_e32 v[0:1], v[58:59], v[54:55]
	v_fmac_f64_e32 v[10:11], v[60:61], v[54:55]
	s_waitcnt vmcnt(0)
	v_fmac_f64_e32 v[0:1], v[62:63], v[56:57]
	v_fmac_f64_e32 v[10:11], v[64:65], v[56:57]
	s_andn2_b64 exec, exec, s[16:17]
	s_cbranch_execnz .LBB106_9
; %bb.10:
	s_or_b64 exec, exec, s[16:17]
.LBB106_11:
	s_or_b64 exec, exec, s[14:15]
	s_andn2_b64 vcc, exec, s[4:5]
	s_cbranch_vccz .LBB106_13
	s_branch .LBB106_18
.LBB106_12:
                                        ; implicit-def: $vgpr0_vgpr1
                                        ; implicit-def: $vgpr10_vgpr11
.LBB106_13:
	v_mov_b64_e32 v[0:1], 0
	v_mov_b64_e32 v[10:11], v[0:1]
	s_and_saveexec_b64 s[4:5], s[2:3]
	s_cbranch_execz .LBB106_17
; %bb.14:
	v_mov_b64_e32 v[0:1], 0
	v_lshlrev_b32_e32 v12, 4, v8
	s_mov_b64 s[2:3], 0
	v_mov_b32_e32 v13, 0
	v_mov_b64_e32 v[10:11], v[0:1]
.LBB106_15:                             ; =>This Inner Loop Header: Depth=1
	v_ashrrev_i32_e32 v9, 31, v8
	v_lshl_add_u64 v[14:15], v[8:9], 2, s[6:7]
	global_load_dword v9, v[14:15], off
	v_lshl_add_u64 v[14:15], v[12:13], 3, s[8:9]
	global_load_dwordx4 v[18:21], v[14:15], off offset:48
	global_load_dwordx4 v[22:25], v[14:15], off offset:32
	;; [unrolled: 1-line block ×3, first 2 shown]
	global_load_dwordx4 v[30:33], v[14:15], off
	global_load_dwordx4 v[34:37], v[14:15], off offset:112
	global_load_dwordx4 v[38:41], v[14:15], off offset:96
	;; [unrolled: 1-line block ×4, first 2 shown]
	v_mov_b32_e32 v51, v13
	v_add_u32_e32 v8, 4, v8
	v_cmp_ge_i32_e32 vcc, v8, v16
	v_add_u32_e32 v12, 64, v12
	s_or_b64 s[2:3], vcc, s[2:3]
	s_waitcnt vmcnt(8)
	v_subrev_u32_e32 v9, s12, v9
	v_lshlrev_b32_e32 v50, 3, v9
	v_lshl_add_u64 v[14:15], v[50:51], 3, s[10:11]
	global_load_dwordx4 v[50:53], v[14:15], off
	global_load_dwordx4 v[54:57], v[14:15], off offset:16
	global_load_dwordx4 v[58:61], v[14:15], off offset:32
	;; [unrolled: 1-line block ×3, first 2 shown]
	s_waitcnt vmcnt(3)
	v_fmac_f64_e32 v[0:1], v[30:31], v[50:51]
	v_fmac_f64_e32 v[10:11], v[46:47], v[50:51]
	v_fmac_f64_e32 v[0:1], v[32:33], v[52:53]
	v_fmac_f64_e32 v[10:11], v[48:49], v[52:53]
	s_waitcnt vmcnt(2)
	v_fmac_f64_e32 v[0:1], v[26:27], v[54:55]
	v_fmac_f64_e32 v[10:11], v[42:43], v[54:55]
	v_fmac_f64_e32 v[0:1], v[28:29], v[56:57]
	v_fmac_f64_e32 v[10:11], v[44:45], v[56:57]
	;; [unrolled: 5-line block ×4, first 2 shown]
	s_andn2_b64 exec, exec, s[2:3]
	s_cbranch_execnz .LBB106_15
; %bb.16:
	s_or_b64 exec, exec, s[2:3]
.LBB106_17:
	s_or_b64 exec, exec, s[4:5]
.LBB106_18:
	v_mov_b32_dpp v8, v0 row_shr:1 row_mask:0xf bank_mask:0xf
	v_mov_b32_dpp v9, v1 row_shr:1 row_mask:0xf bank_mask:0xf
	;; [unrolled: 1-line block ×4, first 2 shown]
	v_add_f64 v[0:1], v[0:1], v[8:9]
	v_add_f64 v[10:11], v[10:11], v[12:13]
	v_cmp_eq_u32_e32 vcc, 3, v7
	v_mov_b32_dpp v8, v0 row_shr:2 row_mask:0xf bank_mask:0xf
	v_mov_b32_dpp v9, v1 row_shr:2 row_mask:0xf bank_mask:0xf
	;; [unrolled: 1-line block ×4, first 2 shown]
	s_and_b64 exec, exec, vcc
	s_cbranch_execz .LBB106_23
; %bb.19:
	s_load_dwordx2 s[0:1], s[0:1], 0x38
	v_add_f64 v[8:9], v[0:1], v[8:9]
	v_add_f64 v[0:1], v[10:11], v[12:13]
	v_cmp_eq_f64_e32 vcc, 0, v[4:5]
	s_and_saveexec_b64 s[2:3], vcc
	s_xor_b64 s[2:3], exec, s[2:3]
	s_cbranch_execz .LBB106_21
; %bb.20:
	v_lshlrev_b32_e32 v6, 1, v6
	v_ashrrev_i32_e32 v7, 31, v6
	v_mul_f64 v[4:5], v[2:3], v[8:9]
	s_waitcnt lgkmcnt(0)
	v_lshl_add_u64 v[8:9], v[6:7], 3, s[0:1]
	v_mul_f64 v[6:7], v[2:3], v[0:1]
	global_store_dwordx4 v[8:9], v[4:7], off
                                        ; implicit-def: $vgpr6
                                        ; implicit-def: $vgpr2_vgpr3
                                        ; implicit-def: $vgpr8_vgpr9
                                        ; implicit-def: $vgpr4_vgpr5
                                        ; implicit-def: $vgpr0_vgpr1
.LBB106_21:
	s_andn2_saveexec_b64 s[2:3], s[2:3]
	s_cbranch_execz .LBB106_23
; %bb.22:
	v_lshlrev_b32_e32 v6, 1, v6
	v_ashrrev_i32_e32 v7, 31, v6
	s_waitcnt lgkmcnt(0)
	v_lshl_add_u64 v[14:15], v[6:7], 3, s[0:1]
	global_load_dwordx4 v[10:13], v[14:15], off
	v_mul_f64 v[6:7], v[2:3], v[8:9]
	v_mul_f64 v[8:9], v[2:3], v[0:1]
	s_waitcnt vmcnt(0)
	v_fmac_f64_e32 v[6:7], v[4:5], v[10:11]
	v_fmac_f64_e32 v[8:9], v[4:5], v[12:13]
	global_store_dwordx4 v[14:15], v[6:9], off
.LBB106_23:
	s_endpgm
	.section	.rodata,"a",@progbits
	.p2align	6, 0x0
	.amdhsa_kernel _ZN9rocsparseL19gebsrmvn_2xn_kernelILj128ELj8ELj4EdEEvi20rocsparse_direction_NS_24const_host_device_scalarIT2_EEPKiS6_PKS3_S8_S4_PS3_21rocsparse_index_base_b
		.amdhsa_group_segment_fixed_size 0
		.amdhsa_private_segment_fixed_size 0
		.amdhsa_kernarg_size 72
		.amdhsa_user_sgpr_count 2
		.amdhsa_user_sgpr_dispatch_ptr 0
		.amdhsa_user_sgpr_queue_ptr 0
		.amdhsa_user_sgpr_kernarg_segment_ptr 1
		.amdhsa_user_sgpr_dispatch_id 0
		.amdhsa_user_sgpr_kernarg_preload_length 0
		.amdhsa_user_sgpr_kernarg_preload_offset 0
		.amdhsa_user_sgpr_private_segment_size 0
		.amdhsa_uses_dynamic_stack 0
		.amdhsa_enable_private_segment 0
		.amdhsa_system_sgpr_workgroup_id_x 1
		.amdhsa_system_sgpr_workgroup_id_y 0
		.amdhsa_system_sgpr_workgroup_id_z 0
		.amdhsa_system_sgpr_workgroup_info 0
		.amdhsa_system_vgpr_workitem_id 0
		.amdhsa_next_free_vgpr 70
		.amdhsa_next_free_sgpr 18
		.amdhsa_accum_offset 72
		.amdhsa_reserve_vcc 1
		.amdhsa_float_round_mode_32 0
		.amdhsa_float_round_mode_16_64 0
		.amdhsa_float_denorm_mode_32 3
		.amdhsa_float_denorm_mode_16_64 3
		.amdhsa_dx10_clamp 1
		.amdhsa_ieee_mode 1
		.amdhsa_fp16_overflow 0
		.amdhsa_tg_split 0
		.amdhsa_exception_fp_ieee_invalid_op 0
		.amdhsa_exception_fp_denorm_src 0
		.amdhsa_exception_fp_ieee_div_zero 0
		.amdhsa_exception_fp_ieee_overflow 0
		.amdhsa_exception_fp_ieee_underflow 0
		.amdhsa_exception_fp_ieee_inexact 0
		.amdhsa_exception_int_div_zero 0
	.end_amdhsa_kernel
	.section	.text._ZN9rocsparseL19gebsrmvn_2xn_kernelILj128ELj8ELj4EdEEvi20rocsparse_direction_NS_24const_host_device_scalarIT2_EEPKiS6_PKS3_S8_S4_PS3_21rocsparse_index_base_b,"axG",@progbits,_ZN9rocsparseL19gebsrmvn_2xn_kernelILj128ELj8ELj4EdEEvi20rocsparse_direction_NS_24const_host_device_scalarIT2_EEPKiS6_PKS3_S8_S4_PS3_21rocsparse_index_base_b,comdat
.Lfunc_end106:
	.size	_ZN9rocsparseL19gebsrmvn_2xn_kernelILj128ELj8ELj4EdEEvi20rocsparse_direction_NS_24const_host_device_scalarIT2_EEPKiS6_PKS3_S8_S4_PS3_21rocsparse_index_base_b, .Lfunc_end106-_ZN9rocsparseL19gebsrmvn_2xn_kernelILj128ELj8ELj4EdEEvi20rocsparse_direction_NS_24const_host_device_scalarIT2_EEPKiS6_PKS3_S8_S4_PS3_21rocsparse_index_base_b
                                        ; -- End function
	.section	.AMDGPU.csdata,"",@progbits
; Kernel info:
; codeLenInByte = 1088
; NumSgprs: 24
; NumVgprs: 70
; NumAgprs: 0
; TotalNumVgprs: 70
; ScratchSize: 0
; MemoryBound: 1
; FloatMode: 240
; IeeeMode: 1
; LDSByteSize: 0 bytes/workgroup (compile time only)
; SGPRBlocks: 2
; VGPRBlocks: 8
; NumSGPRsForWavesPerEU: 24
; NumVGPRsForWavesPerEU: 70
; AccumOffset: 72
; Occupancy: 7
; WaveLimiterHint : 1
; COMPUTE_PGM_RSRC2:SCRATCH_EN: 0
; COMPUTE_PGM_RSRC2:USER_SGPR: 2
; COMPUTE_PGM_RSRC2:TRAP_HANDLER: 0
; COMPUTE_PGM_RSRC2:TGID_X_EN: 1
; COMPUTE_PGM_RSRC2:TGID_Y_EN: 0
; COMPUTE_PGM_RSRC2:TGID_Z_EN: 0
; COMPUTE_PGM_RSRC2:TIDIG_COMP_CNT: 0
; COMPUTE_PGM_RSRC3_GFX90A:ACCUM_OFFSET: 17
; COMPUTE_PGM_RSRC3_GFX90A:TG_SPLIT: 0
	.section	.text._ZN9rocsparseL19gebsrmvn_2xn_kernelILj128ELj8ELj8EdEEvi20rocsparse_direction_NS_24const_host_device_scalarIT2_EEPKiS6_PKS3_S8_S4_PS3_21rocsparse_index_base_b,"axG",@progbits,_ZN9rocsparseL19gebsrmvn_2xn_kernelILj128ELj8ELj8EdEEvi20rocsparse_direction_NS_24const_host_device_scalarIT2_EEPKiS6_PKS3_S8_S4_PS3_21rocsparse_index_base_b,comdat
	.globl	_ZN9rocsparseL19gebsrmvn_2xn_kernelILj128ELj8ELj8EdEEvi20rocsparse_direction_NS_24const_host_device_scalarIT2_EEPKiS6_PKS3_S8_S4_PS3_21rocsparse_index_base_b ; -- Begin function _ZN9rocsparseL19gebsrmvn_2xn_kernelILj128ELj8ELj8EdEEvi20rocsparse_direction_NS_24const_host_device_scalarIT2_EEPKiS6_PKS3_S8_S4_PS3_21rocsparse_index_base_b
	.p2align	8
	.type	_ZN9rocsparseL19gebsrmvn_2xn_kernelILj128ELj8ELj8EdEEvi20rocsparse_direction_NS_24const_host_device_scalarIT2_EEPKiS6_PKS3_S8_S4_PS3_21rocsparse_index_base_b,@function
_ZN9rocsparseL19gebsrmvn_2xn_kernelILj128ELj8ELj8EdEEvi20rocsparse_direction_NS_24const_host_device_scalarIT2_EEPKiS6_PKS3_S8_S4_PS3_21rocsparse_index_base_b: ; @_ZN9rocsparseL19gebsrmvn_2xn_kernelILj128ELj8ELj8EdEEvi20rocsparse_direction_NS_24const_host_device_scalarIT2_EEPKiS6_PKS3_S8_S4_PS3_21rocsparse_index_base_b
; %bb.0:
	s_load_dwordx2 s[12:13], s[0:1], 0x40
	s_load_dwordx2 s[8:9], s[0:1], 0x8
	;; [unrolled: 1-line block ×3, first 2 shown]
	s_waitcnt lgkmcnt(0)
	s_bitcmp1_b32 s13, 0
	s_cselect_b64 s[10:11], -1, 0
	s_xor_b64 s[6:7], s[10:11], -1
	s_and_b64 vcc, exec, s[10:11]
	v_mov_b64_e32 v[2:3], s[8:9]
	s_cbranch_vccnz .LBB107_2
; %bb.1:
	v_mov_b64_e32 v[2:3], s[8:9]
	flat_load_dwordx2 v[2:3], v[2:3]
.LBB107_2:
	s_andn2_b64 vcc, exec, s[6:7]
	v_mov_b64_e32 v[4:5], s[4:5]
	s_cbranch_vccnz .LBB107_4
; %bb.3:
	v_mov_b64_e32 v[4:5], s[4:5]
	flat_load_dwordx2 v[4:5], v[4:5]
.LBB107_4:
	s_waitcnt vmcnt(0) lgkmcnt(0)
	v_cmp_neq_f64_e32 vcc, 0, v[2:3]
	v_cmp_neq_f64_e64 s[4:5], 1.0, v[4:5]
	s_or_b64 s[4:5], vcc, s[4:5]
	s_and_saveexec_b64 s[6:7], s[4:5]
	s_cbranch_execz .LBB107_23
; %bb.5:
	s_load_dwordx2 s[14:15], s[0:1], 0x0
	v_lshrrev_b32_e32 v1, 3, v0
	v_lshl_or_b32 v6, s2, 4, v1
	s_waitcnt lgkmcnt(0)
	v_cmp_gt_i32_e32 vcc, s14, v6
	s_and_b64 exec, exec, vcc
	s_cbranch_execz .LBB107_23
; %bb.6:
	s_load_dwordx8 s[4:11], s[0:1], 0x10
	v_ashrrev_i32_e32 v7, 31, v6
	s_cmp_lg_u32 s15, 0
	s_waitcnt lgkmcnt(0)
	v_lshl_add_u64 v[8:9], v[6:7], 2, s[4:5]
	global_load_dwordx2 v[8:9], v[8:9], off
	v_and_b32_e32 v7, 7, v0
	s_waitcnt vmcnt(0)
	v_subrev_u32_e32 v0, s12, v8
	v_subrev_u32_e32 v16, s12, v9
	v_add_u32_e32 v8, v0, v7
	v_cmp_lt_i32_e64 s[2:3], v8, v16
	s_cbranch_scc0 .LBB107_12
; %bb.7:
	v_mov_b64_e32 v[0:1], 0
	s_mov_b64 s[4:5], 0
	v_mov_b64_e32 v[10:11], v[0:1]
	s_and_saveexec_b64 s[14:15], s[2:3]
	s_cbranch_execz .LBB107_11
; %bb.8:
	v_mov_b64_e32 v[0:1], 0
	v_lshlrev_b32_e32 v12, 4, v8
	s_mov_b64 s[16:17], 0
	v_mov_b32_e32 v13, 0
	v_mov_b32_e32 v14, v8
	v_mov_b64_e32 v[10:11], v[0:1]
.LBB107_9:                              ; =>This Inner Loop Header: Depth=1
	v_ashrrev_i32_e32 v15, 31, v14
	v_lshl_add_u64 v[18:19], v[14:15], 2, s[6:7]
	global_load_dword v9, v[18:19], off
	v_lshl_add_u64 v[66:67], v[12:13], 3, s[8:9]
	global_load_dwordx4 v[18:21], v[66:67], off offset:48
	global_load_dwordx4 v[22:25], v[66:67], off offset:32
	;; [unrolled: 1-line block ×3, first 2 shown]
	global_load_dwordx4 v[30:33], v[66:67], off
	global_load_dwordx4 v[34:37], v[66:67], off offset:80
	global_load_dwordx4 v[38:41], v[66:67], off offset:64
	v_mov_b32_e32 v43, v13
	v_add_u32_e32 v14, 8, v14
	v_cmp_ge_i32_e32 vcc, v14, v16
	v_add_u32_e32 v12, 0x80, v12
	s_or_b64 s[16:17], vcc, s[16:17]
	s_waitcnt vmcnt(6)
	v_subrev_u32_e32 v9, s12, v9
	v_lshlrev_b32_e32 v42, 3, v9
	v_lshl_add_u64 v[68:69], v[42:43], 3, s[10:11]
	global_load_dwordx4 v[42:45], v[68:69], off
	global_load_dwordx4 v[46:49], v[68:69], off offset:16
	global_load_dwordx4 v[50:53], v[68:69], off offset:32
	;; [unrolled: 1-line block ×5, first 2 shown]
	s_waitcnt vmcnt(5)
	v_fmac_f64_e32 v[0:1], v[30:31], v[42:43]
	v_fmac_f64_e32 v[10:11], v[32:33], v[42:43]
	v_fmac_f64_e32 v[0:1], v[26:27], v[44:45]
	v_fmac_f64_e32 v[10:11], v[28:29], v[44:45]
	s_waitcnt vmcnt(4)
	v_fmac_f64_e32 v[0:1], v[22:23], v[46:47]
	v_fmac_f64_e32 v[10:11], v[24:25], v[46:47]
	v_fmac_f64_e32 v[0:1], v[18:19], v[48:49]
	v_fmac_f64_e32 v[10:11], v[20:21], v[48:49]
	;; [unrolled: 5-line block ×3, first 2 shown]
	s_waitcnt vmcnt(1)
	v_fmac_f64_e32 v[0:1], v[58:59], v[54:55]
	v_fmac_f64_e32 v[10:11], v[60:61], v[54:55]
	s_waitcnt vmcnt(0)
	v_fmac_f64_e32 v[0:1], v[62:63], v[56:57]
	v_fmac_f64_e32 v[10:11], v[64:65], v[56:57]
	s_andn2_b64 exec, exec, s[16:17]
	s_cbranch_execnz .LBB107_9
; %bb.10:
	s_or_b64 exec, exec, s[16:17]
.LBB107_11:
	s_or_b64 exec, exec, s[14:15]
	s_andn2_b64 vcc, exec, s[4:5]
	s_cbranch_vccz .LBB107_13
	s_branch .LBB107_18
.LBB107_12:
                                        ; implicit-def: $vgpr0_vgpr1
                                        ; implicit-def: $vgpr10_vgpr11
.LBB107_13:
	v_mov_b64_e32 v[0:1], 0
	v_mov_b64_e32 v[10:11], v[0:1]
	s_and_saveexec_b64 s[4:5], s[2:3]
	s_cbranch_execz .LBB107_17
; %bb.14:
	v_mov_b64_e32 v[0:1], 0
	v_lshlrev_b32_e32 v12, 4, v8
	s_mov_b64 s[2:3], 0
	v_mov_b32_e32 v13, 0
	v_mov_b64_e32 v[10:11], v[0:1]
.LBB107_15:                             ; =>This Inner Loop Header: Depth=1
	v_ashrrev_i32_e32 v9, 31, v8
	v_lshl_add_u64 v[14:15], v[8:9], 2, s[6:7]
	global_load_dword v9, v[14:15], off
	v_lshl_add_u64 v[14:15], v[12:13], 3, s[8:9]
	global_load_dwordx4 v[18:21], v[14:15], off offset:48
	global_load_dwordx4 v[22:25], v[14:15], off offset:32
	;; [unrolled: 1-line block ×3, first 2 shown]
	global_load_dwordx4 v[30:33], v[14:15], off
	global_load_dwordx4 v[34:37], v[14:15], off offset:112
	global_load_dwordx4 v[38:41], v[14:15], off offset:96
	;; [unrolled: 1-line block ×4, first 2 shown]
	v_mov_b32_e32 v51, v13
	v_add_u32_e32 v8, 8, v8
	v_cmp_ge_i32_e32 vcc, v8, v16
	v_add_u32_e32 v12, 0x80, v12
	s_or_b64 s[2:3], vcc, s[2:3]
	s_waitcnt vmcnt(8)
	v_subrev_u32_e32 v9, s12, v9
	v_lshlrev_b32_e32 v50, 3, v9
	v_lshl_add_u64 v[14:15], v[50:51], 3, s[10:11]
	global_load_dwordx4 v[50:53], v[14:15], off
	global_load_dwordx4 v[54:57], v[14:15], off offset:16
	global_load_dwordx4 v[58:61], v[14:15], off offset:32
	;; [unrolled: 1-line block ×3, first 2 shown]
	s_waitcnt vmcnt(3)
	v_fmac_f64_e32 v[0:1], v[30:31], v[50:51]
	v_fmac_f64_e32 v[10:11], v[46:47], v[50:51]
	v_fmac_f64_e32 v[0:1], v[32:33], v[52:53]
	v_fmac_f64_e32 v[10:11], v[48:49], v[52:53]
	s_waitcnt vmcnt(2)
	v_fmac_f64_e32 v[0:1], v[26:27], v[54:55]
	v_fmac_f64_e32 v[10:11], v[42:43], v[54:55]
	v_fmac_f64_e32 v[0:1], v[28:29], v[56:57]
	v_fmac_f64_e32 v[10:11], v[44:45], v[56:57]
	;; [unrolled: 5-line block ×4, first 2 shown]
	s_andn2_b64 exec, exec, s[2:3]
	s_cbranch_execnz .LBB107_15
; %bb.16:
	s_or_b64 exec, exec, s[2:3]
.LBB107_17:
	s_or_b64 exec, exec, s[4:5]
.LBB107_18:
	v_mov_b32_dpp v8, v0 row_shr:1 row_mask:0xf bank_mask:0xf
	v_mov_b32_dpp v9, v1 row_shr:1 row_mask:0xf bank_mask:0xf
	;; [unrolled: 1-line block ×4, first 2 shown]
	v_add_f64 v[0:1], v[0:1], v[8:9]
	v_add_f64 v[10:11], v[10:11], v[12:13]
	v_cmp_eq_u32_e32 vcc, 7, v7
	v_mov_b32_dpp v8, v0 row_shr:2 row_mask:0xf bank_mask:0xf
	v_mov_b32_dpp v9, v1 row_shr:2 row_mask:0xf bank_mask:0xf
	v_mov_b32_dpp v12, v10 row_shr:2 row_mask:0xf bank_mask:0xf
	v_mov_b32_dpp v13, v11 row_shr:2 row_mask:0xf bank_mask:0xf
	v_add_f64 v[0:1], v[0:1], v[8:9]
	v_add_f64 v[10:11], v[10:11], v[12:13]
	s_nop 0
	v_mov_b32_dpp v8, v0 row_shr:4 row_mask:0xf bank_mask:0xe
	v_mov_b32_dpp v9, v1 row_shr:4 row_mask:0xf bank_mask:0xe
	;; [unrolled: 1-line block ×4, first 2 shown]
	s_and_b64 exec, exec, vcc
	s_cbranch_execz .LBB107_23
; %bb.19:
	s_load_dwordx2 s[0:1], s[0:1], 0x38
	v_add_f64 v[8:9], v[0:1], v[8:9]
	v_add_f64 v[0:1], v[10:11], v[12:13]
	v_cmp_eq_f64_e32 vcc, 0, v[4:5]
	s_and_saveexec_b64 s[2:3], vcc
	s_xor_b64 s[2:3], exec, s[2:3]
	s_cbranch_execz .LBB107_21
; %bb.20:
	v_lshlrev_b32_e32 v6, 1, v6
	v_ashrrev_i32_e32 v7, 31, v6
	v_mul_f64 v[4:5], v[2:3], v[8:9]
	s_waitcnt lgkmcnt(0)
	v_lshl_add_u64 v[8:9], v[6:7], 3, s[0:1]
	v_mul_f64 v[6:7], v[2:3], v[0:1]
	global_store_dwordx4 v[8:9], v[4:7], off
                                        ; implicit-def: $vgpr6
                                        ; implicit-def: $vgpr2_vgpr3
                                        ; implicit-def: $vgpr8_vgpr9
                                        ; implicit-def: $vgpr4_vgpr5
                                        ; implicit-def: $vgpr0_vgpr1
.LBB107_21:
	s_andn2_saveexec_b64 s[2:3], s[2:3]
	s_cbranch_execz .LBB107_23
; %bb.22:
	v_lshlrev_b32_e32 v6, 1, v6
	v_ashrrev_i32_e32 v7, 31, v6
	s_waitcnt lgkmcnt(0)
	v_lshl_add_u64 v[14:15], v[6:7], 3, s[0:1]
	global_load_dwordx4 v[10:13], v[14:15], off
	v_mul_f64 v[6:7], v[2:3], v[8:9]
	v_mul_f64 v[8:9], v[2:3], v[0:1]
	s_waitcnt vmcnt(0)
	v_fmac_f64_e32 v[6:7], v[4:5], v[10:11]
	v_fmac_f64_e32 v[8:9], v[4:5], v[12:13]
	global_store_dwordx4 v[14:15], v[6:9], off
.LBB107_23:
	s_endpgm
	.section	.rodata,"a",@progbits
	.p2align	6, 0x0
	.amdhsa_kernel _ZN9rocsparseL19gebsrmvn_2xn_kernelILj128ELj8ELj8EdEEvi20rocsparse_direction_NS_24const_host_device_scalarIT2_EEPKiS6_PKS3_S8_S4_PS3_21rocsparse_index_base_b
		.amdhsa_group_segment_fixed_size 0
		.amdhsa_private_segment_fixed_size 0
		.amdhsa_kernarg_size 72
		.amdhsa_user_sgpr_count 2
		.amdhsa_user_sgpr_dispatch_ptr 0
		.amdhsa_user_sgpr_queue_ptr 0
		.amdhsa_user_sgpr_kernarg_segment_ptr 1
		.amdhsa_user_sgpr_dispatch_id 0
		.amdhsa_user_sgpr_kernarg_preload_length 0
		.amdhsa_user_sgpr_kernarg_preload_offset 0
		.amdhsa_user_sgpr_private_segment_size 0
		.amdhsa_uses_dynamic_stack 0
		.amdhsa_enable_private_segment 0
		.amdhsa_system_sgpr_workgroup_id_x 1
		.amdhsa_system_sgpr_workgroup_id_y 0
		.amdhsa_system_sgpr_workgroup_id_z 0
		.amdhsa_system_sgpr_workgroup_info 0
		.amdhsa_system_vgpr_workitem_id 0
		.amdhsa_next_free_vgpr 70
		.amdhsa_next_free_sgpr 18
		.amdhsa_accum_offset 72
		.amdhsa_reserve_vcc 1
		.amdhsa_float_round_mode_32 0
		.amdhsa_float_round_mode_16_64 0
		.amdhsa_float_denorm_mode_32 3
		.amdhsa_float_denorm_mode_16_64 3
		.amdhsa_dx10_clamp 1
		.amdhsa_ieee_mode 1
		.amdhsa_fp16_overflow 0
		.amdhsa_tg_split 0
		.amdhsa_exception_fp_ieee_invalid_op 0
		.amdhsa_exception_fp_denorm_src 0
		.amdhsa_exception_fp_ieee_div_zero 0
		.amdhsa_exception_fp_ieee_overflow 0
		.amdhsa_exception_fp_ieee_underflow 0
		.amdhsa_exception_fp_ieee_inexact 0
		.amdhsa_exception_int_div_zero 0
	.end_amdhsa_kernel
	.section	.text._ZN9rocsparseL19gebsrmvn_2xn_kernelILj128ELj8ELj8EdEEvi20rocsparse_direction_NS_24const_host_device_scalarIT2_EEPKiS6_PKS3_S8_S4_PS3_21rocsparse_index_base_b,"axG",@progbits,_ZN9rocsparseL19gebsrmvn_2xn_kernelILj128ELj8ELj8EdEEvi20rocsparse_direction_NS_24const_host_device_scalarIT2_EEPKiS6_PKS3_S8_S4_PS3_21rocsparse_index_base_b,comdat
.Lfunc_end107:
	.size	_ZN9rocsparseL19gebsrmvn_2xn_kernelILj128ELj8ELj8EdEEvi20rocsparse_direction_NS_24const_host_device_scalarIT2_EEPKiS6_PKS3_S8_S4_PS3_21rocsparse_index_base_b, .Lfunc_end107-_ZN9rocsparseL19gebsrmvn_2xn_kernelILj128ELj8ELj8EdEEvi20rocsparse_direction_NS_24const_host_device_scalarIT2_EEPKiS6_PKS3_S8_S4_PS3_21rocsparse_index_base_b
                                        ; -- End function
	.section	.AMDGPU.csdata,"",@progbits
; Kernel info:
; codeLenInByte = 1148
; NumSgprs: 24
; NumVgprs: 70
; NumAgprs: 0
; TotalNumVgprs: 70
; ScratchSize: 0
; MemoryBound: 1
; FloatMode: 240
; IeeeMode: 1
; LDSByteSize: 0 bytes/workgroup (compile time only)
; SGPRBlocks: 2
; VGPRBlocks: 8
; NumSGPRsForWavesPerEU: 24
; NumVGPRsForWavesPerEU: 70
; AccumOffset: 72
; Occupancy: 7
; WaveLimiterHint : 1
; COMPUTE_PGM_RSRC2:SCRATCH_EN: 0
; COMPUTE_PGM_RSRC2:USER_SGPR: 2
; COMPUTE_PGM_RSRC2:TRAP_HANDLER: 0
; COMPUTE_PGM_RSRC2:TGID_X_EN: 1
; COMPUTE_PGM_RSRC2:TGID_Y_EN: 0
; COMPUTE_PGM_RSRC2:TGID_Z_EN: 0
; COMPUTE_PGM_RSRC2:TIDIG_COMP_CNT: 0
; COMPUTE_PGM_RSRC3_GFX90A:ACCUM_OFFSET: 17
; COMPUTE_PGM_RSRC3_GFX90A:TG_SPLIT: 0
	.section	.text._ZN9rocsparseL19gebsrmvn_2xn_kernelILj128ELj8ELj16EdEEvi20rocsparse_direction_NS_24const_host_device_scalarIT2_EEPKiS6_PKS3_S8_S4_PS3_21rocsparse_index_base_b,"axG",@progbits,_ZN9rocsparseL19gebsrmvn_2xn_kernelILj128ELj8ELj16EdEEvi20rocsparse_direction_NS_24const_host_device_scalarIT2_EEPKiS6_PKS3_S8_S4_PS3_21rocsparse_index_base_b,comdat
	.globl	_ZN9rocsparseL19gebsrmvn_2xn_kernelILj128ELj8ELj16EdEEvi20rocsparse_direction_NS_24const_host_device_scalarIT2_EEPKiS6_PKS3_S8_S4_PS3_21rocsparse_index_base_b ; -- Begin function _ZN9rocsparseL19gebsrmvn_2xn_kernelILj128ELj8ELj16EdEEvi20rocsparse_direction_NS_24const_host_device_scalarIT2_EEPKiS6_PKS3_S8_S4_PS3_21rocsparse_index_base_b
	.p2align	8
	.type	_ZN9rocsparseL19gebsrmvn_2xn_kernelILj128ELj8ELj16EdEEvi20rocsparse_direction_NS_24const_host_device_scalarIT2_EEPKiS6_PKS3_S8_S4_PS3_21rocsparse_index_base_b,@function
_ZN9rocsparseL19gebsrmvn_2xn_kernelILj128ELj8ELj16EdEEvi20rocsparse_direction_NS_24const_host_device_scalarIT2_EEPKiS6_PKS3_S8_S4_PS3_21rocsparse_index_base_b: ; @_ZN9rocsparseL19gebsrmvn_2xn_kernelILj128ELj8ELj16EdEEvi20rocsparse_direction_NS_24const_host_device_scalarIT2_EEPKiS6_PKS3_S8_S4_PS3_21rocsparse_index_base_b
; %bb.0:
	s_load_dwordx2 s[12:13], s[0:1], 0x40
	s_load_dwordx2 s[8:9], s[0:1], 0x8
	s_load_dwordx2 s[4:5], s[0:1], 0x30
	s_waitcnt lgkmcnt(0)
	s_bitcmp1_b32 s13, 0
	s_cselect_b64 s[10:11], -1, 0
	s_xor_b64 s[6:7], s[10:11], -1
	s_and_b64 vcc, exec, s[10:11]
	v_mov_b64_e32 v[2:3], s[8:9]
	s_cbranch_vccnz .LBB108_2
; %bb.1:
	v_mov_b64_e32 v[2:3], s[8:9]
	flat_load_dwordx2 v[2:3], v[2:3]
.LBB108_2:
	s_andn2_b64 vcc, exec, s[6:7]
	v_mov_b64_e32 v[4:5], s[4:5]
	s_cbranch_vccnz .LBB108_4
; %bb.3:
	v_mov_b64_e32 v[4:5], s[4:5]
	flat_load_dwordx2 v[4:5], v[4:5]
.LBB108_4:
	s_waitcnt vmcnt(0) lgkmcnt(0)
	v_cmp_neq_f64_e32 vcc, 0, v[2:3]
	v_cmp_neq_f64_e64 s[4:5], 1.0, v[4:5]
	s_or_b64 s[4:5], vcc, s[4:5]
	s_and_saveexec_b64 s[6:7], s[4:5]
	s_cbranch_execz .LBB108_23
; %bb.5:
	s_load_dwordx2 s[14:15], s[0:1], 0x0
	v_lshrrev_b32_e32 v1, 4, v0
	v_lshl_or_b32 v6, s2, 3, v1
	s_waitcnt lgkmcnt(0)
	v_cmp_gt_i32_e32 vcc, s14, v6
	s_and_b64 exec, exec, vcc
	s_cbranch_execz .LBB108_23
; %bb.6:
	s_load_dwordx8 s[4:11], s[0:1], 0x10
	v_ashrrev_i32_e32 v7, 31, v6
	s_cmp_lg_u32 s15, 0
	s_waitcnt lgkmcnt(0)
	v_lshl_add_u64 v[8:9], v[6:7], 2, s[4:5]
	global_load_dwordx2 v[8:9], v[8:9], off
	v_and_b32_e32 v7, 15, v0
	s_waitcnt vmcnt(0)
	v_subrev_u32_e32 v0, s12, v8
	v_subrev_u32_e32 v16, s12, v9
	v_add_u32_e32 v10, v0, v7
	v_cmp_lt_i32_e64 s[2:3], v10, v16
	s_cbranch_scc0 .LBB108_12
; %bb.7:
	v_mov_b64_e32 v[0:1], 0
	s_mov_b64 s[4:5], 0
	v_mov_b64_e32 v[8:9], v[0:1]
	s_and_saveexec_b64 s[14:15], s[2:3]
	s_cbranch_execz .LBB108_11
; %bb.8:
	v_mov_b64_e32 v[0:1], 0
	v_lshlrev_b32_e32 v12, 4, v10
	s_mov_b64 s[16:17], 0
	v_mov_b32_e32 v13, 0
	v_mov_b32_e32 v14, v10
	v_mov_b64_e32 v[8:9], v[0:1]
.LBB108_9:                              ; =>This Inner Loop Header: Depth=1
	v_ashrrev_i32_e32 v15, 31, v14
	v_lshl_add_u64 v[18:19], v[14:15], 2, s[6:7]
	global_load_dword v11, v[18:19], off
	v_lshl_add_u64 v[66:67], v[12:13], 3, s[8:9]
	global_load_dwordx4 v[18:21], v[66:67], off offset:48
	global_load_dwordx4 v[22:25], v[66:67], off offset:32
	;; [unrolled: 1-line block ×3, first 2 shown]
	global_load_dwordx4 v[30:33], v[66:67], off
	global_load_dwordx4 v[34:37], v[66:67], off offset:80
	global_load_dwordx4 v[38:41], v[66:67], off offset:64
	v_mov_b32_e32 v43, v13
	v_add_u32_e32 v14, 16, v14
	v_cmp_ge_i32_e32 vcc, v14, v16
	v_add_u32_e32 v12, 0x100, v12
	s_or_b64 s[16:17], vcc, s[16:17]
	s_waitcnt vmcnt(6)
	v_subrev_u32_e32 v11, s12, v11
	v_lshlrev_b32_e32 v42, 3, v11
	v_lshl_add_u64 v[68:69], v[42:43], 3, s[10:11]
	global_load_dwordx4 v[42:45], v[68:69], off
	global_load_dwordx4 v[46:49], v[68:69], off offset:16
	global_load_dwordx4 v[50:53], v[68:69], off offset:32
	;; [unrolled: 1-line block ×5, first 2 shown]
	s_waitcnt vmcnt(5)
	v_fmac_f64_e32 v[0:1], v[30:31], v[42:43]
	v_fmac_f64_e32 v[8:9], v[32:33], v[42:43]
	v_fmac_f64_e32 v[0:1], v[26:27], v[44:45]
	v_fmac_f64_e32 v[8:9], v[28:29], v[44:45]
	s_waitcnt vmcnt(4)
	v_fmac_f64_e32 v[0:1], v[22:23], v[46:47]
	v_fmac_f64_e32 v[8:9], v[24:25], v[46:47]
	v_fmac_f64_e32 v[0:1], v[18:19], v[48:49]
	v_fmac_f64_e32 v[8:9], v[20:21], v[48:49]
	;; [unrolled: 5-line block ×3, first 2 shown]
	s_waitcnt vmcnt(1)
	v_fmac_f64_e32 v[0:1], v[58:59], v[54:55]
	v_fmac_f64_e32 v[8:9], v[60:61], v[54:55]
	s_waitcnt vmcnt(0)
	v_fmac_f64_e32 v[0:1], v[62:63], v[56:57]
	v_fmac_f64_e32 v[8:9], v[64:65], v[56:57]
	s_andn2_b64 exec, exec, s[16:17]
	s_cbranch_execnz .LBB108_9
; %bb.10:
	s_or_b64 exec, exec, s[16:17]
.LBB108_11:
	s_or_b64 exec, exec, s[14:15]
	s_andn2_b64 vcc, exec, s[4:5]
	s_cbranch_vccz .LBB108_13
	s_branch .LBB108_18
.LBB108_12:
                                        ; implicit-def: $vgpr0_vgpr1
                                        ; implicit-def: $vgpr8_vgpr9
.LBB108_13:
	v_mov_b64_e32 v[0:1], 0
	v_mov_b64_e32 v[8:9], v[0:1]
	s_and_saveexec_b64 s[4:5], s[2:3]
	s_cbranch_execz .LBB108_17
; %bb.14:
	v_mov_b64_e32 v[0:1], 0
	v_lshlrev_b32_e32 v12, 4, v10
	s_mov_b64 s[2:3], 0
	v_mov_b32_e32 v13, 0
	v_mov_b64_e32 v[8:9], v[0:1]
.LBB108_15:                             ; =>This Inner Loop Header: Depth=1
	v_ashrrev_i32_e32 v11, 31, v10
	v_lshl_add_u64 v[14:15], v[10:11], 2, s[6:7]
	global_load_dword v11, v[14:15], off
	v_lshl_add_u64 v[14:15], v[12:13], 3, s[8:9]
	global_load_dwordx4 v[18:21], v[14:15], off offset:48
	global_load_dwordx4 v[22:25], v[14:15], off offset:32
	;; [unrolled: 1-line block ×3, first 2 shown]
	global_load_dwordx4 v[30:33], v[14:15], off
	global_load_dwordx4 v[34:37], v[14:15], off offset:112
	global_load_dwordx4 v[38:41], v[14:15], off offset:96
	;; [unrolled: 1-line block ×4, first 2 shown]
	v_mov_b32_e32 v51, v13
	v_add_u32_e32 v10, 16, v10
	v_cmp_ge_i32_e32 vcc, v10, v16
	v_add_u32_e32 v12, 0x100, v12
	s_or_b64 s[2:3], vcc, s[2:3]
	s_waitcnt vmcnt(8)
	v_subrev_u32_e32 v11, s12, v11
	v_lshlrev_b32_e32 v50, 3, v11
	v_lshl_add_u64 v[14:15], v[50:51], 3, s[10:11]
	global_load_dwordx4 v[50:53], v[14:15], off
	global_load_dwordx4 v[54:57], v[14:15], off offset:16
	global_load_dwordx4 v[58:61], v[14:15], off offset:32
	;; [unrolled: 1-line block ×3, first 2 shown]
	s_waitcnt vmcnt(3)
	v_fmac_f64_e32 v[0:1], v[30:31], v[50:51]
	v_fmac_f64_e32 v[8:9], v[46:47], v[50:51]
	v_fmac_f64_e32 v[0:1], v[32:33], v[52:53]
	v_fmac_f64_e32 v[8:9], v[48:49], v[52:53]
	s_waitcnt vmcnt(2)
	v_fmac_f64_e32 v[0:1], v[26:27], v[54:55]
	v_fmac_f64_e32 v[8:9], v[42:43], v[54:55]
	v_fmac_f64_e32 v[0:1], v[28:29], v[56:57]
	v_fmac_f64_e32 v[8:9], v[44:45], v[56:57]
	;; [unrolled: 5-line block ×4, first 2 shown]
	s_andn2_b64 exec, exec, s[2:3]
	s_cbranch_execnz .LBB108_15
; %bb.16:
	s_or_b64 exec, exec, s[2:3]
.LBB108_17:
	s_or_b64 exec, exec, s[4:5]
.LBB108_18:
	v_mov_b32_dpp v10, v0 row_shr:1 row_mask:0xf bank_mask:0xf
	v_mov_b32_dpp v11, v1 row_shr:1 row_mask:0xf bank_mask:0xf
	;; [unrolled: 1-line block ×4, first 2 shown]
	v_add_f64 v[0:1], v[0:1], v[10:11]
	v_add_f64 v[8:9], v[8:9], v[12:13]
	v_cmp_eq_u32_e32 vcc, 15, v7
	v_mov_b32_dpp v10, v0 row_shr:2 row_mask:0xf bank_mask:0xf
	v_mov_b32_dpp v11, v1 row_shr:2 row_mask:0xf bank_mask:0xf
	;; [unrolled: 1-line block ×4, first 2 shown]
	v_add_f64 v[0:1], v[0:1], v[10:11]
	v_add_f64 v[8:9], v[8:9], v[12:13]
	s_nop 0
	v_mov_b32_dpp v10, v0 row_shr:4 row_mask:0xf bank_mask:0xe
	v_mov_b32_dpp v11, v1 row_shr:4 row_mask:0xf bank_mask:0xe
	;; [unrolled: 1-line block ×4, first 2 shown]
	v_add_f64 v[0:1], v[0:1], v[10:11]
	v_add_f64 v[12:13], v[8:9], v[12:13]
	s_nop 0
	v_mov_b32_dpp v10, v0 row_shr:8 row_mask:0xf bank_mask:0xc
	v_mov_b32_dpp v11, v1 row_shr:8 row_mask:0xf bank_mask:0xc
	;; [unrolled: 1-line block ×4, first 2 shown]
	s_and_b64 exec, exec, vcc
	s_cbranch_execz .LBB108_23
; %bb.19:
	s_load_dwordx2 s[0:1], s[0:1], 0x38
	v_add_f64 v[8:9], v[0:1], v[10:11]
	v_add_f64 v[0:1], v[12:13], v[14:15]
	v_cmp_eq_f64_e32 vcc, 0, v[4:5]
	s_and_saveexec_b64 s[2:3], vcc
	s_xor_b64 s[2:3], exec, s[2:3]
	s_cbranch_execz .LBB108_21
; %bb.20:
	v_lshlrev_b32_e32 v6, 1, v6
	v_ashrrev_i32_e32 v7, 31, v6
	v_mul_f64 v[4:5], v[2:3], v[8:9]
	s_waitcnt lgkmcnt(0)
	v_lshl_add_u64 v[8:9], v[6:7], 3, s[0:1]
	v_mul_f64 v[6:7], v[2:3], v[0:1]
	global_store_dwordx4 v[8:9], v[4:7], off
                                        ; implicit-def: $vgpr6
                                        ; implicit-def: $vgpr2_vgpr3
                                        ; implicit-def: $vgpr8_vgpr9
                                        ; implicit-def: $vgpr4_vgpr5
                                        ; implicit-def: $vgpr0_vgpr1
.LBB108_21:
	s_andn2_saveexec_b64 s[2:3], s[2:3]
	s_cbranch_execz .LBB108_23
; %bb.22:
	v_lshlrev_b32_e32 v6, 1, v6
	v_ashrrev_i32_e32 v7, 31, v6
	s_waitcnt lgkmcnt(0)
	v_lshl_add_u64 v[14:15], v[6:7], 3, s[0:1]
	global_load_dwordx4 v[10:13], v[14:15], off
	v_mul_f64 v[6:7], v[2:3], v[8:9]
	v_mul_f64 v[8:9], v[2:3], v[0:1]
	s_waitcnt vmcnt(0)
	v_fmac_f64_e32 v[6:7], v[4:5], v[10:11]
	v_fmac_f64_e32 v[8:9], v[4:5], v[12:13]
	global_store_dwordx4 v[14:15], v[6:9], off
.LBB108_23:
	s_endpgm
	.section	.rodata,"a",@progbits
	.p2align	6, 0x0
	.amdhsa_kernel _ZN9rocsparseL19gebsrmvn_2xn_kernelILj128ELj8ELj16EdEEvi20rocsparse_direction_NS_24const_host_device_scalarIT2_EEPKiS6_PKS3_S8_S4_PS3_21rocsparse_index_base_b
		.amdhsa_group_segment_fixed_size 0
		.amdhsa_private_segment_fixed_size 0
		.amdhsa_kernarg_size 72
		.amdhsa_user_sgpr_count 2
		.amdhsa_user_sgpr_dispatch_ptr 0
		.amdhsa_user_sgpr_queue_ptr 0
		.amdhsa_user_sgpr_kernarg_segment_ptr 1
		.amdhsa_user_sgpr_dispatch_id 0
		.amdhsa_user_sgpr_kernarg_preload_length 0
		.amdhsa_user_sgpr_kernarg_preload_offset 0
		.amdhsa_user_sgpr_private_segment_size 0
		.amdhsa_uses_dynamic_stack 0
		.amdhsa_enable_private_segment 0
		.amdhsa_system_sgpr_workgroup_id_x 1
		.amdhsa_system_sgpr_workgroup_id_y 0
		.amdhsa_system_sgpr_workgroup_id_z 0
		.amdhsa_system_sgpr_workgroup_info 0
		.amdhsa_system_vgpr_workitem_id 0
		.amdhsa_next_free_vgpr 70
		.amdhsa_next_free_sgpr 18
		.amdhsa_accum_offset 72
		.amdhsa_reserve_vcc 1
		.amdhsa_float_round_mode_32 0
		.amdhsa_float_round_mode_16_64 0
		.amdhsa_float_denorm_mode_32 3
		.amdhsa_float_denorm_mode_16_64 3
		.amdhsa_dx10_clamp 1
		.amdhsa_ieee_mode 1
		.amdhsa_fp16_overflow 0
		.amdhsa_tg_split 0
		.amdhsa_exception_fp_ieee_invalid_op 0
		.amdhsa_exception_fp_denorm_src 0
		.amdhsa_exception_fp_ieee_div_zero 0
		.amdhsa_exception_fp_ieee_overflow 0
		.amdhsa_exception_fp_ieee_underflow 0
		.amdhsa_exception_fp_ieee_inexact 0
		.amdhsa_exception_int_div_zero 0
	.end_amdhsa_kernel
	.section	.text._ZN9rocsparseL19gebsrmvn_2xn_kernelILj128ELj8ELj16EdEEvi20rocsparse_direction_NS_24const_host_device_scalarIT2_EEPKiS6_PKS3_S8_S4_PS3_21rocsparse_index_base_b,"axG",@progbits,_ZN9rocsparseL19gebsrmvn_2xn_kernelILj128ELj8ELj16EdEEvi20rocsparse_direction_NS_24const_host_device_scalarIT2_EEPKiS6_PKS3_S8_S4_PS3_21rocsparse_index_base_b,comdat
.Lfunc_end108:
	.size	_ZN9rocsparseL19gebsrmvn_2xn_kernelILj128ELj8ELj16EdEEvi20rocsparse_direction_NS_24const_host_device_scalarIT2_EEPKiS6_PKS3_S8_S4_PS3_21rocsparse_index_base_b, .Lfunc_end108-_ZN9rocsparseL19gebsrmvn_2xn_kernelILj128ELj8ELj16EdEEvi20rocsparse_direction_NS_24const_host_device_scalarIT2_EEPKiS6_PKS3_S8_S4_PS3_21rocsparse_index_base_b
                                        ; -- End function
	.section	.AMDGPU.csdata,"",@progbits
; Kernel info:
; codeLenInByte = 1200
; NumSgprs: 24
; NumVgprs: 70
; NumAgprs: 0
; TotalNumVgprs: 70
; ScratchSize: 0
; MemoryBound: 1
; FloatMode: 240
; IeeeMode: 1
; LDSByteSize: 0 bytes/workgroup (compile time only)
; SGPRBlocks: 2
; VGPRBlocks: 8
; NumSGPRsForWavesPerEU: 24
; NumVGPRsForWavesPerEU: 70
; AccumOffset: 72
; Occupancy: 7
; WaveLimiterHint : 1
; COMPUTE_PGM_RSRC2:SCRATCH_EN: 0
; COMPUTE_PGM_RSRC2:USER_SGPR: 2
; COMPUTE_PGM_RSRC2:TRAP_HANDLER: 0
; COMPUTE_PGM_RSRC2:TGID_X_EN: 1
; COMPUTE_PGM_RSRC2:TGID_Y_EN: 0
; COMPUTE_PGM_RSRC2:TGID_Z_EN: 0
; COMPUTE_PGM_RSRC2:TIDIG_COMP_CNT: 0
; COMPUTE_PGM_RSRC3_GFX90A:ACCUM_OFFSET: 17
; COMPUTE_PGM_RSRC3_GFX90A:TG_SPLIT: 0
	.section	.text._ZN9rocsparseL19gebsrmvn_2xn_kernelILj128ELj8ELj32EdEEvi20rocsparse_direction_NS_24const_host_device_scalarIT2_EEPKiS6_PKS3_S8_S4_PS3_21rocsparse_index_base_b,"axG",@progbits,_ZN9rocsparseL19gebsrmvn_2xn_kernelILj128ELj8ELj32EdEEvi20rocsparse_direction_NS_24const_host_device_scalarIT2_EEPKiS6_PKS3_S8_S4_PS3_21rocsparse_index_base_b,comdat
	.globl	_ZN9rocsparseL19gebsrmvn_2xn_kernelILj128ELj8ELj32EdEEvi20rocsparse_direction_NS_24const_host_device_scalarIT2_EEPKiS6_PKS3_S8_S4_PS3_21rocsparse_index_base_b ; -- Begin function _ZN9rocsparseL19gebsrmvn_2xn_kernelILj128ELj8ELj32EdEEvi20rocsparse_direction_NS_24const_host_device_scalarIT2_EEPKiS6_PKS3_S8_S4_PS3_21rocsparse_index_base_b
	.p2align	8
	.type	_ZN9rocsparseL19gebsrmvn_2xn_kernelILj128ELj8ELj32EdEEvi20rocsparse_direction_NS_24const_host_device_scalarIT2_EEPKiS6_PKS3_S8_S4_PS3_21rocsparse_index_base_b,@function
_ZN9rocsparseL19gebsrmvn_2xn_kernelILj128ELj8ELj32EdEEvi20rocsparse_direction_NS_24const_host_device_scalarIT2_EEPKiS6_PKS3_S8_S4_PS3_21rocsparse_index_base_b: ; @_ZN9rocsparseL19gebsrmvn_2xn_kernelILj128ELj8ELj32EdEEvi20rocsparse_direction_NS_24const_host_device_scalarIT2_EEPKiS6_PKS3_S8_S4_PS3_21rocsparse_index_base_b
; %bb.0:
	s_load_dwordx2 s[12:13], s[0:1], 0x40
	s_load_dwordx2 s[8:9], s[0:1], 0x8
	;; [unrolled: 1-line block ×3, first 2 shown]
	s_waitcnt lgkmcnt(0)
	s_bitcmp1_b32 s13, 0
	s_cselect_b64 s[10:11], -1, 0
	s_xor_b64 s[6:7], s[10:11], -1
	s_and_b64 vcc, exec, s[10:11]
	v_mov_b64_e32 v[2:3], s[8:9]
	s_cbranch_vccnz .LBB109_2
; %bb.1:
	v_mov_b64_e32 v[2:3], s[8:9]
	flat_load_dwordx2 v[2:3], v[2:3]
.LBB109_2:
	s_andn2_b64 vcc, exec, s[6:7]
	v_mov_b64_e32 v[4:5], s[4:5]
	s_cbranch_vccnz .LBB109_4
; %bb.3:
	v_mov_b64_e32 v[4:5], s[4:5]
	flat_load_dwordx2 v[4:5], v[4:5]
.LBB109_4:
	s_waitcnt vmcnt(0) lgkmcnt(0)
	v_cmp_neq_f64_e32 vcc, 0, v[2:3]
	v_cmp_neq_f64_e64 s[4:5], 1.0, v[4:5]
	s_or_b64 s[4:5], vcc, s[4:5]
	s_and_saveexec_b64 s[6:7], s[4:5]
	s_cbranch_execz .LBB109_23
; %bb.5:
	s_load_dwordx2 s[14:15], s[0:1], 0x0
	v_lshrrev_b32_e32 v1, 5, v0
	v_lshl_or_b32 v6, s2, 2, v1
	s_waitcnt lgkmcnt(0)
	v_cmp_gt_i32_e32 vcc, s14, v6
	s_and_b64 exec, exec, vcc
	s_cbranch_execz .LBB109_23
; %bb.6:
	s_load_dwordx8 s[4:11], s[0:1], 0x10
	v_ashrrev_i32_e32 v7, 31, v6
	s_cmp_lg_u32 s15, 0
	s_waitcnt lgkmcnt(0)
	v_lshl_add_u64 v[8:9], v[6:7], 2, s[4:5]
	global_load_dwordx2 v[8:9], v[8:9], off
	v_and_b32_e32 v7, 31, v0
	s_waitcnt vmcnt(0)
	v_subrev_u32_e32 v0, s12, v8
	v_subrev_u32_e32 v16, s12, v9
	v_add_u32_e32 v10, v0, v7
	v_cmp_lt_i32_e64 s[2:3], v10, v16
	s_cbranch_scc0 .LBB109_12
; %bb.7:
	v_mov_b64_e32 v[8:9], 0
	s_mov_b64 s[4:5], 0
	v_mov_b64_e32 v[0:1], v[8:9]
	s_and_saveexec_b64 s[14:15], s[2:3]
	s_cbranch_execz .LBB109_11
; %bb.8:
	v_mov_b64_e32 v[8:9], 0
	v_lshlrev_b32_e32 v12, 4, v10
	s_mov_b64 s[16:17], 0
	v_mov_b32_e32 v13, 0
	v_mov_b32_e32 v14, v10
	v_mov_b64_e32 v[0:1], v[8:9]
.LBB109_9:                              ; =>This Inner Loop Header: Depth=1
	v_ashrrev_i32_e32 v15, 31, v14
	v_lshl_add_u64 v[18:19], v[14:15], 2, s[6:7]
	global_load_dword v11, v[18:19], off
	v_lshl_add_u64 v[66:67], v[12:13], 3, s[8:9]
	global_load_dwordx4 v[18:21], v[66:67], off offset:48
	global_load_dwordx4 v[22:25], v[66:67], off offset:32
	;; [unrolled: 1-line block ×3, first 2 shown]
	global_load_dwordx4 v[30:33], v[66:67], off
	global_load_dwordx4 v[34:37], v[66:67], off offset:80
	global_load_dwordx4 v[38:41], v[66:67], off offset:64
	v_mov_b32_e32 v43, v13
	v_add_u32_e32 v14, 32, v14
	v_cmp_ge_i32_e32 vcc, v14, v16
	v_add_u32_e32 v12, 0x200, v12
	s_or_b64 s[16:17], vcc, s[16:17]
	s_waitcnt vmcnt(6)
	v_subrev_u32_e32 v11, s12, v11
	v_lshlrev_b32_e32 v42, 3, v11
	v_lshl_add_u64 v[68:69], v[42:43], 3, s[10:11]
	global_load_dwordx4 v[42:45], v[68:69], off
	global_load_dwordx4 v[46:49], v[68:69], off offset:16
	global_load_dwordx4 v[50:53], v[68:69], off offset:32
	;; [unrolled: 1-line block ×5, first 2 shown]
	s_waitcnt vmcnt(5)
	v_fmac_f64_e32 v[8:9], v[30:31], v[42:43]
	v_fmac_f64_e32 v[0:1], v[32:33], v[42:43]
	v_fmac_f64_e32 v[8:9], v[26:27], v[44:45]
	v_fmac_f64_e32 v[0:1], v[28:29], v[44:45]
	s_waitcnt vmcnt(4)
	v_fmac_f64_e32 v[8:9], v[22:23], v[46:47]
	v_fmac_f64_e32 v[0:1], v[24:25], v[46:47]
	v_fmac_f64_e32 v[8:9], v[18:19], v[48:49]
	v_fmac_f64_e32 v[0:1], v[20:21], v[48:49]
	;; [unrolled: 5-line block ×3, first 2 shown]
	s_waitcnt vmcnt(1)
	v_fmac_f64_e32 v[8:9], v[58:59], v[54:55]
	v_fmac_f64_e32 v[0:1], v[60:61], v[54:55]
	s_waitcnt vmcnt(0)
	v_fmac_f64_e32 v[8:9], v[62:63], v[56:57]
	v_fmac_f64_e32 v[0:1], v[64:65], v[56:57]
	s_andn2_b64 exec, exec, s[16:17]
	s_cbranch_execnz .LBB109_9
; %bb.10:
	s_or_b64 exec, exec, s[16:17]
.LBB109_11:
	s_or_b64 exec, exec, s[14:15]
	s_andn2_b64 vcc, exec, s[4:5]
	s_cbranch_vccz .LBB109_13
	s_branch .LBB109_18
.LBB109_12:
                                        ; implicit-def: $vgpr8_vgpr9
                                        ; implicit-def: $vgpr0_vgpr1
.LBB109_13:
	v_mov_b64_e32 v[8:9], 0
	v_mov_b64_e32 v[0:1], v[8:9]
	s_and_saveexec_b64 s[4:5], s[2:3]
	s_cbranch_execz .LBB109_17
; %bb.14:
	v_mov_b64_e32 v[8:9], 0
	v_lshlrev_b32_e32 v12, 4, v10
	s_mov_b64 s[2:3], 0
	v_mov_b32_e32 v13, 0
	v_mov_b64_e32 v[0:1], v[8:9]
.LBB109_15:                             ; =>This Inner Loop Header: Depth=1
	v_ashrrev_i32_e32 v11, 31, v10
	v_lshl_add_u64 v[14:15], v[10:11], 2, s[6:7]
	global_load_dword v11, v[14:15], off
	v_lshl_add_u64 v[14:15], v[12:13], 3, s[8:9]
	global_load_dwordx4 v[18:21], v[14:15], off offset:48
	global_load_dwordx4 v[22:25], v[14:15], off offset:32
	;; [unrolled: 1-line block ×3, first 2 shown]
	global_load_dwordx4 v[30:33], v[14:15], off
	global_load_dwordx4 v[34:37], v[14:15], off offset:112
	global_load_dwordx4 v[38:41], v[14:15], off offset:96
	;; [unrolled: 1-line block ×4, first 2 shown]
	v_mov_b32_e32 v51, v13
	v_add_u32_e32 v10, 32, v10
	v_cmp_ge_i32_e32 vcc, v10, v16
	v_add_u32_e32 v12, 0x200, v12
	s_or_b64 s[2:3], vcc, s[2:3]
	s_waitcnt vmcnt(8)
	v_subrev_u32_e32 v11, s12, v11
	v_lshlrev_b32_e32 v50, 3, v11
	v_lshl_add_u64 v[14:15], v[50:51], 3, s[10:11]
	global_load_dwordx4 v[50:53], v[14:15], off
	global_load_dwordx4 v[54:57], v[14:15], off offset:16
	global_load_dwordx4 v[58:61], v[14:15], off offset:32
	;; [unrolled: 1-line block ×3, first 2 shown]
	s_waitcnt vmcnt(3)
	v_fmac_f64_e32 v[8:9], v[30:31], v[50:51]
	v_fmac_f64_e32 v[0:1], v[46:47], v[50:51]
	v_fmac_f64_e32 v[8:9], v[32:33], v[52:53]
	v_fmac_f64_e32 v[0:1], v[48:49], v[52:53]
	s_waitcnt vmcnt(2)
	v_fmac_f64_e32 v[8:9], v[26:27], v[54:55]
	v_fmac_f64_e32 v[0:1], v[42:43], v[54:55]
	v_fmac_f64_e32 v[8:9], v[28:29], v[56:57]
	v_fmac_f64_e32 v[0:1], v[44:45], v[56:57]
	;; [unrolled: 5-line block ×4, first 2 shown]
	s_andn2_b64 exec, exec, s[2:3]
	s_cbranch_execnz .LBB109_15
; %bb.16:
	s_or_b64 exec, exec, s[2:3]
.LBB109_17:
	s_or_b64 exec, exec, s[4:5]
.LBB109_18:
	v_mov_b32_dpp v10, v8 row_shr:1 row_mask:0xf bank_mask:0xf
	v_mov_b32_dpp v11, v9 row_shr:1 row_mask:0xf bank_mask:0xf
	;; [unrolled: 1-line block ×4, first 2 shown]
	v_add_f64 v[8:9], v[8:9], v[10:11]
	v_add_f64 v[0:1], v[0:1], v[12:13]
	v_cmp_eq_u32_e32 vcc, 31, v7
	v_mov_b32_dpp v10, v8 row_shr:2 row_mask:0xf bank_mask:0xf
	v_mov_b32_dpp v11, v9 row_shr:2 row_mask:0xf bank_mask:0xf
	v_mov_b32_dpp v12, v0 row_shr:2 row_mask:0xf bank_mask:0xf
	v_mov_b32_dpp v13, v1 row_shr:2 row_mask:0xf bank_mask:0xf
	v_add_f64 v[8:9], v[8:9], v[10:11]
	v_add_f64 v[0:1], v[0:1], v[12:13]
	s_nop 0
	v_mov_b32_dpp v10, v8 row_shr:4 row_mask:0xf bank_mask:0xe
	v_mov_b32_dpp v11, v9 row_shr:4 row_mask:0xf bank_mask:0xe
	v_mov_b32_dpp v12, v0 row_shr:4 row_mask:0xf bank_mask:0xe
	v_mov_b32_dpp v13, v1 row_shr:4 row_mask:0xf bank_mask:0xe
	v_add_f64 v[8:9], v[8:9], v[10:11]
	v_add_f64 v[0:1], v[0:1], v[12:13]
	s_nop 0
	;; [unrolled: 7-line block ×3, first 2 shown]
	v_mov_b32_dpp v10, v8 row_bcast:15 row_mask:0xa bank_mask:0xf
	v_mov_b32_dpp v11, v9 row_bcast:15 row_mask:0xa bank_mask:0xf
	;; [unrolled: 1-line block ×4, first 2 shown]
	s_and_b64 exec, exec, vcc
	s_cbranch_execz .LBB109_23
; %bb.19:
	s_load_dwordx2 s[0:1], s[0:1], 0x38
	v_add_f64 v[8:9], v[8:9], v[10:11]
	v_add_f64 v[0:1], v[0:1], v[12:13]
	v_cmp_eq_f64_e32 vcc, 0, v[4:5]
	s_and_saveexec_b64 s[2:3], vcc
	s_xor_b64 s[2:3], exec, s[2:3]
	s_cbranch_execz .LBB109_21
; %bb.20:
	v_lshlrev_b32_e32 v6, 1, v6
	v_ashrrev_i32_e32 v7, 31, v6
	v_mul_f64 v[4:5], v[2:3], v[8:9]
	s_waitcnt lgkmcnt(0)
	v_lshl_add_u64 v[8:9], v[6:7], 3, s[0:1]
	v_mul_f64 v[6:7], v[2:3], v[0:1]
	global_store_dwordx4 v[8:9], v[4:7], off
                                        ; implicit-def: $vgpr6
                                        ; implicit-def: $vgpr2_vgpr3
                                        ; implicit-def: $vgpr8_vgpr9
                                        ; implicit-def: $vgpr4_vgpr5
                                        ; implicit-def: $vgpr0_vgpr1
.LBB109_21:
	s_andn2_saveexec_b64 s[2:3], s[2:3]
	s_cbranch_execz .LBB109_23
; %bb.22:
	v_lshlrev_b32_e32 v6, 1, v6
	v_ashrrev_i32_e32 v7, 31, v6
	s_waitcnt lgkmcnt(0)
	v_lshl_add_u64 v[14:15], v[6:7], 3, s[0:1]
	global_load_dwordx4 v[10:13], v[14:15], off
	v_mul_f64 v[6:7], v[2:3], v[8:9]
	v_mul_f64 v[8:9], v[2:3], v[0:1]
	s_waitcnt vmcnt(0)
	v_fmac_f64_e32 v[6:7], v[4:5], v[10:11]
	v_fmac_f64_e32 v[8:9], v[4:5], v[12:13]
	global_store_dwordx4 v[14:15], v[6:9], off
.LBB109_23:
	s_endpgm
	.section	.rodata,"a",@progbits
	.p2align	6, 0x0
	.amdhsa_kernel _ZN9rocsparseL19gebsrmvn_2xn_kernelILj128ELj8ELj32EdEEvi20rocsparse_direction_NS_24const_host_device_scalarIT2_EEPKiS6_PKS3_S8_S4_PS3_21rocsparse_index_base_b
		.amdhsa_group_segment_fixed_size 0
		.amdhsa_private_segment_fixed_size 0
		.amdhsa_kernarg_size 72
		.amdhsa_user_sgpr_count 2
		.amdhsa_user_sgpr_dispatch_ptr 0
		.amdhsa_user_sgpr_queue_ptr 0
		.amdhsa_user_sgpr_kernarg_segment_ptr 1
		.amdhsa_user_sgpr_dispatch_id 0
		.amdhsa_user_sgpr_kernarg_preload_length 0
		.amdhsa_user_sgpr_kernarg_preload_offset 0
		.amdhsa_user_sgpr_private_segment_size 0
		.amdhsa_uses_dynamic_stack 0
		.amdhsa_enable_private_segment 0
		.amdhsa_system_sgpr_workgroup_id_x 1
		.amdhsa_system_sgpr_workgroup_id_y 0
		.amdhsa_system_sgpr_workgroup_id_z 0
		.amdhsa_system_sgpr_workgroup_info 0
		.amdhsa_system_vgpr_workitem_id 0
		.amdhsa_next_free_vgpr 70
		.amdhsa_next_free_sgpr 18
		.amdhsa_accum_offset 72
		.amdhsa_reserve_vcc 1
		.amdhsa_float_round_mode_32 0
		.amdhsa_float_round_mode_16_64 0
		.amdhsa_float_denorm_mode_32 3
		.amdhsa_float_denorm_mode_16_64 3
		.amdhsa_dx10_clamp 1
		.amdhsa_ieee_mode 1
		.amdhsa_fp16_overflow 0
		.amdhsa_tg_split 0
		.amdhsa_exception_fp_ieee_invalid_op 0
		.amdhsa_exception_fp_denorm_src 0
		.amdhsa_exception_fp_ieee_div_zero 0
		.amdhsa_exception_fp_ieee_overflow 0
		.amdhsa_exception_fp_ieee_underflow 0
		.amdhsa_exception_fp_ieee_inexact 0
		.amdhsa_exception_int_div_zero 0
	.end_amdhsa_kernel
	.section	.text._ZN9rocsparseL19gebsrmvn_2xn_kernelILj128ELj8ELj32EdEEvi20rocsparse_direction_NS_24const_host_device_scalarIT2_EEPKiS6_PKS3_S8_S4_PS3_21rocsparse_index_base_b,"axG",@progbits,_ZN9rocsparseL19gebsrmvn_2xn_kernelILj128ELj8ELj32EdEEvi20rocsparse_direction_NS_24const_host_device_scalarIT2_EEPKiS6_PKS3_S8_S4_PS3_21rocsparse_index_base_b,comdat
.Lfunc_end109:
	.size	_ZN9rocsparseL19gebsrmvn_2xn_kernelILj128ELj8ELj32EdEEvi20rocsparse_direction_NS_24const_host_device_scalarIT2_EEPKiS6_PKS3_S8_S4_PS3_21rocsparse_index_base_b, .Lfunc_end109-_ZN9rocsparseL19gebsrmvn_2xn_kernelILj128ELj8ELj32EdEEvi20rocsparse_direction_NS_24const_host_device_scalarIT2_EEPKiS6_PKS3_S8_S4_PS3_21rocsparse_index_base_b
                                        ; -- End function
	.section	.AMDGPU.csdata,"",@progbits
; Kernel info:
; codeLenInByte = 1252
; NumSgprs: 24
; NumVgprs: 70
; NumAgprs: 0
; TotalNumVgprs: 70
; ScratchSize: 0
; MemoryBound: 1
; FloatMode: 240
; IeeeMode: 1
; LDSByteSize: 0 bytes/workgroup (compile time only)
; SGPRBlocks: 2
; VGPRBlocks: 8
; NumSGPRsForWavesPerEU: 24
; NumVGPRsForWavesPerEU: 70
; AccumOffset: 72
; Occupancy: 7
; WaveLimiterHint : 1
; COMPUTE_PGM_RSRC2:SCRATCH_EN: 0
; COMPUTE_PGM_RSRC2:USER_SGPR: 2
; COMPUTE_PGM_RSRC2:TRAP_HANDLER: 0
; COMPUTE_PGM_RSRC2:TGID_X_EN: 1
; COMPUTE_PGM_RSRC2:TGID_Y_EN: 0
; COMPUTE_PGM_RSRC2:TGID_Z_EN: 0
; COMPUTE_PGM_RSRC2:TIDIG_COMP_CNT: 0
; COMPUTE_PGM_RSRC3_GFX90A:ACCUM_OFFSET: 17
; COMPUTE_PGM_RSRC3_GFX90A:TG_SPLIT: 0
	.section	.text._ZN9rocsparseL19gebsrmvn_2xn_kernelILj128ELj8ELj64EdEEvi20rocsparse_direction_NS_24const_host_device_scalarIT2_EEPKiS6_PKS3_S8_S4_PS3_21rocsparse_index_base_b,"axG",@progbits,_ZN9rocsparseL19gebsrmvn_2xn_kernelILj128ELj8ELj64EdEEvi20rocsparse_direction_NS_24const_host_device_scalarIT2_EEPKiS6_PKS3_S8_S4_PS3_21rocsparse_index_base_b,comdat
	.globl	_ZN9rocsparseL19gebsrmvn_2xn_kernelILj128ELj8ELj64EdEEvi20rocsparse_direction_NS_24const_host_device_scalarIT2_EEPKiS6_PKS3_S8_S4_PS3_21rocsparse_index_base_b ; -- Begin function _ZN9rocsparseL19gebsrmvn_2xn_kernelILj128ELj8ELj64EdEEvi20rocsparse_direction_NS_24const_host_device_scalarIT2_EEPKiS6_PKS3_S8_S4_PS3_21rocsparse_index_base_b
	.p2align	8
	.type	_ZN9rocsparseL19gebsrmvn_2xn_kernelILj128ELj8ELj64EdEEvi20rocsparse_direction_NS_24const_host_device_scalarIT2_EEPKiS6_PKS3_S8_S4_PS3_21rocsparse_index_base_b,@function
_ZN9rocsparseL19gebsrmvn_2xn_kernelILj128ELj8ELj64EdEEvi20rocsparse_direction_NS_24const_host_device_scalarIT2_EEPKiS6_PKS3_S8_S4_PS3_21rocsparse_index_base_b: ; @_ZN9rocsparseL19gebsrmvn_2xn_kernelILj128ELj8ELj64EdEEvi20rocsparse_direction_NS_24const_host_device_scalarIT2_EEPKiS6_PKS3_S8_S4_PS3_21rocsparse_index_base_b
; %bb.0:
	s_load_dwordx2 s[12:13], s[0:1], 0x40
	s_load_dwordx2 s[8:9], s[0:1], 0x8
	;; [unrolled: 1-line block ×3, first 2 shown]
	s_waitcnt lgkmcnt(0)
	s_bitcmp1_b32 s13, 0
	s_cselect_b64 s[10:11], -1, 0
	s_xor_b64 s[6:7], s[10:11], -1
	s_and_b64 vcc, exec, s[10:11]
	v_mov_b64_e32 v[2:3], s[8:9]
	s_cbranch_vccnz .LBB110_2
; %bb.1:
	v_mov_b64_e32 v[2:3], s[8:9]
	flat_load_dwordx2 v[2:3], v[2:3]
.LBB110_2:
	s_andn2_b64 vcc, exec, s[6:7]
	v_mov_b64_e32 v[4:5], s[4:5]
	s_cbranch_vccnz .LBB110_4
; %bb.3:
	v_mov_b64_e32 v[4:5], s[4:5]
	flat_load_dwordx2 v[4:5], v[4:5]
.LBB110_4:
	s_waitcnt vmcnt(0) lgkmcnt(0)
	v_cmp_neq_f64_e32 vcc, 0, v[2:3]
	v_cmp_neq_f64_e64 s[4:5], 1.0, v[4:5]
	s_or_b64 s[4:5], vcc, s[4:5]
	s_and_saveexec_b64 s[6:7], s[4:5]
	s_cbranch_execz .LBB110_23
; %bb.5:
	s_load_dwordx2 s[14:15], s[0:1], 0x0
	v_lshrrev_b32_e32 v1, 6, v0
	v_lshl_or_b32 v6, s2, 1, v1
	s_waitcnt lgkmcnt(0)
	v_cmp_gt_i32_e32 vcc, s14, v6
	s_and_b64 exec, exec, vcc
	s_cbranch_execz .LBB110_23
; %bb.6:
	s_load_dwordx8 s[4:11], s[0:1], 0x10
	v_ashrrev_i32_e32 v7, 31, v6
	s_cmp_lg_u32 s15, 0
	s_waitcnt lgkmcnt(0)
	v_lshl_add_u64 v[8:9], v[6:7], 2, s[4:5]
	global_load_dwordx2 v[8:9], v[8:9], off
	v_and_b32_e32 v7, 63, v0
	s_waitcnt vmcnt(0)
	v_subrev_u32_e32 v0, s12, v8
	v_subrev_u32_e32 v16, s12, v9
	v_add_u32_e32 v10, v0, v7
	v_cmp_lt_i32_e64 s[2:3], v10, v16
	s_cbranch_scc0 .LBB110_12
; %bb.7:
	v_mov_b64_e32 v[8:9], 0
	s_mov_b64 s[4:5], 0
	v_mov_b64_e32 v[0:1], v[8:9]
	s_and_saveexec_b64 s[14:15], s[2:3]
	s_cbranch_execz .LBB110_11
; %bb.8:
	v_mov_b64_e32 v[8:9], 0
	v_lshlrev_b32_e32 v12, 4, v10
	s_mov_b64 s[16:17], 0
	v_mov_b32_e32 v13, 0
	v_mov_b32_e32 v14, v10
	v_mov_b64_e32 v[0:1], v[8:9]
.LBB110_9:                              ; =>This Inner Loop Header: Depth=1
	v_ashrrev_i32_e32 v15, 31, v14
	v_lshl_add_u64 v[18:19], v[14:15], 2, s[6:7]
	global_load_dword v11, v[18:19], off
	v_lshl_add_u64 v[66:67], v[12:13], 3, s[8:9]
	global_load_dwordx4 v[18:21], v[66:67], off offset:48
	global_load_dwordx4 v[22:25], v[66:67], off offset:32
	;; [unrolled: 1-line block ×3, first 2 shown]
	global_load_dwordx4 v[30:33], v[66:67], off
	global_load_dwordx4 v[34:37], v[66:67], off offset:80
	global_load_dwordx4 v[38:41], v[66:67], off offset:64
	v_mov_b32_e32 v43, v13
	v_add_u32_e32 v14, 64, v14
	v_cmp_ge_i32_e32 vcc, v14, v16
	v_add_u32_e32 v12, 0x400, v12
	s_or_b64 s[16:17], vcc, s[16:17]
	s_waitcnt vmcnt(6)
	v_subrev_u32_e32 v11, s12, v11
	v_lshlrev_b32_e32 v42, 3, v11
	v_lshl_add_u64 v[68:69], v[42:43], 3, s[10:11]
	global_load_dwordx4 v[42:45], v[68:69], off
	global_load_dwordx4 v[46:49], v[68:69], off offset:16
	global_load_dwordx4 v[50:53], v[68:69], off offset:32
	;; [unrolled: 1-line block ×5, first 2 shown]
	s_waitcnt vmcnt(5)
	v_fmac_f64_e32 v[8:9], v[30:31], v[42:43]
	v_fmac_f64_e32 v[0:1], v[32:33], v[42:43]
	v_fmac_f64_e32 v[8:9], v[26:27], v[44:45]
	v_fmac_f64_e32 v[0:1], v[28:29], v[44:45]
	s_waitcnt vmcnt(4)
	v_fmac_f64_e32 v[8:9], v[22:23], v[46:47]
	v_fmac_f64_e32 v[0:1], v[24:25], v[46:47]
	v_fmac_f64_e32 v[8:9], v[18:19], v[48:49]
	v_fmac_f64_e32 v[0:1], v[20:21], v[48:49]
	;; [unrolled: 5-line block ×3, first 2 shown]
	s_waitcnt vmcnt(1)
	v_fmac_f64_e32 v[8:9], v[58:59], v[54:55]
	v_fmac_f64_e32 v[0:1], v[60:61], v[54:55]
	s_waitcnt vmcnt(0)
	v_fmac_f64_e32 v[8:9], v[62:63], v[56:57]
	v_fmac_f64_e32 v[0:1], v[64:65], v[56:57]
	s_andn2_b64 exec, exec, s[16:17]
	s_cbranch_execnz .LBB110_9
; %bb.10:
	s_or_b64 exec, exec, s[16:17]
.LBB110_11:
	s_or_b64 exec, exec, s[14:15]
	s_andn2_b64 vcc, exec, s[4:5]
	s_cbranch_vccz .LBB110_13
	s_branch .LBB110_18
.LBB110_12:
                                        ; implicit-def: $vgpr8_vgpr9
                                        ; implicit-def: $vgpr0_vgpr1
.LBB110_13:
	v_mov_b64_e32 v[8:9], 0
	v_mov_b64_e32 v[0:1], v[8:9]
	s_and_saveexec_b64 s[4:5], s[2:3]
	s_cbranch_execz .LBB110_17
; %bb.14:
	v_mov_b64_e32 v[8:9], 0
	v_lshlrev_b32_e32 v12, 4, v10
	s_mov_b64 s[2:3], 0
	v_mov_b32_e32 v13, 0
	v_mov_b64_e32 v[0:1], v[8:9]
.LBB110_15:                             ; =>This Inner Loop Header: Depth=1
	v_ashrrev_i32_e32 v11, 31, v10
	v_lshl_add_u64 v[14:15], v[10:11], 2, s[6:7]
	global_load_dword v11, v[14:15], off
	v_lshl_add_u64 v[14:15], v[12:13], 3, s[8:9]
	global_load_dwordx4 v[18:21], v[14:15], off offset:48
	global_load_dwordx4 v[22:25], v[14:15], off offset:32
	;; [unrolled: 1-line block ×3, first 2 shown]
	global_load_dwordx4 v[30:33], v[14:15], off
	global_load_dwordx4 v[34:37], v[14:15], off offset:112
	global_load_dwordx4 v[38:41], v[14:15], off offset:96
	global_load_dwordx4 v[42:45], v[14:15], off offset:80
	global_load_dwordx4 v[46:49], v[14:15], off offset:64
	v_mov_b32_e32 v51, v13
	v_add_u32_e32 v10, 64, v10
	v_cmp_ge_i32_e32 vcc, v10, v16
	v_add_u32_e32 v12, 0x400, v12
	s_or_b64 s[2:3], vcc, s[2:3]
	s_waitcnt vmcnt(8)
	v_subrev_u32_e32 v11, s12, v11
	v_lshlrev_b32_e32 v50, 3, v11
	v_lshl_add_u64 v[14:15], v[50:51], 3, s[10:11]
	global_load_dwordx4 v[50:53], v[14:15], off
	global_load_dwordx4 v[54:57], v[14:15], off offset:16
	global_load_dwordx4 v[58:61], v[14:15], off offset:32
	;; [unrolled: 1-line block ×3, first 2 shown]
	s_waitcnt vmcnt(3)
	v_fmac_f64_e32 v[8:9], v[30:31], v[50:51]
	v_fmac_f64_e32 v[0:1], v[46:47], v[50:51]
	v_fmac_f64_e32 v[8:9], v[32:33], v[52:53]
	v_fmac_f64_e32 v[0:1], v[48:49], v[52:53]
	s_waitcnt vmcnt(2)
	v_fmac_f64_e32 v[8:9], v[26:27], v[54:55]
	v_fmac_f64_e32 v[0:1], v[42:43], v[54:55]
	v_fmac_f64_e32 v[8:9], v[28:29], v[56:57]
	v_fmac_f64_e32 v[0:1], v[44:45], v[56:57]
	;; [unrolled: 5-line block ×4, first 2 shown]
	s_andn2_b64 exec, exec, s[2:3]
	s_cbranch_execnz .LBB110_15
; %bb.16:
	s_or_b64 exec, exec, s[2:3]
.LBB110_17:
	s_or_b64 exec, exec, s[4:5]
.LBB110_18:
	v_mov_b32_dpp v10, v8 row_shr:1 row_mask:0xf bank_mask:0xf
	v_mov_b32_dpp v11, v9 row_shr:1 row_mask:0xf bank_mask:0xf
	;; [unrolled: 1-line block ×4, first 2 shown]
	v_add_f64 v[8:9], v[8:9], v[10:11]
	v_add_f64 v[0:1], v[0:1], v[12:13]
	v_cmp_eq_u32_e32 vcc, 63, v7
	v_mov_b32_dpp v10, v8 row_shr:2 row_mask:0xf bank_mask:0xf
	v_mov_b32_dpp v11, v9 row_shr:2 row_mask:0xf bank_mask:0xf
	v_mov_b32_dpp v12, v0 row_shr:2 row_mask:0xf bank_mask:0xf
	v_mov_b32_dpp v13, v1 row_shr:2 row_mask:0xf bank_mask:0xf
	v_add_f64 v[8:9], v[8:9], v[10:11]
	v_add_f64 v[0:1], v[0:1], v[12:13]
	s_nop 0
	v_mov_b32_dpp v10, v8 row_shr:4 row_mask:0xf bank_mask:0xe
	v_mov_b32_dpp v11, v9 row_shr:4 row_mask:0xf bank_mask:0xe
	v_mov_b32_dpp v12, v0 row_shr:4 row_mask:0xf bank_mask:0xe
	v_mov_b32_dpp v13, v1 row_shr:4 row_mask:0xf bank_mask:0xe
	v_add_f64 v[8:9], v[8:9], v[10:11]
	v_add_f64 v[0:1], v[0:1], v[12:13]
	s_nop 0
	;; [unrolled: 7-line block ×3, first 2 shown]
	v_mov_b32_dpp v10, v8 row_bcast:15 row_mask:0xa bank_mask:0xf
	v_mov_b32_dpp v11, v9 row_bcast:15 row_mask:0xa bank_mask:0xf
	;; [unrolled: 1-line block ×4, first 2 shown]
	v_add_f64 v[8:9], v[8:9], v[10:11]
	v_add_f64 v[0:1], v[0:1], v[12:13]
	s_nop 0
	v_mov_b32_dpp v10, v8 row_bcast:31 row_mask:0xc bank_mask:0xf
	v_mov_b32_dpp v11, v9 row_bcast:31 row_mask:0xc bank_mask:0xf
	;; [unrolled: 1-line block ×4, first 2 shown]
	s_and_b64 exec, exec, vcc
	s_cbranch_execz .LBB110_23
; %bb.19:
	s_load_dwordx2 s[0:1], s[0:1], 0x38
	v_add_f64 v[8:9], v[8:9], v[10:11]
	v_add_f64 v[0:1], v[0:1], v[12:13]
	v_cmp_eq_f64_e32 vcc, 0, v[4:5]
	s_and_saveexec_b64 s[2:3], vcc
	s_xor_b64 s[2:3], exec, s[2:3]
	s_cbranch_execz .LBB110_21
; %bb.20:
	v_lshlrev_b32_e32 v6, 1, v6
	v_ashrrev_i32_e32 v7, 31, v6
	v_mul_f64 v[4:5], v[2:3], v[8:9]
	s_waitcnt lgkmcnt(0)
	v_lshl_add_u64 v[8:9], v[6:7], 3, s[0:1]
	v_mul_f64 v[6:7], v[2:3], v[0:1]
	global_store_dwordx4 v[8:9], v[4:7], off
                                        ; implicit-def: $vgpr6
                                        ; implicit-def: $vgpr2_vgpr3
                                        ; implicit-def: $vgpr8_vgpr9
                                        ; implicit-def: $vgpr4_vgpr5
                                        ; implicit-def: $vgpr0_vgpr1
.LBB110_21:
	s_andn2_saveexec_b64 s[2:3], s[2:3]
	s_cbranch_execz .LBB110_23
; %bb.22:
	v_lshlrev_b32_e32 v6, 1, v6
	v_ashrrev_i32_e32 v7, 31, v6
	s_waitcnt lgkmcnt(0)
	v_lshl_add_u64 v[14:15], v[6:7], 3, s[0:1]
	global_load_dwordx4 v[10:13], v[14:15], off
	v_mul_f64 v[6:7], v[2:3], v[8:9]
	v_mul_f64 v[8:9], v[2:3], v[0:1]
	s_waitcnt vmcnt(0)
	v_fmac_f64_e32 v[6:7], v[4:5], v[10:11]
	v_fmac_f64_e32 v[8:9], v[4:5], v[12:13]
	global_store_dwordx4 v[14:15], v[6:9], off
.LBB110_23:
	s_endpgm
	.section	.rodata,"a",@progbits
	.p2align	6, 0x0
	.amdhsa_kernel _ZN9rocsparseL19gebsrmvn_2xn_kernelILj128ELj8ELj64EdEEvi20rocsparse_direction_NS_24const_host_device_scalarIT2_EEPKiS6_PKS3_S8_S4_PS3_21rocsparse_index_base_b
		.amdhsa_group_segment_fixed_size 0
		.amdhsa_private_segment_fixed_size 0
		.amdhsa_kernarg_size 72
		.amdhsa_user_sgpr_count 2
		.amdhsa_user_sgpr_dispatch_ptr 0
		.amdhsa_user_sgpr_queue_ptr 0
		.amdhsa_user_sgpr_kernarg_segment_ptr 1
		.amdhsa_user_sgpr_dispatch_id 0
		.amdhsa_user_sgpr_kernarg_preload_length 0
		.amdhsa_user_sgpr_kernarg_preload_offset 0
		.amdhsa_user_sgpr_private_segment_size 0
		.amdhsa_uses_dynamic_stack 0
		.amdhsa_enable_private_segment 0
		.amdhsa_system_sgpr_workgroup_id_x 1
		.amdhsa_system_sgpr_workgroup_id_y 0
		.amdhsa_system_sgpr_workgroup_id_z 0
		.amdhsa_system_sgpr_workgroup_info 0
		.amdhsa_system_vgpr_workitem_id 0
		.amdhsa_next_free_vgpr 70
		.amdhsa_next_free_sgpr 18
		.amdhsa_accum_offset 72
		.amdhsa_reserve_vcc 1
		.amdhsa_float_round_mode_32 0
		.amdhsa_float_round_mode_16_64 0
		.amdhsa_float_denorm_mode_32 3
		.amdhsa_float_denorm_mode_16_64 3
		.amdhsa_dx10_clamp 1
		.amdhsa_ieee_mode 1
		.amdhsa_fp16_overflow 0
		.amdhsa_tg_split 0
		.amdhsa_exception_fp_ieee_invalid_op 0
		.amdhsa_exception_fp_denorm_src 0
		.amdhsa_exception_fp_ieee_div_zero 0
		.amdhsa_exception_fp_ieee_overflow 0
		.amdhsa_exception_fp_ieee_underflow 0
		.amdhsa_exception_fp_ieee_inexact 0
		.amdhsa_exception_int_div_zero 0
	.end_amdhsa_kernel
	.section	.text._ZN9rocsparseL19gebsrmvn_2xn_kernelILj128ELj8ELj64EdEEvi20rocsparse_direction_NS_24const_host_device_scalarIT2_EEPKiS6_PKS3_S8_S4_PS3_21rocsparse_index_base_b,"axG",@progbits,_ZN9rocsparseL19gebsrmvn_2xn_kernelILj128ELj8ELj64EdEEvi20rocsparse_direction_NS_24const_host_device_scalarIT2_EEPKiS6_PKS3_S8_S4_PS3_21rocsparse_index_base_b,comdat
.Lfunc_end110:
	.size	_ZN9rocsparseL19gebsrmvn_2xn_kernelILj128ELj8ELj64EdEEvi20rocsparse_direction_NS_24const_host_device_scalarIT2_EEPKiS6_PKS3_S8_S4_PS3_21rocsparse_index_base_b, .Lfunc_end110-_ZN9rocsparseL19gebsrmvn_2xn_kernelILj128ELj8ELj64EdEEvi20rocsparse_direction_NS_24const_host_device_scalarIT2_EEPKiS6_PKS3_S8_S4_PS3_21rocsparse_index_base_b
                                        ; -- End function
	.section	.AMDGPU.csdata,"",@progbits
; Kernel info:
; codeLenInByte = 1304
; NumSgprs: 24
; NumVgprs: 70
; NumAgprs: 0
; TotalNumVgprs: 70
; ScratchSize: 0
; MemoryBound: 1
; FloatMode: 240
; IeeeMode: 1
; LDSByteSize: 0 bytes/workgroup (compile time only)
; SGPRBlocks: 2
; VGPRBlocks: 8
; NumSGPRsForWavesPerEU: 24
; NumVGPRsForWavesPerEU: 70
; AccumOffset: 72
; Occupancy: 7
; WaveLimiterHint : 1
; COMPUTE_PGM_RSRC2:SCRATCH_EN: 0
; COMPUTE_PGM_RSRC2:USER_SGPR: 2
; COMPUTE_PGM_RSRC2:TRAP_HANDLER: 0
; COMPUTE_PGM_RSRC2:TGID_X_EN: 1
; COMPUTE_PGM_RSRC2:TGID_Y_EN: 0
; COMPUTE_PGM_RSRC2:TGID_Z_EN: 0
; COMPUTE_PGM_RSRC2:TIDIG_COMP_CNT: 0
; COMPUTE_PGM_RSRC3_GFX90A:ACCUM_OFFSET: 17
; COMPUTE_PGM_RSRC3_GFX90A:TG_SPLIT: 0
	.section	.text._ZN9rocsparseL19gebsrmvn_2xn_kernelILj128ELj9ELj4EdEEvi20rocsparse_direction_NS_24const_host_device_scalarIT2_EEPKiS6_PKS3_S8_S4_PS3_21rocsparse_index_base_b,"axG",@progbits,_ZN9rocsparseL19gebsrmvn_2xn_kernelILj128ELj9ELj4EdEEvi20rocsparse_direction_NS_24const_host_device_scalarIT2_EEPKiS6_PKS3_S8_S4_PS3_21rocsparse_index_base_b,comdat
	.globl	_ZN9rocsparseL19gebsrmvn_2xn_kernelILj128ELj9ELj4EdEEvi20rocsparse_direction_NS_24const_host_device_scalarIT2_EEPKiS6_PKS3_S8_S4_PS3_21rocsparse_index_base_b ; -- Begin function _ZN9rocsparseL19gebsrmvn_2xn_kernelILj128ELj9ELj4EdEEvi20rocsparse_direction_NS_24const_host_device_scalarIT2_EEPKiS6_PKS3_S8_S4_PS3_21rocsparse_index_base_b
	.p2align	8
	.type	_ZN9rocsparseL19gebsrmvn_2xn_kernelILj128ELj9ELj4EdEEvi20rocsparse_direction_NS_24const_host_device_scalarIT2_EEPKiS6_PKS3_S8_S4_PS3_21rocsparse_index_base_b,@function
_ZN9rocsparseL19gebsrmvn_2xn_kernelILj128ELj9ELj4EdEEvi20rocsparse_direction_NS_24const_host_device_scalarIT2_EEPKiS6_PKS3_S8_S4_PS3_21rocsparse_index_base_b: ; @_ZN9rocsparseL19gebsrmvn_2xn_kernelILj128ELj9ELj4EdEEvi20rocsparse_direction_NS_24const_host_device_scalarIT2_EEPKiS6_PKS3_S8_S4_PS3_21rocsparse_index_base_b
; %bb.0:
	s_load_dwordx2 s[12:13], s[0:1], 0x40
	s_load_dwordx2 s[8:9], s[0:1], 0x8
	;; [unrolled: 1-line block ×3, first 2 shown]
	s_waitcnt lgkmcnt(0)
	s_bitcmp1_b32 s13, 0
	s_cselect_b64 s[10:11], -1, 0
	s_xor_b64 s[6:7], s[10:11], -1
	s_and_b64 vcc, exec, s[10:11]
	v_mov_b64_e32 v[2:3], s[8:9]
	s_cbranch_vccnz .LBB111_2
; %bb.1:
	v_mov_b64_e32 v[2:3], s[8:9]
	flat_load_dwordx2 v[2:3], v[2:3]
.LBB111_2:
	s_andn2_b64 vcc, exec, s[6:7]
	v_mov_b64_e32 v[4:5], s[4:5]
	s_cbranch_vccnz .LBB111_4
; %bb.3:
	v_mov_b64_e32 v[4:5], s[4:5]
	flat_load_dwordx2 v[4:5], v[4:5]
.LBB111_4:
	s_waitcnt vmcnt(0) lgkmcnt(0)
	v_cmp_neq_f64_e32 vcc, 0, v[2:3]
	v_cmp_neq_f64_e64 s[4:5], 1.0, v[4:5]
	s_or_b64 s[4:5], vcc, s[4:5]
	s_and_saveexec_b64 s[6:7], s[4:5]
	s_cbranch_execz .LBB111_23
; %bb.5:
	s_load_dwordx2 s[14:15], s[0:1], 0x0
	v_lshrrev_b32_e32 v1, 2, v0
	v_lshl_or_b32 v6, s2, 5, v1
	s_waitcnt lgkmcnt(0)
	v_cmp_gt_i32_e32 vcc, s14, v6
	s_and_b64 exec, exec, vcc
	s_cbranch_execz .LBB111_23
; %bb.6:
	s_load_dwordx8 s[4:11], s[0:1], 0x10
	v_ashrrev_i32_e32 v7, 31, v6
	s_cmp_lg_u32 s15, 0
	s_waitcnt lgkmcnt(0)
	v_lshl_add_u64 v[8:9], v[6:7], 2, s[4:5]
	global_load_dwordx2 v[8:9], v[8:9], off
	v_and_b32_e32 v7, 3, v0
	s_waitcnt vmcnt(0)
	v_subrev_u32_e32 v0, s12, v8
	v_subrev_u32_e32 v18, s12, v9
	v_add_u32_e32 v8, v0, v7
	v_cmp_lt_i32_e64 s[2:3], v8, v18
	s_cbranch_scc0 .LBB111_12
; %bb.7:
	v_mov_b64_e32 v[0:1], 0
	s_mov_b64 s[4:5], 0
	v_mov_b64_e32 v[10:11], v[0:1]
	s_and_saveexec_b64 s[14:15], s[2:3]
	s_cbranch_execz .LBB111_11
; %bb.8:
	v_mad_u64_u32 v[12:13], s[16:17], v8, 18, 16
	v_mov_b64_e32 v[0:1], 0
	s_mov_b64 s[16:17], 0
	v_mov_b32_e32 v15, 0
	v_mov_b32_e32 v16, v8
	v_mov_b64_e32 v[10:11], v[0:1]
.LBB111_9:                              ; =>This Inner Loop Header: Depth=1
	v_ashrrev_i32_e32 v17, 31, v16
	v_add_u32_e32 v14, -16, v12
	v_lshl_add_u64 v[24:25], v[16:17], 2, s[6:7]
	v_lshl_add_u64 v[26:27], v[14:15], 3, s[8:9]
	global_load_dword v9, v[24:25], off
	global_load_dwordx4 v[20:23], v[26:27], off
	v_mov_b32_e32 v13, v15
	v_mov_b32_e32 v49, v15
	v_add_u32_e32 v14, -14, v12
	v_lshl_add_u64 v[32:33], v[12:13], 3, s[8:9]
	v_lshl_add_u64 v[34:35], v[14:15], 3, s[8:9]
	global_load_dwordx4 v[24:27], v[32:33], off
	global_load_dwordx4 v[28:31], v[34:35], off
	v_add_u32_e32 v16, 4, v16
	v_cmp_ge_i32_e32 vcc, v16, v18
	s_or_b64 s[16:17], vcc, s[16:17]
	s_waitcnt vmcnt(3)
	v_subrev_u32_e32 v9, s12, v9
	v_lshl_add_u32 v48, v9, 3, v9
	v_lshl_add_u64 v[32:33], v[48:49], 3, s[10:11]
	v_add_u32_e32 v14, 1, v48
	global_load_dwordx2 v[50:51], v[32:33], off
	v_lshl_add_u64 v[32:33], v[14:15], 3, s[10:11]
	global_load_dwordx2 v[52:53], v[32:33], off
	v_add_u32_e32 v14, -12, v12
	v_lshl_add_u64 v[32:33], v[14:15], 3, s[8:9]
	v_add_u32_e32 v14, 2, v48
	v_lshl_add_u64 v[36:37], v[14:15], 3, s[10:11]
	v_add_u32_e32 v14, -10, v12
	global_load_dwordx2 v[54:55], v[36:37], off
	v_lshl_add_u64 v[36:37], v[14:15], 3, s[8:9]
	v_add_u32_e32 v14, 3, v48
	v_lshl_add_u64 v[40:41], v[14:15], 3, s[10:11]
	v_add_u32_e32 v14, -8, v12
	global_load_dwordx2 v[56:57], v[40:41], off
	;; [unrolled: 5-line block ×3, first 2 shown]
	v_lshl_add_u64 v[44:45], v[14:15], 3, s[8:9]
	v_add_u32_e32 v14, 5, v48
	global_load_dwordx4 v[32:35], v[32:33], off
	v_lshl_add_u64 v[60:61], v[14:15], 3, s[10:11]
	v_add_u32_e32 v14, -4, v12
	global_load_dwordx4 v[36:39], v[36:37], off
	s_waitcnt vmcnt(6)
	v_fmac_f64_e32 v[0:1], v[20:21], v[50:51]
	v_lshl_add_u64 v[20:21], v[14:15], 3, s[8:9]
	v_add_u32_e32 v14, 6, v48
	global_load_dwordx4 v[40:43], v[40:41], off
	v_fmac_f64_e32 v[10:11], v[22:23], v[50:51]
	v_lshl_add_u64 v[50:51], v[14:15], 3, s[10:11]
	v_add_u32_e32 v14, -2, v12
	global_load_dwordx4 v[44:47], v[44:45], off
	s_waitcnt vmcnt(7)
	v_fmac_f64_e32 v[0:1], v[28:29], v[52:53]
	global_load_dwordx2 v[60:61], v[60:61], off
	v_lshl_add_u64 v[28:29], v[14:15], 3, s[8:9]
	v_add_u32_e32 v14, 7, v48
	global_load_dwordx4 v[20:23], v[20:21], off
	v_fmac_f64_e32 v[10:11], v[30:31], v[52:53]
	global_load_dwordx4 v[28:31], v[28:29], off
	v_lshl_add_u64 v[52:53], v[14:15], 3, s[10:11]
	global_load_dwordx2 v[50:51], v[50:51], off
	v_add_u32_e32 v14, 8, v48
	global_load_dwordx2 v[48:49], v[52:53], off
	v_lshl_add_u64 v[52:53], v[14:15], 3, s[10:11]
	global_load_dwordx2 v[52:53], v[52:53], off
	s_waitcnt vmcnt(9)
	v_fmac_f64_e32 v[0:1], v[32:33], v[54:55]
	v_fmac_f64_e32 v[10:11], v[34:35], v[54:55]
	v_add_u32_e32 v12, 0x48, v12
	s_waitcnt vmcnt(8)
	v_fmac_f64_e32 v[0:1], v[36:37], v[56:57]
	v_fmac_f64_e32 v[10:11], v[38:39], v[56:57]
	s_waitcnt vmcnt(7)
	v_fmac_f64_e32 v[0:1], v[40:41], v[58:59]
	v_fmac_f64_e32 v[10:11], v[42:43], v[58:59]
	;; [unrolled: 3-line block ×6, first 2 shown]
	s_andn2_b64 exec, exec, s[16:17]
	s_cbranch_execnz .LBB111_9
; %bb.10:
	s_or_b64 exec, exec, s[16:17]
.LBB111_11:
	s_or_b64 exec, exec, s[14:15]
	s_andn2_b64 vcc, exec, s[4:5]
	s_cbranch_vccz .LBB111_13
	s_branch .LBB111_18
.LBB111_12:
                                        ; implicit-def: $vgpr0_vgpr1
                                        ; implicit-def: $vgpr10_vgpr11
.LBB111_13:
	v_mov_b64_e32 v[0:1], 0
	v_mov_b64_e32 v[10:11], v[0:1]
	s_and_saveexec_b64 s[4:5], s[2:3]
	s_cbranch_execz .LBB111_17
; %bb.14:
	v_mad_u64_u32 v[12:13], s[2:3], v8, 18, 17
	v_mov_b64_e32 v[0:1], 0
	s_mov_b64 s[2:3], 0
	v_mov_b32_e32 v15, 0
	v_mov_b64_e32 v[10:11], v[0:1]
.LBB111_15:                             ; =>This Inner Loop Header: Depth=1
	v_ashrrev_i32_e32 v9, 31, v8
	v_subrev_u32_e32 v14, 17, v12
	v_add_u32_e32 v20, -8, v12
	v_mov_b32_e32 v21, v15
	v_mov_b32_e32 v13, v15
	v_lshl_add_u64 v[24:25], v[8:9], 2, s[6:7]
	v_lshl_add_u64 v[26:27], v[14:15], 3, s[8:9]
	;; [unrolled: 1-line block ×4, first 2 shown]
	global_load_dword v9, v[24:25], off
	global_load_dwordx2 v[32:33], v[28:29], off
	global_load_dwordx4 v[20:23], v[26:27], off
	global_load_dwordx2 v[34:35], v[30:31], off
	v_mov_b32_e32 v17, v15
	v_add_u32_e32 v8, 4, v8
	v_cmp_ge_i32_e32 vcc, v8, v18
	s_or_b64 s[2:3], vcc, s[2:3]
	s_waitcnt vmcnt(3)
	v_subrev_u32_e32 v9, s12, v9
	v_lshl_add_u32 v16, v9, 3, v9
	v_lshl_add_u64 v[24:25], v[16:17], 3, s[10:11]
	v_add_u32_e32 v14, 1, v16
	global_load_dwordx2 v[24:25], v[24:25], off
	v_lshl_add_u64 v[26:27], v[14:15], 3, s[10:11]
	global_load_dwordx2 v[26:27], v[26:27], off
	v_add_u32_e32 v14, -7, v12
	v_lshl_add_u64 v[28:29], v[14:15], 3, s[8:9]
	global_load_dwordx2 v[28:29], v[28:29], off
	v_add_u32_e32 v14, -15, v12
	v_lshl_add_u64 v[30:31], v[14:15], 3, s[8:9]
	global_load_dwordx2 v[30:31], v[30:31], off
	v_add_u32_e32 v14, 2, v16
	v_lshl_add_u64 v[36:37], v[14:15], 3, s[10:11]
	v_add_u32_e32 v14, -6, v12
	v_lshl_add_u64 v[38:39], v[14:15], 3, s[8:9]
	v_add_u32_e32 v14, -14, v12
	v_lshl_add_u64 v[40:41], v[14:15], 3, s[8:9]
	v_add_u32_e32 v14, 3, v16
	v_lshl_add_u64 v[42:43], v[14:15], 3, s[10:11]
	v_add_u32_e32 v14, -5, v12
	v_lshl_add_u64 v[44:45], v[14:15], 3, s[8:9]
	v_add_u32_e32 v14, -13, v12
	v_lshl_add_u64 v[46:47], v[14:15], 3, s[8:9]
	;; [unrolled: 6-line block ×4, first 2 shown]
	v_add_u32_e32 v14, 6, v16
	global_load_dwordx2 v[36:37], v[36:37], off
	s_waitcnt vmcnt(4)
	v_fmac_f64_e32 v[10:11], v[32:33], v[24:25]
	v_lshl_add_u64 v[32:33], v[14:15], 3, s[10:11]
	v_add_u32_e32 v14, -2, v12
	global_load_dwordx2 v[38:39], v[38:39], off
	v_fmac_f64_e32 v[0:1], v[20:21], v[24:25]
	global_load_dwordx2 v[40:41], v[40:41], off
	v_lshl_add_u64 v[20:21], v[14:15], 3, s[8:9]
	v_add_u32_e32 v14, -10, v12
	global_load_dwordx2 v[42:43], v[42:43], off
	s_waitcnt vmcnt(6)
	v_fmac_f64_e32 v[0:1], v[22:23], v[26:27]
	global_load_dwordx2 v[44:45], v[44:45], off
	v_lshl_add_u64 v[22:23], v[14:15], 3, s[8:9]
	global_load_dwordx2 v[46:47], v[46:47], off
	v_add_u32_e32 v14, 7, v16
	global_load_dwordx2 v[48:49], v[48:49], off
	s_nop 0
	global_load_dwordx2 v[50:51], v[50:51], off
	s_nop 0
	;; [unrolled: 2-line block ×3, first 2 shown]
	global_load_dwordx2 v[24:25], v[32:33], off
	v_lshl_add_u64 v[32:33], v[14:15], 3, s[10:11]
	v_add_u32_e32 v14, -1, v12
	global_load_dwordx2 v[54:55], v[54:55], off
	s_waitcnt vmcnt(10)
	v_fmac_f64_e32 v[0:1], v[30:31], v[36:37]
	global_load_dwordx2 v[56:57], v[56:57], off
	s_waitcnt vmcnt(8)
	v_fmac_f64_e32 v[0:1], v[40:41], v[42:43]
	global_load_dwordx2 v[58:59], v[58:59], off
	s_waitcnt vmcnt(6)
	v_fmac_f64_e32 v[0:1], v[46:47], v[48:49]
	global_load_dwordx2 v[20:21], v[20:21], off
	s_waitcnt vmcnt(3)
	v_fmac_f64_e32 v[0:1], v[52:53], v[54:55]
	global_load_dwordx2 v[22:23], v[22:23], off
	v_fmac_f64_e32 v[10:11], v[28:29], v[26:27]
	v_lshl_add_u64 v[26:27], v[14:15], 3, s[8:9]
	v_add_u32_e32 v14, -9, v12
	global_load_dwordx2 v[28:29], v[32:33], off
	v_lshl_add_u64 v[32:33], v[14:15], 3, s[8:9]
	v_add_u32_e32 v14, 8, v16
	global_load_dwordx2 v[16:17], v[26:27], off
	global_load_dwordx2 v[60:61], v[32:33], off
	v_lshl_add_u64 v[26:27], v[14:15], 3, s[10:11]
	global_load_dwordx2 v[26:27], v[26:27], off
	v_fmac_f64_e32 v[10:11], v[38:39], v[36:37]
	v_fmac_f64_e32 v[10:11], v[44:45], v[42:43]
	;; [unrolled: 1-line block ×3, first 2 shown]
	s_waitcnt vmcnt(7)
	v_fmac_f64_e32 v[10:11], v[56:57], v[54:55]
	v_add_u32_e32 v12, 0x48, v12
	s_waitcnt vmcnt(6)
	v_fmac_f64_e32 v[0:1], v[58:59], v[24:25]
	s_waitcnt vmcnt(5)
	v_fmac_f64_e32 v[10:11], v[20:21], v[24:25]
	;; [unrolled: 2-line block ×5, first 2 shown]
	v_fmac_f64_e32 v[10:11], v[34:35], v[26:27]
	s_andn2_b64 exec, exec, s[2:3]
	s_cbranch_execnz .LBB111_15
; %bb.16:
	s_or_b64 exec, exec, s[2:3]
.LBB111_17:
	s_or_b64 exec, exec, s[4:5]
.LBB111_18:
	v_mov_b32_dpp v8, v0 row_shr:1 row_mask:0xf bank_mask:0xf
	v_mov_b32_dpp v9, v1 row_shr:1 row_mask:0xf bank_mask:0xf
	v_mov_b32_dpp v12, v10 row_shr:1 row_mask:0xf bank_mask:0xf
	v_mov_b32_dpp v13, v11 row_shr:1 row_mask:0xf bank_mask:0xf
	v_add_f64 v[0:1], v[0:1], v[8:9]
	v_add_f64 v[10:11], v[10:11], v[12:13]
	v_cmp_eq_u32_e32 vcc, 3, v7
	v_mov_b32_dpp v8, v0 row_shr:2 row_mask:0xf bank_mask:0xf
	v_mov_b32_dpp v9, v1 row_shr:2 row_mask:0xf bank_mask:0xf
	;; [unrolled: 1-line block ×4, first 2 shown]
	s_and_b64 exec, exec, vcc
	s_cbranch_execz .LBB111_23
; %bb.19:
	s_load_dwordx2 s[0:1], s[0:1], 0x38
	v_add_f64 v[8:9], v[0:1], v[8:9]
	v_add_f64 v[0:1], v[10:11], v[12:13]
	v_cmp_eq_f64_e32 vcc, 0, v[4:5]
	s_and_saveexec_b64 s[2:3], vcc
	s_xor_b64 s[2:3], exec, s[2:3]
	s_cbranch_execz .LBB111_21
; %bb.20:
	v_lshlrev_b32_e32 v6, 1, v6
	v_ashrrev_i32_e32 v7, 31, v6
	v_mul_f64 v[4:5], v[2:3], v[8:9]
	s_waitcnt lgkmcnt(0)
	v_lshl_add_u64 v[8:9], v[6:7], 3, s[0:1]
	v_mul_f64 v[6:7], v[2:3], v[0:1]
	global_store_dwordx4 v[8:9], v[4:7], off
                                        ; implicit-def: $vgpr6
                                        ; implicit-def: $vgpr2_vgpr3
                                        ; implicit-def: $vgpr8_vgpr9
                                        ; implicit-def: $vgpr4_vgpr5
                                        ; implicit-def: $vgpr0_vgpr1
.LBB111_21:
	s_andn2_saveexec_b64 s[2:3], s[2:3]
	s_cbranch_execz .LBB111_23
; %bb.22:
	v_lshlrev_b32_e32 v6, 1, v6
	v_ashrrev_i32_e32 v7, 31, v6
	s_waitcnt lgkmcnt(0)
	v_lshl_add_u64 v[14:15], v[6:7], 3, s[0:1]
	global_load_dwordx4 v[10:13], v[14:15], off
	v_mul_f64 v[6:7], v[2:3], v[8:9]
	v_mul_f64 v[8:9], v[2:3], v[0:1]
	s_waitcnt vmcnt(0)
	v_fmac_f64_e32 v[6:7], v[4:5], v[10:11]
	v_fmac_f64_e32 v[8:9], v[4:5], v[12:13]
	global_store_dwordx4 v[14:15], v[6:9], off
.LBB111_23:
	s_endpgm
	.section	.rodata,"a",@progbits
	.p2align	6, 0x0
	.amdhsa_kernel _ZN9rocsparseL19gebsrmvn_2xn_kernelILj128ELj9ELj4EdEEvi20rocsparse_direction_NS_24const_host_device_scalarIT2_EEPKiS6_PKS3_S8_S4_PS3_21rocsparse_index_base_b
		.amdhsa_group_segment_fixed_size 0
		.amdhsa_private_segment_fixed_size 0
		.amdhsa_kernarg_size 72
		.amdhsa_user_sgpr_count 2
		.amdhsa_user_sgpr_dispatch_ptr 0
		.amdhsa_user_sgpr_queue_ptr 0
		.amdhsa_user_sgpr_kernarg_segment_ptr 1
		.amdhsa_user_sgpr_dispatch_id 0
		.amdhsa_user_sgpr_kernarg_preload_length 0
		.amdhsa_user_sgpr_kernarg_preload_offset 0
		.amdhsa_user_sgpr_private_segment_size 0
		.amdhsa_uses_dynamic_stack 0
		.amdhsa_enable_private_segment 0
		.amdhsa_system_sgpr_workgroup_id_x 1
		.amdhsa_system_sgpr_workgroup_id_y 0
		.amdhsa_system_sgpr_workgroup_id_z 0
		.amdhsa_system_sgpr_workgroup_info 0
		.amdhsa_system_vgpr_workitem_id 0
		.amdhsa_next_free_vgpr 62
		.amdhsa_next_free_sgpr 18
		.amdhsa_accum_offset 64
		.amdhsa_reserve_vcc 1
		.amdhsa_float_round_mode_32 0
		.amdhsa_float_round_mode_16_64 0
		.amdhsa_float_denorm_mode_32 3
		.amdhsa_float_denorm_mode_16_64 3
		.amdhsa_dx10_clamp 1
		.amdhsa_ieee_mode 1
		.amdhsa_fp16_overflow 0
		.amdhsa_tg_split 0
		.amdhsa_exception_fp_ieee_invalid_op 0
		.amdhsa_exception_fp_denorm_src 0
		.amdhsa_exception_fp_ieee_div_zero 0
		.amdhsa_exception_fp_ieee_overflow 0
		.amdhsa_exception_fp_ieee_underflow 0
		.amdhsa_exception_fp_ieee_inexact 0
		.amdhsa_exception_int_div_zero 0
	.end_amdhsa_kernel
	.section	.text._ZN9rocsparseL19gebsrmvn_2xn_kernelILj128ELj9ELj4EdEEvi20rocsparse_direction_NS_24const_host_device_scalarIT2_EEPKiS6_PKS3_S8_S4_PS3_21rocsparse_index_base_b,"axG",@progbits,_ZN9rocsparseL19gebsrmvn_2xn_kernelILj128ELj9ELj4EdEEvi20rocsparse_direction_NS_24const_host_device_scalarIT2_EEPKiS6_PKS3_S8_S4_PS3_21rocsparse_index_base_b,comdat
.Lfunc_end111:
	.size	_ZN9rocsparseL19gebsrmvn_2xn_kernelILj128ELj9ELj4EdEEvi20rocsparse_direction_NS_24const_host_device_scalarIT2_EEPKiS6_PKS3_S8_S4_PS3_21rocsparse_index_base_b, .Lfunc_end111-_ZN9rocsparseL19gebsrmvn_2xn_kernelILj128ELj9ELj4EdEEvi20rocsparse_direction_NS_24const_host_device_scalarIT2_EEPKiS6_PKS3_S8_S4_PS3_21rocsparse_index_base_b
                                        ; -- End function
	.section	.AMDGPU.csdata,"",@progbits
; Kernel info:
; codeLenInByte = 1840
; NumSgprs: 24
; NumVgprs: 62
; NumAgprs: 0
; TotalNumVgprs: 62
; ScratchSize: 0
; MemoryBound: 0
; FloatMode: 240
; IeeeMode: 1
; LDSByteSize: 0 bytes/workgroup (compile time only)
; SGPRBlocks: 2
; VGPRBlocks: 7
; NumSGPRsForWavesPerEU: 24
; NumVGPRsForWavesPerEU: 62
; AccumOffset: 64
; Occupancy: 8
; WaveLimiterHint : 1
; COMPUTE_PGM_RSRC2:SCRATCH_EN: 0
; COMPUTE_PGM_RSRC2:USER_SGPR: 2
; COMPUTE_PGM_RSRC2:TRAP_HANDLER: 0
; COMPUTE_PGM_RSRC2:TGID_X_EN: 1
; COMPUTE_PGM_RSRC2:TGID_Y_EN: 0
; COMPUTE_PGM_RSRC2:TGID_Z_EN: 0
; COMPUTE_PGM_RSRC2:TIDIG_COMP_CNT: 0
; COMPUTE_PGM_RSRC3_GFX90A:ACCUM_OFFSET: 15
; COMPUTE_PGM_RSRC3_GFX90A:TG_SPLIT: 0
	.section	.text._ZN9rocsparseL19gebsrmvn_2xn_kernelILj128ELj9ELj8EdEEvi20rocsparse_direction_NS_24const_host_device_scalarIT2_EEPKiS6_PKS3_S8_S4_PS3_21rocsparse_index_base_b,"axG",@progbits,_ZN9rocsparseL19gebsrmvn_2xn_kernelILj128ELj9ELj8EdEEvi20rocsparse_direction_NS_24const_host_device_scalarIT2_EEPKiS6_PKS3_S8_S4_PS3_21rocsparse_index_base_b,comdat
	.globl	_ZN9rocsparseL19gebsrmvn_2xn_kernelILj128ELj9ELj8EdEEvi20rocsparse_direction_NS_24const_host_device_scalarIT2_EEPKiS6_PKS3_S8_S4_PS3_21rocsparse_index_base_b ; -- Begin function _ZN9rocsparseL19gebsrmvn_2xn_kernelILj128ELj9ELj8EdEEvi20rocsparse_direction_NS_24const_host_device_scalarIT2_EEPKiS6_PKS3_S8_S4_PS3_21rocsparse_index_base_b
	.p2align	8
	.type	_ZN9rocsparseL19gebsrmvn_2xn_kernelILj128ELj9ELj8EdEEvi20rocsparse_direction_NS_24const_host_device_scalarIT2_EEPKiS6_PKS3_S8_S4_PS3_21rocsparse_index_base_b,@function
_ZN9rocsparseL19gebsrmvn_2xn_kernelILj128ELj9ELj8EdEEvi20rocsparse_direction_NS_24const_host_device_scalarIT2_EEPKiS6_PKS3_S8_S4_PS3_21rocsparse_index_base_b: ; @_ZN9rocsparseL19gebsrmvn_2xn_kernelILj128ELj9ELj8EdEEvi20rocsparse_direction_NS_24const_host_device_scalarIT2_EEPKiS6_PKS3_S8_S4_PS3_21rocsparse_index_base_b
; %bb.0:
	s_load_dwordx2 s[12:13], s[0:1], 0x40
	s_load_dwordx2 s[8:9], s[0:1], 0x8
	;; [unrolled: 1-line block ×3, first 2 shown]
	s_waitcnt lgkmcnt(0)
	s_bitcmp1_b32 s13, 0
	s_cselect_b64 s[10:11], -1, 0
	s_xor_b64 s[6:7], s[10:11], -1
	s_and_b64 vcc, exec, s[10:11]
	v_mov_b64_e32 v[2:3], s[8:9]
	s_cbranch_vccnz .LBB112_2
; %bb.1:
	v_mov_b64_e32 v[2:3], s[8:9]
	flat_load_dwordx2 v[2:3], v[2:3]
.LBB112_2:
	s_andn2_b64 vcc, exec, s[6:7]
	v_mov_b64_e32 v[4:5], s[4:5]
	s_cbranch_vccnz .LBB112_4
; %bb.3:
	v_mov_b64_e32 v[4:5], s[4:5]
	flat_load_dwordx2 v[4:5], v[4:5]
.LBB112_4:
	s_waitcnt vmcnt(0) lgkmcnt(0)
	v_cmp_neq_f64_e32 vcc, 0, v[2:3]
	v_cmp_neq_f64_e64 s[4:5], 1.0, v[4:5]
	s_or_b64 s[4:5], vcc, s[4:5]
	s_and_saveexec_b64 s[6:7], s[4:5]
	s_cbranch_execz .LBB112_23
; %bb.5:
	s_load_dwordx2 s[14:15], s[0:1], 0x0
	v_lshrrev_b32_e32 v1, 3, v0
	v_lshl_or_b32 v6, s2, 4, v1
	s_waitcnt lgkmcnt(0)
	v_cmp_gt_i32_e32 vcc, s14, v6
	s_and_b64 exec, exec, vcc
	s_cbranch_execz .LBB112_23
; %bb.6:
	s_load_dwordx8 s[4:11], s[0:1], 0x10
	v_ashrrev_i32_e32 v7, 31, v6
	s_cmp_lg_u32 s15, 0
	s_waitcnt lgkmcnt(0)
	v_lshl_add_u64 v[8:9], v[6:7], 2, s[4:5]
	global_load_dwordx2 v[8:9], v[8:9], off
	v_and_b32_e32 v7, 7, v0
	s_waitcnt vmcnt(0)
	v_subrev_u32_e32 v0, s12, v8
	v_subrev_u32_e32 v18, s12, v9
	v_add_u32_e32 v8, v0, v7
	v_cmp_lt_i32_e64 s[2:3], v8, v18
	s_cbranch_scc0 .LBB112_12
; %bb.7:
	v_mov_b64_e32 v[0:1], 0
	s_mov_b64 s[4:5], 0
	v_mov_b64_e32 v[10:11], v[0:1]
	s_and_saveexec_b64 s[14:15], s[2:3]
	s_cbranch_execz .LBB112_11
; %bb.8:
	v_mad_u64_u32 v[12:13], s[16:17], v8, 18, 16
	v_mov_b64_e32 v[0:1], 0
	s_mov_b64 s[16:17], 0
	v_mov_b32_e32 v15, 0
	v_mov_b32_e32 v16, v8
	v_mov_b64_e32 v[10:11], v[0:1]
.LBB112_9:                              ; =>This Inner Loop Header: Depth=1
	v_ashrrev_i32_e32 v17, 31, v16
	v_add_u32_e32 v14, -16, v12
	v_lshl_add_u64 v[24:25], v[16:17], 2, s[6:7]
	v_lshl_add_u64 v[26:27], v[14:15], 3, s[8:9]
	global_load_dword v9, v[24:25], off
	global_load_dwordx4 v[20:23], v[26:27], off
	v_mov_b32_e32 v13, v15
	v_mov_b32_e32 v49, v15
	v_add_u32_e32 v14, -14, v12
	v_lshl_add_u64 v[32:33], v[12:13], 3, s[8:9]
	v_lshl_add_u64 v[34:35], v[14:15], 3, s[8:9]
	global_load_dwordx4 v[24:27], v[32:33], off
	global_load_dwordx4 v[28:31], v[34:35], off
	v_add_u32_e32 v16, 8, v16
	v_cmp_ge_i32_e32 vcc, v16, v18
	s_or_b64 s[16:17], vcc, s[16:17]
	s_waitcnt vmcnt(3)
	v_subrev_u32_e32 v9, s12, v9
	v_lshl_add_u32 v48, v9, 3, v9
	v_lshl_add_u64 v[32:33], v[48:49], 3, s[10:11]
	v_add_u32_e32 v14, 1, v48
	global_load_dwordx2 v[50:51], v[32:33], off
	v_lshl_add_u64 v[32:33], v[14:15], 3, s[10:11]
	global_load_dwordx2 v[52:53], v[32:33], off
	v_add_u32_e32 v14, -12, v12
	v_lshl_add_u64 v[32:33], v[14:15], 3, s[8:9]
	v_add_u32_e32 v14, 2, v48
	v_lshl_add_u64 v[36:37], v[14:15], 3, s[10:11]
	v_add_u32_e32 v14, -10, v12
	global_load_dwordx2 v[54:55], v[36:37], off
	v_lshl_add_u64 v[36:37], v[14:15], 3, s[8:9]
	v_add_u32_e32 v14, 3, v48
	v_lshl_add_u64 v[40:41], v[14:15], 3, s[10:11]
	v_add_u32_e32 v14, -8, v12
	global_load_dwordx2 v[56:57], v[40:41], off
	v_lshl_add_u64 v[40:41], v[14:15], 3, s[8:9]
	v_add_u32_e32 v14, 4, v48
	v_lshl_add_u64 v[44:45], v[14:15], 3, s[10:11]
	v_add_u32_e32 v14, -6, v12
	global_load_dwordx2 v[58:59], v[44:45], off
	v_lshl_add_u64 v[44:45], v[14:15], 3, s[8:9]
	v_add_u32_e32 v14, 5, v48
	global_load_dwordx4 v[32:35], v[32:33], off
	v_lshl_add_u64 v[60:61], v[14:15], 3, s[10:11]
	v_add_u32_e32 v14, -4, v12
	global_load_dwordx4 v[36:39], v[36:37], off
	s_waitcnt vmcnt(6)
	v_fmac_f64_e32 v[0:1], v[20:21], v[50:51]
	v_lshl_add_u64 v[20:21], v[14:15], 3, s[8:9]
	v_add_u32_e32 v14, 6, v48
	global_load_dwordx4 v[40:43], v[40:41], off
	v_fmac_f64_e32 v[10:11], v[22:23], v[50:51]
	v_lshl_add_u64 v[50:51], v[14:15], 3, s[10:11]
	v_add_u32_e32 v14, -2, v12
	global_load_dwordx4 v[44:47], v[44:45], off
	s_waitcnt vmcnt(7)
	v_fmac_f64_e32 v[0:1], v[28:29], v[52:53]
	global_load_dwordx2 v[60:61], v[60:61], off
	v_lshl_add_u64 v[28:29], v[14:15], 3, s[8:9]
	v_add_u32_e32 v14, 7, v48
	global_load_dwordx4 v[20:23], v[20:21], off
	v_fmac_f64_e32 v[10:11], v[30:31], v[52:53]
	global_load_dwordx4 v[28:31], v[28:29], off
	v_lshl_add_u64 v[52:53], v[14:15], 3, s[10:11]
	global_load_dwordx2 v[50:51], v[50:51], off
	v_add_u32_e32 v14, 8, v48
	global_load_dwordx2 v[48:49], v[52:53], off
	v_lshl_add_u64 v[52:53], v[14:15], 3, s[10:11]
	global_load_dwordx2 v[52:53], v[52:53], off
	s_waitcnt vmcnt(9)
	v_fmac_f64_e32 v[0:1], v[32:33], v[54:55]
	v_fmac_f64_e32 v[10:11], v[34:35], v[54:55]
	v_add_u32_e32 v12, 0x90, v12
	s_waitcnt vmcnt(8)
	v_fmac_f64_e32 v[0:1], v[36:37], v[56:57]
	v_fmac_f64_e32 v[10:11], v[38:39], v[56:57]
	s_waitcnt vmcnt(7)
	v_fmac_f64_e32 v[0:1], v[40:41], v[58:59]
	v_fmac_f64_e32 v[10:11], v[42:43], v[58:59]
	;; [unrolled: 3-line block ×6, first 2 shown]
	s_andn2_b64 exec, exec, s[16:17]
	s_cbranch_execnz .LBB112_9
; %bb.10:
	s_or_b64 exec, exec, s[16:17]
.LBB112_11:
	s_or_b64 exec, exec, s[14:15]
	s_andn2_b64 vcc, exec, s[4:5]
	s_cbranch_vccz .LBB112_13
	s_branch .LBB112_18
.LBB112_12:
                                        ; implicit-def: $vgpr0_vgpr1
                                        ; implicit-def: $vgpr10_vgpr11
.LBB112_13:
	v_mov_b64_e32 v[0:1], 0
	v_mov_b64_e32 v[10:11], v[0:1]
	s_and_saveexec_b64 s[4:5], s[2:3]
	s_cbranch_execz .LBB112_17
; %bb.14:
	v_mad_u64_u32 v[12:13], s[2:3], v8, 18, 17
	v_mov_b64_e32 v[0:1], 0
	s_mov_b64 s[2:3], 0
	v_mov_b32_e32 v15, 0
	v_mov_b64_e32 v[10:11], v[0:1]
.LBB112_15:                             ; =>This Inner Loop Header: Depth=1
	v_ashrrev_i32_e32 v9, 31, v8
	v_subrev_u32_e32 v14, 17, v12
	v_add_u32_e32 v20, -8, v12
	v_mov_b32_e32 v21, v15
	v_mov_b32_e32 v13, v15
	v_lshl_add_u64 v[24:25], v[8:9], 2, s[6:7]
	v_lshl_add_u64 v[26:27], v[14:15], 3, s[8:9]
	;; [unrolled: 1-line block ×4, first 2 shown]
	global_load_dword v9, v[24:25], off
	global_load_dwordx2 v[32:33], v[28:29], off
	global_load_dwordx4 v[20:23], v[26:27], off
	global_load_dwordx2 v[34:35], v[30:31], off
	v_mov_b32_e32 v17, v15
	v_add_u32_e32 v8, 8, v8
	v_cmp_ge_i32_e32 vcc, v8, v18
	s_or_b64 s[2:3], vcc, s[2:3]
	s_waitcnt vmcnt(3)
	v_subrev_u32_e32 v9, s12, v9
	v_lshl_add_u32 v16, v9, 3, v9
	v_lshl_add_u64 v[24:25], v[16:17], 3, s[10:11]
	v_add_u32_e32 v14, 1, v16
	global_load_dwordx2 v[24:25], v[24:25], off
	v_lshl_add_u64 v[26:27], v[14:15], 3, s[10:11]
	global_load_dwordx2 v[26:27], v[26:27], off
	v_add_u32_e32 v14, -7, v12
	v_lshl_add_u64 v[28:29], v[14:15], 3, s[8:9]
	global_load_dwordx2 v[28:29], v[28:29], off
	v_add_u32_e32 v14, -15, v12
	v_lshl_add_u64 v[30:31], v[14:15], 3, s[8:9]
	global_load_dwordx2 v[30:31], v[30:31], off
	v_add_u32_e32 v14, 2, v16
	v_lshl_add_u64 v[36:37], v[14:15], 3, s[10:11]
	v_add_u32_e32 v14, -6, v12
	v_lshl_add_u64 v[38:39], v[14:15], 3, s[8:9]
	v_add_u32_e32 v14, -14, v12
	v_lshl_add_u64 v[40:41], v[14:15], 3, s[8:9]
	v_add_u32_e32 v14, 3, v16
	v_lshl_add_u64 v[42:43], v[14:15], 3, s[10:11]
	v_add_u32_e32 v14, -5, v12
	v_lshl_add_u64 v[44:45], v[14:15], 3, s[8:9]
	v_add_u32_e32 v14, -13, v12
	v_lshl_add_u64 v[46:47], v[14:15], 3, s[8:9]
	;; [unrolled: 6-line block ×4, first 2 shown]
	v_add_u32_e32 v14, 6, v16
	global_load_dwordx2 v[36:37], v[36:37], off
	s_waitcnt vmcnt(4)
	v_fmac_f64_e32 v[10:11], v[32:33], v[24:25]
	v_lshl_add_u64 v[32:33], v[14:15], 3, s[10:11]
	v_add_u32_e32 v14, -2, v12
	global_load_dwordx2 v[38:39], v[38:39], off
	v_fmac_f64_e32 v[0:1], v[20:21], v[24:25]
	global_load_dwordx2 v[40:41], v[40:41], off
	v_lshl_add_u64 v[20:21], v[14:15], 3, s[8:9]
	v_add_u32_e32 v14, -10, v12
	global_load_dwordx2 v[42:43], v[42:43], off
	s_waitcnt vmcnt(6)
	v_fmac_f64_e32 v[0:1], v[22:23], v[26:27]
	global_load_dwordx2 v[44:45], v[44:45], off
	v_lshl_add_u64 v[22:23], v[14:15], 3, s[8:9]
	global_load_dwordx2 v[46:47], v[46:47], off
	v_add_u32_e32 v14, 7, v16
	global_load_dwordx2 v[48:49], v[48:49], off
	s_nop 0
	global_load_dwordx2 v[50:51], v[50:51], off
	s_nop 0
	;; [unrolled: 2-line block ×3, first 2 shown]
	global_load_dwordx2 v[24:25], v[32:33], off
	v_lshl_add_u64 v[32:33], v[14:15], 3, s[10:11]
	v_add_u32_e32 v14, -1, v12
	global_load_dwordx2 v[54:55], v[54:55], off
	s_waitcnt vmcnt(10)
	v_fmac_f64_e32 v[0:1], v[30:31], v[36:37]
	global_load_dwordx2 v[56:57], v[56:57], off
	s_waitcnt vmcnt(8)
	v_fmac_f64_e32 v[0:1], v[40:41], v[42:43]
	;; [unrolled: 3-line block ×4, first 2 shown]
	global_load_dwordx2 v[22:23], v[22:23], off
	v_fmac_f64_e32 v[10:11], v[28:29], v[26:27]
	v_lshl_add_u64 v[26:27], v[14:15], 3, s[8:9]
	v_add_u32_e32 v14, -9, v12
	global_load_dwordx2 v[28:29], v[32:33], off
	v_lshl_add_u64 v[32:33], v[14:15], 3, s[8:9]
	v_add_u32_e32 v14, 8, v16
	global_load_dwordx2 v[16:17], v[26:27], off
	global_load_dwordx2 v[60:61], v[32:33], off
	v_lshl_add_u64 v[26:27], v[14:15], 3, s[10:11]
	global_load_dwordx2 v[26:27], v[26:27], off
	v_fmac_f64_e32 v[10:11], v[38:39], v[36:37]
	v_fmac_f64_e32 v[10:11], v[44:45], v[42:43]
	v_fmac_f64_e32 v[10:11], v[50:51], v[48:49]
	s_waitcnt vmcnt(7)
	v_fmac_f64_e32 v[10:11], v[56:57], v[54:55]
	v_add_u32_e32 v12, 0x90, v12
	s_waitcnt vmcnt(6)
	v_fmac_f64_e32 v[0:1], v[58:59], v[24:25]
	s_waitcnt vmcnt(5)
	v_fmac_f64_e32 v[10:11], v[20:21], v[24:25]
	;; [unrolled: 2-line block ×5, first 2 shown]
	v_fmac_f64_e32 v[10:11], v[34:35], v[26:27]
	s_andn2_b64 exec, exec, s[2:3]
	s_cbranch_execnz .LBB112_15
; %bb.16:
	s_or_b64 exec, exec, s[2:3]
.LBB112_17:
	s_or_b64 exec, exec, s[4:5]
.LBB112_18:
	v_mov_b32_dpp v8, v0 row_shr:1 row_mask:0xf bank_mask:0xf
	v_mov_b32_dpp v9, v1 row_shr:1 row_mask:0xf bank_mask:0xf
	;; [unrolled: 1-line block ×4, first 2 shown]
	v_add_f64 v[0:1], v[0:1], v[8:9]
	v_add_f64 v[10:11], v[10:11], v[12:13]
	v_cmp_eq_u32_e32 vcc, 7, v7
	v_mov_b32_dpp v8, v0 row_shr:2 row_mask:0xf bank_mask:0xf
	v_mov_b32_dpp v9, v1 row_shr:2 row_mask:0xf bank_mask:0xf
	;; [unrolled: 1-line block ×4, first 2 shown]
	v_add_f64 v[0:1], v[0:1], v[8:9]
	v_add_f64 v[10:11], v[10:11], v[12:13]
	s_nop 0
	v_mov_b32_dpp v8, v0 row_shr:4 row_mask:0xf bank_mask:0xe
	v_mov_b32_dpp v9, v1 row_shr:4 row_mask:0xf bank_mask:0xe
	;; [unrolled: 1-line block ×4, first 2 shown]
	s_and_b64 exec, exec, vcc
	s_cbranch_execz .LBB112_23
; %bb.19:
	s_load_dwordx2 s[0:1], s[0:1], 0x38
	v_add_f64 v[8:9], v[0:1], v[8:9]
	v_add_f64 v[0:1], v[10:11], v[12:13]
	v_cmp_eq_f64_e32 vcc, 0, v[4:5]
	s_and_saveexec_b64 s[2:3], vcc
	s_xor_b64 s[2:3], exec, s[2:3]
	s_cbranch_execz .LBB112_21
; %bb.20:
	v_lshlrev_b32_e32 v6, 1, v6
	v_ashrrev_i32_e32 v7, 31, v6
	v_mul_f64 v[4:5], v[2:3], v[8:9]
	s_waitcnt lgkmcnt(0)
	v_lshl_add_u64 v[8:9], v[6:7], 3, s[0:1]
	v_mul_f64 v[6:7], v[2:3], v[0:1]
	global_store_dwordx4 v[8:9], v[4:7], off
                                        ; implicit-def: $vgpr6
                                        ; implicit-def: $vgpr2_vgpr3
                                        ; implicit-def: $vgpr8_vgpr9
                                        ; implicit-def: $vgpr4_vgpr5
                                        ; implicit-def: $vgpr0_vgpr1
.LBB112_21:
	s_andn2_saveexec_b64 s[2:3], s[2:3]
	s_cbranch_execz .LBB112_23
; %bb.22:
	v_lshlrev_b32_e32 v6, 1, v6
	v_ashrrev_i32_e32 v7, 31, v6
	s_waitcnt lgkmcnt(0)
	v_lshl_add_u64 v[14:15], v[6:7], 3, s[0:1]
	global_load_dwordx4 v[10:13], v[14:15], off
	v_mul_f64 v[6:7], v[2:3], v[8:9]
	v_mul_f64 v[8:9], v[2:3], v[0:1]
	s_waitcnt vmcnt(0)
	v_fmac_f64_e32 v[6:7], v[4:5], v[10:11]
	v_fmac_f64_e32 v[8:9], v[4:5], v[12:13]
	global_store_dwordx4 v[14:15], v[6:9], off
.LBB112_23:
	s_endpgm
	.section	.rodata,"a",@progbits
	.p2align	6, 0x0
	.amdhsa_kernel _ZN9rocsparseL19gebsrmvn_2xn_kernelILj128ELj9ELj8EdEEvi20rocsparse_direction_NS_24const_host_device_scalarIT2_EEPKiS6_PKS3_S8_S4_PS3_21rocsparse_index_base_b
		.amdhsa_group_segment_fixed_size 0
		.amdhsa_private_segment_fixed_size 0
		.amdhsa_kernarg_size 72
		.amdhsa_user_sgpr_count 2
		.amdhsa_user_sgpr_dispatch_ptr 0
		.amdhsa_user_sgpr_queue_ptr 0
		.amdhsa_user_sgpr_kernarg_segment_ptr 1
		.amdhsa_user_sgpr_dispatch_id 0
		.amdhsa_user_sgpr_kernarg_preload_length 0
		.amdhsa_user_sgpr_kernarg_preload_offset 0
		.amdhsa_user_sgpr_private_segment_size 0
		.amdhsa_uses_dynamic_stack 0
		.amdhsa_enable_private_segment 0
		.amdhsa_system_sgpr_workgroup_id_x 1
		.amdhsa_system_sgpr_workgroup_id_y 0
		.amdhsa_system_sgpr_workgroup_id_z 0
		.amdhsa_system_sgpr_workgroup_info 0
		.amdhsa_system_vgpr_workitem_id 0
		.amdhsa_next_free_vgpr 62
		.amdhsa_next_free_sgpr 18
		.amdhsa_accum_offset 64
		.amdhsa_reserve_vcc 1
		.amdhsa_float_round_mode_32 0
		.amdhsa_float_round_mode_16_64 0
		.amdhsa_float_denorm_mode_32 3
		.amdhsa_float_denorm_mode_16_64 3
		.amdhsa_dx10_clamp 1
		.amdhsa_ieee_mode 1
		.amdhsa_fp16_overflow 0
		.amdhsa_tg_split 0
		.amdhsa_exception_fp_ieee_invalid_op 0
		.amdhsa_exception_fp_denorm_src 0
		.amdhsa_exception_fp_ieee_div_zero 0
		.amdhsa_exception_fp_ieee_overflow 0
		.amdhsa_exception_fp_ieee_underflow 0
		.amdhsa_exception_fp_ieee_inexact 0
		.amdhsa_exception_int_div_zero 0
	.end_amdhsa_kernel
	.section	.text._ZN9rocsparseL19gebsrmvn_2xn_kernelILj128ELj9ELj8EdEEvi20rocsparse_direction_NS_24const_host_device_scalarIT2_EEPKiS6_PKS3_S8_S4_PS3_21rocsparse_index_base_b,"axG",@progbits,_ZN9rocsparseL19gebsrmvn_2xn_kernelILj128ELj9ELj8EdEEvi20rocsparse_direction_NS_24const_host_device_scalarIT2_EEPKiS6_PKS3_S8_S4_PS3_21rocsparse_index_base_b,comdat
.Lfunc_end112:
	.size	_ZN9rocsparseL19gebsrmvn_2xn_kernelILj128ELj9ELj8EdEEvi20rocsparse_direction_NS_24const_host_device_scalarIT2_EEPKiS6_PKS3_S8_S4_PS3_21rocsparse_index_base_b, .Lfunc_end112-_ZN9rocsparseL19gebsrmvn_2xn_kernelILj128ELj9ELj8EdEEvi20rocsparse_direction_NS_24const_host_device_scalarIT2_EEPKiS6_PKS3_S8_S4_PS3_21rocsparse_index_base_b
                                        ; -- End function
	.section	.AMDGPU.csdata,"",@progbits
; Kernel info:
; codeLenInByte = 1892
; NumSgprs: 24
; NumVgprs: 62
; NumAgprs: 0
; TotalNumVgprs: 62
; ScratchSize: 0
; MemoryBound: 0
; FloatMode: 240
; IeeeMode: 1
; LDSByteSize: 0 bytes/workgroup (compile time only)
; SGPRBlocks: 2
; VGPRBlocks: 7
; NumSGPRsForWavesPerEU: 24
; NumVGPRsForWavesPerEU: 62
; AccumOffset: 64
; Occupancy: 8
; WaveLimiterHint : 1
; COMPUTE_PGM_RSRC2:SCRATCH_EN: 0
; COMPUTE_PGM_RSRC2:USER_SGPR: 2
; COMPUTE_PGM_RSRC2:TRAP_HANDLER: 0
; COMPUTE_PGM_RSRC2:TGID_X_EN: 1
; COMPUTE_PGM_RSRC2:TGID_Y_EN: 0
; COMPUTE_PGM_RSRC2:TGID_Z_EN: 0
; COMPUTE_PGM_RSRC2:TIDIG_COMP_CNT: 0
; COMPUTE_PGM_RSRC3_GFX90A:ACCUM_OFFSET: 15
; COMPUTE_PGM_RSRC3_GFX90A:TG_SPLIT: 0
	.section	.text._ZN9rocsparseL19gebsrmvn_2xn_kernelILj128ELj9ELj16EdEEvi20rocsparse_direction_NS_24const_host_device_scalarIT2_EEPKiS6_PKS3_S8_S4_PS3_21rocsparse_index_base_b,"axG",@progbits,_ZN9rocsparseL19gebsrmvn_2xn_kernelILj128ELj9ELj16EdEEvi20rocsparse_direction_NS_24const_host_device_scalarIT2_EEPKiS6_PKS3_S8_S4_PS3_21rocsparse_index_base_b,comdat
	.globl	_ZN9rocsparseL19gebsrmvn_2xn_kernelILj128ELj9ELj16EdEEvi20rocsparse_direction_NS_24const_host_device_scalarIT2_EEPKiS6_PKS3_S8_S4_PS3_21rocsparse_index_base_b ; -- Begin function _ZN9rocsparseL19gebsrmvn_2xn_kernelILj128ELj9ELj16EdEEvi20rocsparse_direction_NS_24const_host_device_scalarIT2_EEPKiS6_PKS3_S8_S4_PS3_21rocsparse_index_base_b
	.p2align	8
	.type	_ZN9rocsparseL19gebsrmvn_2xn_kernelILj128ELj9ELj16EdEEvi20rocsparse_direction_NS_24const_host_device_scalarIT2_EEPKiS6_PKS3_S8_S4_PS3_21rocsparse_index_base_b,@function
_ZN9rocsparseL19gebsrmvn_2xn_kernelILj128ELj9ELj16EdEEvi20rocsparse_direction_NS_24const_host_device_scalarIT2_EEPKiS6_PKS3_S8_S4_PS3_21rocsparse_index_base_b: ; @_ZN9rocsparseL19gebsrmvn_2xn_kernelILj128ELj9ELj16EdEEvi20rocsparse_direction_NS_24const_host_device_scalarIT2_EEPKiS6_PKS3_S8_S4_PS3_21rocsparse_index_base_b
; %bb.0:
	s_load_dwordx2 s[12:13], s[0:1], 0x40
	s_load_dwordx2 s[8:9], s[0:1], 0x8
	;; [unrolled: 1-line block ×3, first 2 shown]
	s_waitcnt lgkmcnt(0)
	s_bitcmp1_b32 s13, 0
	s_cselect_b64 s[10:11], -1, 0
	s_xor_b64 s[6:7], s[10:11], -1
	s_and_b64 vcc, exec, s[10:11]
	v_mov_b64_e32 v[2:3], s[8:9]
	s_cbranch_vccnz .LBB113_2
; %bb.1:
	v_mov_b64_e32 v[2:3], s[8:9]
	flat_load_dwordx2 v[2:3], v[2:3]
.LBB113_2:
	s_andn2_b64 vcc, exec, s[6:7]
	v_mov_b64_e32 v[4:5], s[4:5]
	s_cbranch_vccnz .LBB113_4
; %bb.3:
	v_mov_b64_e32 v[4:5], s[4:5]
	flat_load_dwordx2 v[4:5], v[4:5]
.LBB113_4:
	s_waitcnt vmcnt(0) lgkmcnt(0)
	v_cmp_neq_f64_e32 vcc, 0, v[2:3]
	v_cmp_neq_f64_e64 s[4:5], 1.0, v[4:5]
	s_or_b64 s[4:5], vcc, s[4:5]
	s_and_saveexec_b64 s[6:7], s[4:5]
	s_cbranch_execz .LBB113_23
; %bb.5:
	s_load_dwordx2 s[14:15], s[0:1], 0x0
	v_lshrrev_b32_e32 v1, 4, v0
	v_lshl_or_b32 v6, s2, 3, v1
	s_waitcnt lgkmcnt(0)
	v_cmp_gt_i32_e32 vcc, s14, v6
	s_and_b64 exec, exec, vcc
	s_cbranch_execz .LBB113_23
; %bb.6:
	s_load_dwordx8 s[4:11], s[0:1], 0x10
	v_ashrrev_i32_e32 v7, 31, v6
	s_cmp_lg_u32 s15, 0
	s_waitcnt lgkmcnt(0)
	v_lshl_add_u64 v[8:9], v[6:7], 2, s[4:5]
	global_load_dwordx2 v[8:9], v[8:9], off
	v_and_b32_e32 v7, 15, v0
	s_waitcnt vmcnt(0)
	v_subrev_u32_e32 v0, s12, v8
	v_subrev_u32_e32 v18, s12, v9
	v_add_u32_e32 v10, v0, v7
	v_cmp_lt_i32_e64 s[2:3], v10, v18
	s_cbranch_scc0 .LBB113_12
; %bb.7:
	v_mov_b64_e32 v[0:1], 0
	s_mov_b64 s[4:5], 0
	v_mov_b64_e32 v[8:9], v[0:1]
	s_and_saveexec_b64 s[14:15], s[2:3]
	s_cbranch_execz .LBB113_11
; %bb.8:
	v_mad_u64_u32 v[12:13], s[16:17], v10, 18, 16
	v_mov_b64_e32 v[0:1], 0
	s_mov_b64 s[16:17], 0
	v_mov_b32_e32 v15, 0
	v_mov_b32_e32 v16, v10
	v_mov_b64_e32 v[8:9], v[0:1]
.LBB113_9:                              ; =>This Inner Loop Header: Depth=1
	v_ashrrev_i32_e32 v17, 31, v16
	v_add_u32_e32 v14, -16, v12
	v_lshl_add_u64 v[24:25], v[16:17], 2, s[6:7]
	v_lshl_add_u64 v[26:27], v[14:15], 3, s[8:9]
	global_load_dword v11, v[24:25], off
	global_load_dwordx4 v[20:23], v[26:27], off
	v_mov_b32_e32 v13, v15
	v_mov_b32_e32 v49, v15
	v_add_u32_e32 v14, -14, v12
	v_lshl_add_u64 v[32:33], v[12:13], 3, s[8:9]
	v_lshl_add_u64 v[34:35], v[14:15], 3, s[8:9]
	global_load_dwordx4 v[24:27], v[32:33], off
	global_load_dwordx4 v[28:31], v[34:35], off
	v_add_u32_e32 v16, 16, v16
	v_cmp_ge_i32_e32 vcc, v16, v18
	s_or_b64 s[16:17], vcc, s[16:17]
	s_waitcnt vmcnt(3)
	v_subrev_u32_e32 v11, s12, v11
	v_lshl_add_u32 v48, v11, 3, v11
	v_lshl_add_u64 v[32:33], v[48:49], 3, s[10:11]
	v_add_u32_e32 v14, 1, v48
	global_load_dwordx2 v[50:51], v[32:33], off
	v_lshl_add_u64 v[32:33], v[14:15], 3, s[10:11]
	global_load_dwordx2 v[52:53], v[32:33], off
	v_add_u32_e32 v14, -12, v12
	v_lshl_add_u64 v[32:33], v[14:15], 3, s[8:9]
	v_add_u32_e32 v14, 2, v48
	v_lshl_add_u64 v[36:37], v[14:15], 3, s[10:11]
	v_add_u32_e32 v14, -10, v12
	global_load_dwordx2 v[54:55], v[36:37], off
	v_lshl_add_u64 v[36:37], v[14:15], 3, s[8:9]
	v_add_u32_e32 v14, 3, v48
	v_lshl_add_u64 v[40:41], v[14:15], 3, s[10:11]
	v_add_u32_e32 v14, -8, v12
	global_load_dwordx2 v[56:57], v[40:41], off
	;; [unrolled: 5-line block ×3, first 2 shown]
	v_lshl_add_u64 v[44:45], v[14:15], 3, s[8:9]
	v_add_u32_e32 v14, 5, v48
	global_load_dwordx4 v[32:35], v[32:33], off
	v_lshl_add_u64 v[60:61], v[14:15], 3, s[10:11]
	v_add_u32_e32 v14, -4, v12
	global_load_dwordx4 v[36:39], v[36:37], off
	s_waitcnt vmcnt(6)
	v_fmac_f64_e32 v[0:1], v[20:21], v[50:51]
	v_lshl_add_u64 v[20:21], v[14:15], 3, s[8:9]
	v_add_u32_e32 v14, 6, v48
	global_load_dwordx4 v[40:43], v[40:41], off
	v_fmac_f64_e32 v[8:9], v[22:23], v[50:51]
	v_lshl_add_u64 v[50:51], v[14:15], 3, s[10:11]
	v_add_u32_e32 v14, -2, v12
	global_load_dwordx4 v[44:47], v[44:45], off
	s_waitcnt vmcnt(7)
	v_fmac_f64_e32 v[0:1], v[28:29], v[52:53]
	global_load_dwordx2 v[60:61], v[60:61], off
	v_lshl_add_u64 v[28:29], v[14:15], 3, s[8:9]
	v_add_u32_e32 v14, 7, v48
	global_load_dwordx4 v[20:23], v[20:21], off
	v_fmac_f64_e32 v[8:9], v[30:31], v[52:53]
	global_load_dwordx4 v[28:31], v[28:29], off
	v_lshl_add_u64 v[52:53], v[14:15], 3, s[10:11]
	global_load_dwordx2 v[50:51], v[50:51], off
	v_add_u32_e32 v14, 8, v48
	global_load_dwordx2 v[48:49], v[52:53], off
	v_lshl_add_u64 v[52:53], v[14:15], 3, s[10:11]
	global_load_dwordx2 v[52:53], v[52:53], off
	s_waitcnt vmcnt(9)
	v_fmac_f64_e32 v[0:1], v[32:33], v[54:55]
	v_fmac_f64_e32 v[8:9], v[34:35], v[54:55]
	v_add_u32_e32 v12, 0x120, v12
	s_waitcnt vmcnt(8)
	v_fmac_f64_e32 v[0:1], v[36:37], v[56:57]
	v_fmac_f64_e32 v[8:9], v[38:39], v[56:57]
	s_waitcnt vmcnt(7)
	v_fmac_f64_e32 v[0:1], v[40:41], v[58:59]
	v_fmac_f64_e32 v[8:9], v[42:43], v[58:59]
	;; [unrolled: 3-line block ×6, first 2 shown]
	s_andn2_b64 exec, exec, s[16:17]
	s_cbranch_execnz .LBB113_9
; %bb.10:
	s_or_b64 exec, exec, s[16:17]
.LBB113_11:
	s_or_b64 exec, exec, s[14:15]
	s_andn2_b64 vcc, exec, s[4:5]
	s_cbranch_vccz .LBB113_13
	s_branch .LBB113_18
.LBB113_12:
                                        ; implicit-def: $vgpr0_vgpr1
                                        ; implicit-def: $vgpr8_vgpr9
.LBB113_13:
	v_mov_b64_e32 v[0:1], 0
	v_mov_b64_e32 v[8:9], v[0:1]
	s_and_saveexec_b64 s[4:5], s[2:3]
	s_cbranch_execz .LBB113_17
; %bb.14:
	v_mad_u64_u32 v[12:13], s[2:3], v10, 18, 17
	v_mov_b64_e32 v[0:1], 0
	s_mov_b64 s[2:3], 0
	v_mov_b32_e32 v15, 0
	v_mov_b64_e32 v[8:9], v[0:1]
.LBB113_15:                             ; =>This Inner Loop Header: Depth=1
	v_ashrrev_i32_e32 v11, 31, v10
	v_subrev_u32_e32 v14, 17, v12
	v_add_u32_e32 v20, -8, v12
	v_mov_b32_e32 v21, v15
	v_mov_b32_e32 v13, v15
	v_lshl_add_u64 v[24:25], v[10:11], 2, s[6:7]
	v_lshl_add_u64 v[26:27], v[14:15], 3, s[8:9]
	;; [unrolled: 1-line block ×4, first 2 shown]
	global_load_dword v11, v[24:25], off
	global_load_dwordx2 v[32:33], v[28:29], off
	global_load_dwordx4 v[20:23], v[26:27], off
	global_load_dwordx2 v[34:35], v[30:31], off
	v_mov_b32_e32 v17, v15
	v_add_u32_e32 v10, 16, v10
	v_cmp_ge_i32_e32 vcc, v10, v18
	s_or_b64 s[2:3], vcc, s[2:3]
	s_waitcnt vmcnt(3)
	v_subrev_u32_e32 v11, s12, v11
	v_lshl_add_u32 v16, v11, 3, v11
	v_lshl_add_u64 v[24:25], v[16:17], 3, s[10:11]
	v_add_u32_e32 v14, 1, v16
	global_load_dwordx2 v[24:25], v[24:25], off
	v_lshl_add_u64 v[26:27], v[14:15], 3, s[10:11]
	global_load_dwordx2 v[26:27], v[26:27], off
	v_add_u32_e32 v14, -7, v12
	v_lshl_add_u64 v[28:29], v[14:15], 3, s[8:9]
	global_load_dwordx2 v[28:29], v[28:29], off
	v_add_u32_e32 v14, -15, v12
	v_lshl_add_u64 v[30:31], v[14:15], 3, s[8:9]
	global_load_dwordx2 v[30:31], v[30:31], off
	v_add_u32_e32 v14, 2, v16
	v_lshl_add_u64 v[36:37], v[14:15], 3, s[10:11]
	v_add_u32_e32 v14, -6, v12
	v_lshl_add_u64 v[38:39], v[14:15], 3, s[8:9]
	v_add_u32_e32 v14, -14, v12
	v_lshl_add_u64 v[40:41], v[14:15], 3, s[8:9]
	v_add_u32_e32 v14, 3, v16
	v_lshl_add_u64 v[42:43], v[14:15], 3, s[10:11]
	v_add_u32_e32 v14, -5, v12
	v_lshl_add_u64 v[44:45], v[14:15], 3, s[8:9]
	v_add_u32_e32 v14, -13, v12
	v_lshl_add_u64 v[46:47], v[14:15], 3, s[8:9]
	;; [unrolled: 6-line block ×4, first 2 shown]
	v_add_u32_e32 v14, 6, v16
	global_load_dwordx2 v[36:37], v[36:37], off
	s_waitcnt vmcnt(4)
	v_fmac_f64_e32 v[8:9], v[32:33], v[24:25]
	v_lshl_add_u64 v[32:33], v[14:15], 3, s[10:11]
	v_add_u32_e32 v14, -2, v12
	global_load_dwordx2 v[38:39], v[38:39], off
	v_fmac_f64_e32 v[0:1], v[20:21], v[24:25]
	global_load_dwordx2 v[40:41], v[40:41], off
	v_lshl_add_u64 v[20:21], v[14:15], 3, s[8:9]
	v_add_u32_e32 v14, -10, v12
	global_load_dwordx2 v[42:43], v[42:43], off
	s_waitcnt vmcnt(6)
	v_fmac_f64_e32 v[0:1], v[22:23], v[26:27]
	global_load_dwordx2 v[44:45], v[44:45], off
	v_lshl_add_u64 v[22:23], v[14:15], 3, s[8:9]
	global_load_dwordx2 v[46:47], v[46:47], off
	v_add_u32_e32 v14, 7, v16
	global_load_dwordx2 v[48:49], v[48:49], off
	s_nop 0
	global_load_dwordx2 v[50:51], v[50:51], off
	s_nop 0
	;; [unrolled: 2-line block ×3, first 2 shown]
	global_load_dwordx2 v[24:25], v[32:33], off
	v_lshl_add_u64 v[32:33], v[14:15], 3, s[10:11]
	v_add_u32_e32 v14, -1, v12
	global_load_dwordx2 v[54:55], v[54:55], off
	s_waitcnt vmcnt(10)
	v_fmac_f64_e32 v[0:1], v[30:31], v[36:37]
	global_load_dwordx2 v[56:57], v[56:57], off
	s_waitcnt vmcnt(8)
	v_fmac_f64_e32 v[0:1], v[40:41], v[42:43]
	;; [unrolled: 3-line block ×4, first 2 shown]
	global_load_dwordx2 v[22:23], v[22:23], off
	v_fmac_f64_e32 v[8:9], v[28:29], v[26:27]
	v_lshl_add_u64 v[26:27], v[14:15], 3, s[8:9]
	v_add_u32_e32 v14, -9, v12
	global_load_dwordx2 v[28:29], v[32:33], off
	v_lshl_add_u64 v[32:33], v[14:15], 3, s[8:9]
	v_add_u32_e32 v14, 8, v16
	global_load_dwordx2 v[16:17], v[26:27], off
	global_load_dwordx2 v[60:61], v[32:33], off
	v_lshl_add_u64 v[26:27], v[14:15], 3, s[10:11]
	global_load_dwordx2 v[26:27], v[26:27], off
	v_fmac_f64_e32 v[8:9], v[38:39], v[36:37]
	v_fmac_f64_e32 v[8:9], v[44:45], v[42:43]
	;; [unrolled: 1-line block ×3, first 2 shown]
	s_waitcnt vmcnt(7)
	v_fmac_f64_e32 v[8:9], v[56:57], v[54:55]
	v_add_u32_e32 v12, 0x120, v12
	s_waitcnt vmcnt(6)
	v_fmac_f64_e32 v[0:1], v[58:59], v[24:25]
	s_waitcnt vmcnt(5)
	v_fmac_f64_e32 v[8:9], v[20:21], v[24:25]
	;; [unrolled: 2-line block ×5, first 2 shown]
	v_fmac_f64_e32 v[8:9], v[34:35], v[26:27]
	s_andn2_b64 exec, exec, s[2:3]
	s_cbranch_execnz .LBB113_15
; %bb.16:
	s_or_b64 exec, exec, s[2:3]
.LBB113_17:
	s_or_b64 exec, exec, s[4:5]
.LBB113_18:
	v_mov_b32_dpp v10, v0 row_shr:1 row_mask:0xf bank_mask:0xf
	v_mov_b32_dpp v11, v1 row_shr:1 row_mask:0xf bank_mask:0xf
	;; [unrolled: 1-line block ×4, first 2 shown]
	v_add_f64 v[0:1], v[0:1], v[10:11]
	v_add_f64 v[8:9], v[8:9], v[12:13]
	v_cmp_eq_u32_e32 vcc, 15, v7
	v_mov_b32_dpp v10, v0 row_shr:2 row_mask:0xf bank_mask:0xf
	v_mov_b32_dpp v11, v1 row_shr:2 row_mask:0xf bank_mask:0xf
	;; [unrolled: 1-line block ×4, first 2 shown]
	v_add_f64 v[0:1], v[0:1], v[10:11]
	v_add_f64 v[8:9], v[8:9], v[12:13]
	s_nop 0
	v_mov_b32_dpp v10, v0 row_shr:4 row_mask:0xf bank_mask:0xe
	v_mov_b32_dpp v11, v1 row_shr:4 row_mask:0xf bank_mask:0xe
	;; [unrolled: 1-line block ×4, first 2 shown]
	v_add_f64 v[0:1], v[0:1], v[10:11]
	v_add_f64 v[12:13], v[8:9], v[12:13]
	s_nop 0
	v_mov_b32_dpp v10, v0 row_shr:8 row_mask:0xf bank_mask:0xc
	v_mov_b32_dpp v11, v1 row_shr:8 row_mask:0xf bank_mask:0xc
	;; [unrolled: 1-line block ×4, first 2 shown]
	s_and_b64 exec, exec, vcc
	s_cbranch_execz .LBB113_23
; %bb.19:
	s_load_dwordx2 s[0:1], s[0:1], 0x38
	v_add_f64 v[8:9], v[0:1], v[10:11]
	v_add_f64 v[0:1], v[12:13], v[14:15]
	v_cmp_eq_f64_e32 vcc, 0, v[4:5]
	s_and_saveexec_b64 s[2:3], vcc
	s_xor_b64 s[2:3], exec, s[2:3]
	s_cbranch_execz .LBB113_21
; %bb.20:
	v_lshlrev_b32_e32 v6, 1, v6
	v_ashrrev_i32_e32 v7, 31, v6
	v_mul_f64 v[4:5], v[2:3], v[8:9]
	s_waitcnt lgkmcnt(0)
	v_lshl_add_u64 v[8:9], v[6:7], 3, s[0:1]
	v_mul_f64 v[6:7], v[2:3], v[0:1]
	global_store_dwordx4 v[8:9], v[4:7], off
                                        ; implicit-def: $vgpr6
                                        ; implicit-def: $vgpr2_vgpr3
                                        ; implicit-def: $vgpr8_vgpr9
                                        ; implicit-def: $vgpr4_vgpr5
                                        ; implicit-def: $vgpr0_vgpr1
.LBB113_21:
	s_andn2_saveexec_b64 s[2:3], s[2:3]
	s_cbranch_execz .LBB113_23
; %bb.22:
	v_lshlrev_b32_e32 v6, 1, v6
	v_ashrrev_i32_e32 v7, 31, v6
	s_waitcnt lgkmcnt(0)
	v_lshl_add_u64 v[14:15], v[6:7], 3, s[0:1]
	global_load_dwordx4 v[10:13], v[14:15], off
	v_mul_f64 v[6:7], v[2:3], v[8:9]
	v_mul_f64 v[8:9], v[2:3], v[0:1]
	s_waitcnt vmcnt(0)
	v_fmac_f64_e32 v[6:7], v[4:5], v[10:11]
	v_fmac_f64_e32 v[8:9], v[4:5], v[12:13]
	global_store_dwordx4 v[14:15], v[6:9], off
.LBB113_23:
	s_endpgm
	.section	.rodata,"a",@progbits
	.p2align	6, 0x0
	.amdhsa_kernel _ZN9rocsparseL19gebsrmvn_2xn_kernelILj128ELj9ELj16EdEEvi20rocsparse_direction_NS_24const_host_device_scalarIT2_EEPKiS6_PKS3_S8_S4_PS3_21rocsparse_index_base_b
		.amdhsa_group_segment_fixed_size 0
		.amdhsa_private_segment_fixed_size 0
		.amdhsa_kernarg_size 72
		.amdhsa_user_sgpr_count 2
		.amdhsa_user_sgpr_dispatch_ptr 0
		.amdhsa_user_sgpr_queue_ptr 0
		.amdhsa_user_sgpr_kernarg_segment_ptr 1
		.amdhsa_user_sgpr_dispatch_id 0
		.amdhsa_user_sgpr_kernarg_preload_length 0
		.amdhsa_user_sgpr_kernarg_preload_offset 0
		.amdhsa_user_sgpr_private_segment_size 0
		.amdhsa_uses_dynamic_stack 0
		.amdhsa_enable_private_segment 0
		.amdhsa_system_sgpr_workgroup_id_x 1
		.amdhsa_system_sgpr_workgroup_id_y 0
		.amdhsa_system_sgpr_workgroup_id_z 0
		.amdhsa_system_sgpr_workgroup_info 0
		.amdhsa_system_vgpr_workitem_id 0
		.amdhsa_next_free_vgpr 62
		.amdhsa_next_free_sgpr 18
		.amdhsa_accum_offset 64
		.amdhsa_reserve_vcc 1
		.amdhsa_float_round_mode_32 0
		.amdhsa_float_round_mode_16_64 0
		.amdhsa_float_denorm_mode_32 3
		.amdhsa_float_denorm_mode_16_64 3
		.amdhsa_dx10_clamp 1
		.amdhsa_ieee_mode 1
		.amdhsa_fp16_overflow 0
		.amdhsa_tg_split 0
		.amdhsa_exception_fp_ieee_invalid_op 0
		.amdhsa_exception_fp_denorm_src 0
		.amdhsa_exception_fp_ieee_div_zero 0
		.amdhsa_exception_fp_ieee_overflow 0
		.amdhsa_exception_fp_ieee_underflow 0
		.amdhsa_exception_fp_ieee_inexact 0
		.amdhsa_exception_int_div_zero 0
	.end_amdhsa_kernel
	.section	.text._ZN9rocsparseL19gebsrmvn_2xn_kernelILj128ELj9ELj16EdEEvi20rocsparse_direction_NS_24const_host_device_scalarIT2_EEPKiS6_PKS3_S8_S4_PS3_21rocsparse_index_base_b,"axG",@progbits,_ZN9rocsparseL19gebsrmvn_2xn_kernelILj128ELj9ELj16EdEEvi20rocsparse_direction_NS_24const_host_device_scalarIT2_EEPKiS6_PKS3_S8_S4_PS3_21rocsparse_index_base_b,comdat
.Lfunc_end113:
	.size	_ZN9rocsparseL19gebsrmvn_2xn_kernelILj128ELj9ELj16EdEEvi20rocsparse_direction_NS_24const_host_device_scalarIT2_EEPKiS6_PKS3_S8_S4_PS3_21rocsparse_index_base_b, .Lfunc_end113-_ZN9rocsparseL19gebsrmvn_2xn_kernelILj128ELj9ELj16EdEEvi20rocsparse_direction_NS_24const_host_device_scalarIT2_EEPKiS6_PKS3_S8_S4_PS3_21rocsparse_index_base_b
                                        ; -- End function
	.section	.AMDGPU.csdata,"",@progbits
; Kernel info:
; codeLenInByte = 1944
; NumSgprs: 24
; NumVgprs: 62
; NumAgprs: 0
; TotalNumVgprs: 62
; ScratchSize: 0
; MemoryBound: 0
; FloatMode: 240
; IeeeMode: 1
; LDSByteSize: 0 bytes/workgroup (compile time only)
; SGPRBlocks: 2
; VGPRBlocks: 7
; NumSGPRsForWavesPerEU: 24
; NumVGPRsForWavesPerEU: 62
; AccumOffset: 64
; Occupancy: 8
; WaveLimiterHint : 1
; COMPUTE_PGM_RSRC2:SCRATCH_EN: 0
; COMPUTE_PGM_RSRC2:USER_SGPR: 2
; COMPUTE_PGM_RSRC2:TRAP_HANDLER: 0
; COMPUTE_PGM_RSRC2:TGID_X_EN: 1
; COMPUTE_PGM_RSRC2:TGID_Y_EN: 0
; COMPUTE_PGM_RSRC2:TGID_Z_EN: 0
; COMPUTE_PGM_RSRC2:TIDIG_COMP_CNT: 0
; COMPUTE_PGM_RSRC3_GFX90A:ACCUM_OFFSET: 15
; COMPUTE_PGM_RSRC3_GFX90A:TG_SPLIT: 0
	.section	.text._ZN9rocsparseL19gebsrmvn_2xn_kernelILj128ELj9ELj32EdEEvi20rocsparse_direction_NS_24const_host_device_scalarIT2_EEPKiS6_PKS3_S8_S4_PS3_21rocsparse_index_base_b,"axG",@progbits,_ZN9rocsparseL19gebsrmvn_2xn_kernelILj128ELj9ELj32EdEEvi20rocsparse_direction_NS_24const_host_device_scalarIT2_EEPKiS6_PKS3_S8_S4_PS3_21rocsparse_index_base_b,comdat
	.globl	_ZN9rocsparseL19gebsrmvn_2xn_kernelILj128ELj9ELj32EdEEvi20rocsparse_direction_NS_24const_host_device_scalarIT2_EEPKiS6_PKS3_S8_S4_PS3_21rocsparse_index_base_b ; -- Begin function _ZN9rocsparseL19gebsrmvn_2xn_kernelILj128ELj9ELj32EdEEvi20rocsparse_direction_NS_24const_host_device_scalarIT2_EEPKiS6_PKS3_S8_S4_PS3_21rocsparse_index_base_b
	.p2align	8
	.type	_ZN9rocsparseL19gebsrmvn_2xn_kernelILj128ELj9ELj32EdEEvi20rocsparse_direction_NS_24const_host_device_scalarIT2_EEPKiS6_PKS3_S8_S4_PS3_21rocsparse_index_base_b,@function
_ZN9rocsparseL19gebsrmvn_2xn_kernelILj128ELj9ELj32EdEEvi20rocsparse_direction_NS_24const_host_device_scalarIT2_EEPKiS6_PKS3_S8_S4_PS3_21rocsparse_index_base_b: ; @_ZN9rocsparseL19gebsrmvn_2xn_kernelILj128ELj9ELj32EdEEvi20rocsparse_direction_NS_24const_host_device_scalarIT2_EEPKiS6_PKS3_S8_S4_PS3_21rocsparse_index_base_b
; %bb.0:
	s_load_dwordx2 s[12:13], s[0:1], 0x40
	s_load_dwordx2 s[8:9], s[0:1], 0x8
	;; [unrolled: 1-line block ×3, first 2 shown]
	s_waitcnt lgkmcnt(0)
	s_bitcmp1_b32 s13, 0
	s_cselect_b64 s[10:11], -1, 0
	s_xor_b64 s[6:7], s[10:11], -1
	s_and_b64 vcc, exec, s[10:11]
	v_mov_b64_e32 v[2:3], s[8:9]
	s_cbranch_vccnz .LBB114_2
; %bb.1:
	v_mov_b64_e32 v[2:3], s[8:9]
	flat_load_dwordx2 v[2:3], v[2:3]
.LBB114_2:
	s_andn2_b64 vcc, exec, s[6:7]
	v_mov_b64_e32 v[4:5], s[4:5]
	s_cbranch_vccnz .LBB114_4
; %bb.3:
	v_mov_b64_e32 v[4:5], s[4:5]
	flat_load_dwordx2 v[4:5], v[4:5]
.LBB114_4:
	s_waitcnt vmcnt(0) lgkmcnt(0)
	v_cmp_neq_f64_e32 vcc, 0, v[2:3]
	v_cmp_neq_f64_e64 s[4:5], 1.0, v[4:5]
	s_or_b64 s[4:5], vcc, s[4:5]
	s_and_saveexec_b64 s[6:7], s[4:5]
	s_cbranch_execz .LBB114_23
; %bb.5:
	s_load_dwordx2 s[14:15], s[0:1], 0x0
	v_lshrrev_b32_e32 v1, 5, v0
	v_lshl_or_b32 v6, s2, 2, v1
	s_waitcnt lgkmcnt(0)
	v_cmp_gt_i32_e32 vcc, s14, v6
	s_and_b64 exec, exec, vcc
	s_cbranch_execz .LBB114_23
; %bb.6:
	s_load_dwordx8 s[4:11], s[0:1], 0x10
	v_ashrrev_i32_e32 v7, 31, v6
	s_cmp_lg_u32 s15, 0
	s_waitcnt lgkmcnt(0)
	v_lshl_add_u64 v[8:9], v[6:7], 2, s[4:5]
	global_load_dwordx2 v[8:9], v[8:9], off
	v_and_b32_e32 v7, 31, v0
	s_waitcnt vmcnt(0)
	v_subrev_u32_e32 v0, s12, v8
	v_subrev_u32_e32 v18, s12, v9
	v_add_u32_e32 v10, v0, v7
	v_cmp_lt_i32_e64 s[2:3], v10, v18
	s_cbranch_scc0 .LBB114_12
; %bb.7:
	v_mov_b64_e32 v[8:9], 0
	s_mov_b64 s[4:5], 0
	v_mov_b64_e32 v[0:1], v[8:9]
	s_and_saveexec_b64 s[14:15], s[2:3]
	s_cbranch_execz .LBB114_11
; %bb.8:
	v_mad_u64_u32 v[12:13], s[16:17], v10, 18, 16
	v_mov_b64_e32 v[8:9], 0
	s_mov_b64 s[16:17], 0
	v_mov_b32_e32 v15, 0
	v_mov_b32_e32 v16, v10
	v_mov_b64_e32 v[0:1], v[8:9]
.LBB114_9:                              ; =>This Inner Loop Header: Depth=1
	v_ashrrev_i32_e32 v17, 31, v16
	v_add_u32_e32 v14, -16, v12
	v_lshl_add_u64 v[24:25], v[16:17], 2, s[6:7]
	v_lshl_add_u64 v[26:27], v[14:15], 3, s[8:9]
	global_load_dword v11, v[24:25], off
	global_load_dwordx4 v[20:23], v[26:27], off
	v_mov_b32_e32 v13, v15
	v_mov_b32_e32 v49, v15
	v_add_u32_e32 v14, -14, v12
	v_lshl_add_u64 v[32:33], v[12:13], 3, s[8:9]
	v_lshl_add_u64 v[34:35], v[14:15], 3, s[8:9]
	global_load_dwordx4 v[24:27], v[32:33], off
	global_load_dwordx4 v[28:31], v[34:35], off
	v_add_u32_e32 v16, 32, v16
	v_cmp_ge_i32_e32 vcc, v16, v18
	s_or_b64 s[16:17], vcc, s[16:17]
	s_waitcnt vmcnt(3)
	v_subrev_u32_e32 v11, s12, v11
	v_lshl_add_u32 v48, v11, 3, v11
	v_lshl_add_u64 v[32:33], v[48:49], 3, s[10:11]
	v_add_u32_e32 v14, 1, v48
	global_load_dwordx2 v[50:51], v[32:33], off
	v_lshl_add_u64 v[32:33], v[14:15], 3, s[10:11]
	global_load_dwordx2 v[52:53], v[32:33], off
	v_add_u32_e32 v14, -12, v12
	v_lshl_add_u64 v[32:33], v[14:15], 3, s[8:9]
	v_add_u32_e32 v14, 2, v48
	v_lshl_add_u64 v[36:37], v[14:15], 3, s[10:11]
	v_add_u32_e32 v14, -10, v12
	global_load_dwordx2 v[54:55], v[36:37], off
	v_lshl_add_u64 v[36:37], v[14:15], 3, s[8:9]
	v_add_u32_e32 v14, 3, v48
	v_lshl_add_u64 v[40:41], v[14:15], 3, s[10:11]
	v_add_u32_e32 v14, -8, v12
	global_load_dwordx2 v[56:57], v[40:41], off
	;; [unrolled: 5-line block ×3, first 2 shown]
	v_lshl_add_u64 v[44:45], v[14:15], 3, s[8:9]
	v_add_u32_e32 v14, 5, v48
	global_load_dwordx4 v[32:35], v[32:33], off
	v_lshl_add_u64 v[60:61], v[14:15], 3, s[10:11]
	v_add_u32_e32 v14, -4, v12
	global_load_dwordx4 v[36:39], v[36:37], off
	s_waitcnt vmcnt(6)
	v_fmac_f64_e32 v[8:9], v[20:21], v[50:51]
	v_lshl_add_u64 v[20:21], v[14:15], 3, s[8:9]
	v_add_u32_e32 v14, 6, v48
	global_load_dwordx4 v[40:43], v[40:41], off
	v_fmac_f64_e32 v[0:1], v[22:23], v[50:51]
	v_lshl_add_u64 v[50:51], v[14:15], 3, s[10:11]
	v_add_u32_e32 v14, -2, v12
	global_load_dwordx4 v[44:47], v[44:45], off
	s_waitcnt vmcnt(7)
	v_fmac_f64_e32 v[8:9], v[28:29], v[52:53]
	global_load_dwordx2 v[60:61], v[60:61], off
	v_lshl_add_u64 v[28:29], v[14:15], 3, s[8:9]
	v_add_u32_e32 v14, 7, v48
	global_load_dwordx4 v[20:23], v[20:21], off
	v_fmac_f64_e32 v[0:1], v[30:31], v[52:53]
	global_load_dwordx4 v[28:31], v[28:29], off
	v_lshl_add_u64 v[52:53], v[14:15], 3, s[10:11]
	global_load_dwordx2 v[50:51], v[50:51], off
	v_add_u32_e32 v14, 8, v48
	global_load_dwordx2 v[48:49], v[52:53], off
	v_lshl_add_u64 v[52:53], v[14:15], 3, s[10:11]
	global_load_dwordx2 v[52:53], v[52:53], off
	s_waitcnt vmcnt(9)
	v_fmac_f64_e32 v[8:9], v[32:33], v[54:55]
	v_fmac_f64_e32 v[0:1], v[34:35], v[54:55]
	v_add_u32_e32 v12, 0x240, v12
	s_waitcnt vmcnt(8)
	v_fmac_f64_e32 v[8:9], v[36:37], v[56:57]
	v_fmac_f64_e32 v[0:1], v[38:39], v[56:57]
	s_waitcnt vmcnt(7)
	v_fmac_f64_e32 v[8:9], v[40:41], v[58:59]
	v_fmac_f64_e32 v[0:1], v[42:43], v[58:59]
	;; [unrolled: 3-line block ×6, first 2 shown]
	s_andn2_b64 exec, exec, s[16:17]
	s_cbranch_execnz .LBB114_9
; %bb.10:
	s_or_b64 exec, exec, s[16:17]
.LBB114_11:
	s_or_b64 exec, exec, s[14:15]
	s_andn2_b64 vcc, exec, s[4:5]
	s_cbranch_vccz .LBB114_13
	s_branch .LBB114_18
.LBB114_12:
                                        ; implicit-def: $vgpr8_vgpr9
                                        ; implicit-def: $vgpr0_vgpr1
.LBB114_13:
	v_mov_b64_e32 v[8:9], 0
	v_mov_b64_e32 v[0:1], v[8:9]
	s_and_saveexec_b64 s[4:5], s[2:3]
	s_cbranch_execz .LBB114_17
; %bb.14:
	v_mad_u64_u32 v[12:13], s[2:3], v10, 18, 17
	v_mov_b64_e32 v[8:9], 0
	s_mov_b64 s[2:3], 0
	v_mov_b32_e32 v15, 0
	v_mov_b64_e32 v[0:1], v[8:9]
.LBB114_15:                             ; =>This Inner Loop Header: Depth=1
	v_ashrrev_i32_e32 v11, 31, v10
	v_subrev_u32_e32 v14, 17, v12
	v_add_u32_e32 v20, -8, v12
	v_mov_b32_e32 v21, v15
	v_mov_b32_e32 v13, v15
	v_lshl_add_u64 v[24:25], v[10:11], 2, s[6:7]
	v_lshl_add_u64 v[26:27], v[14:15], 3, s[8:9]
	;; [unrolled: 1-line block ×4, first 2 shown]
	global_load_dword v11, v[24:25], off
	global_load_dwordx2 v[32:33], v[28:29], off
	global_load_dwordx4 v[20:23], v[26:27], off
	global_load_dwordx2 v[34:35], v[30:31], off
	v_mov_b32_e32 v17, v15
	v_add_u32_e32 v10, 32, v10
	v_cmp_ge_i32_e32 vcc, v10, v18
	s_or_b64 s[2:3], vcc, s[2:3]
	s_waitcnt vmcnt(3)
	v_subrev_u32_e32 v11, s12, v11
	v_lshl_add_u32 v16, v11, 3, v11
	v_lshl_add_u64 v[24:25], v[16:17], 3, s[10:11]
	v_add_u32_e32 v14, 1, v16
	global_load_dwordx2 v[24:25], v[24:25], off
	v_lshl_add_u64 v[26:27], v[14:15], 3, s[10:11]
	global_load_dwordx2 v[26:27], v[26:27], off
	v_add_u32_e32 v14, -7, v12
	v_lshl_add_u64 v[28:29], v[14:15], 3, s[8:9]
	global_load_dwordx2 v[28:29], v[28:29], off
	v_add_u32_e32 v14, -15, v12
	v_lshl_add_u64 v[30:31], v[14:15], 3, s[8:9]
	global_load_dwordx2 v[30:31], v[30:31], off
	v_add_u32_e32 v14, 2, v16
	v_lshl_add_u64 v[36:37], v[14:15], 3, s[10:11]
	v_add_u32_e32 v14, -6, v12
	v_lshl_add_u64 v[38:39], v[14:15], 3, s[8:9]
	v_add_u32_e32 v14, -14, v12
	v_lshl_add_u64 v[40:41], v[14:15], 3, s[8:9]
	v_add_u32_e32 v14, 3, v16
	v_lshl_add_u64 v[42:43], v[14:15], 3, s[10:11]
	v_add_u32_e32 v14, -5, v12
	v_lshl_add_u64 v[44:45], v[14:15], 3, s[8:9]
	v_add_u32_e32 v14, -13, v12
	v_lshl_add_u64 v[46:47], v[14:15], 3, s[8:9]
	;; [unrolled: 6-line block ×4, first 2 shown]
	v_add_u32_e32 v14, 6, v16
	global_load_dwordx2 v[36:37], v[36:37], off
	s_waitcnt vmcnt(4)
	v_fmac_f64_e32 v[0:1], v[32:33], v[24:25]
	v_lshl_add_u64 v[32:33], v[14:15], 3, s[10:11]
	v_add_u32_e32 v14, -2, v12
	global_load_dwordx2 v[38:39], v[38:39], off
	v_fmac_f64_e32 v[8:9], v[20:21], v[24:25]
	global_load_dwordx2 v[40:41], v[40:41], off
	v_lshl_add_u64 v[20:21], v[14:15], 3, s[8:9]
	v_add_u32_e32 v14, -10, v12
	global_load_dwordx2 v[42:43], v[42:43], off
	s_waitcnt vmcnt(6)
	v_fmac_f64_e32 v[8:9], v[22:23], v[26:27]
	global_load_dwordx2 v[44:45], v[44:45], off
	v_lshl_add_u64 v[22:23], v[14:15], 3, s[8:9]
	global_load_dwordx2 v[46:47], v[46:47], off
	v_add_u32_e32 v14, 7, v16
	global_load_dwordx2 v[48:49], v[48:49], off
	s_nop 0
	global_load_dwordx2 v[50:51], v[50:51], off
	s_nop 0
	;; [unrolled: 2-line block ×3, first 2 shown]
	global_load_dwordx2 v[24:25], v[32:33], off
	v_lshl_add_u64 v[32:33], v[14:15], 3, s[10:11]
	v_add_u32_e32 v14, -1, v12
	global_load_dwordx2 v[54:55], v[54:55], off
	s_waitcnt vmcnt(10)
	v_fmac_f64_e32 v[8:9], v[30:31], v[36:37]
	global_load_dwordx2 v[56:57], v[56:57], off
	s_waitcnt vmcnt(8)
	v_fmac_f64_e32 v[8:9], v[40:41], v[42:43]
	;; [unrolled: 3-line block ×4, first 2 shown]
	global_load_dwordx2 v[22:23], v[22:23], off
	v_fmac_f64_e32 v[0:1], v[28:29], v[26:27]
	v_lshl_add_u64 v[26:27], v[14:15], 3, s[8:9]
	v_add_u32_e32 v14, -9, v12
	global_load_dwordx2 v[28:29], v[32:33], off
	v_lshl_add_u64 v[32:33], v[14:15], 3, s[8:9]
	v_add_u32_e32 v14, 8, v16
	global_load_dwordx2 v[16:17], v[26:27], off
	global_load_dwordx2 v[60:61], v[32:33], off
	v_lshl_add_u64 v[26:27], v[14:15], 3, s[10:11]
	global_load_dwordx2 v[26:27], v[26:27], off
	v_fmac_f64_e32 v[0:1], v[38:39], v[36:37]
	v_fmac_f64_e32 v[0:1], v[44:45], v[42:43]
	;; [unrolled: 1-line block ×3, first 2 shown]
	s_waitcnt vmcnt(7)
	v_fmac_f64_e32 v[0:1], v[56:57], v[54:55]
	v_add_u32_e32 v12, 0x240, v12
	s_waitcnt vmcnt(6)
	v_fmac_f64_e32 v[8:9], v[58:59], v[24:25]
	s_waitcnt vmcnt(5)
	v_fmac_f64_e32 v[0:1], v[20:21], v[24:25]
	;; [unrolled: 2-line block ×5, first 2 shown]
	v_fmac_f64_e32 v[0:1], v[34:35], v[26:27]
	s_andn2_b64 exec, exec, s[2:3]
	s_cbranch_execnz .LBB114_15
; %bb.16:
	s_or_b64 exec, exec, s[2:3]
.LBB114_17:
	s_or_b64 exec, exec, s[4:5]
.LBB114_18:
	v_mov_b32_dpp v10, v8 row_shr:1 row_mask:0xf bank_mask:0xf
	v_mov_b32_dpp v11, v9 row_shr:1 row_mask:0xf bank_mask:0xf
	;; [unrolled: 1-line block ×4, first 2 shown]
	v_add_f64 v[8:9], v[8:9], v[10:11]
	v_add_f64 v[0:1], v[0:1], v[12:13]
	v_cmp_eq_u32_e32 vcc, 31, v7
	v_mov_b32_dpp v10, v8 row_shr:2 row_mask:0xf bank_mask:0xf
	v_mov_b32_dpp v11, v9 row_shr:2 row_mask:0xf bank_mask:0xf
	v_mov_b32_dpp v12, v0 row_shr:2 row_mask:0xf bank_mask:0xf
	v_mov_b32_dpp v13, v1 row_shr:2 row_mask:0xf bank_mask:0xf
	v_add_f64 v[8:9], v[8:9], v[10:11]
	v_add_f64 v[0:1], v[0:1], v[12:13]
	s_nop 0
	v_mov_b32_dpp v10, v8 row_shr:4 row_mask:0xf bank_mask:0xe
	v_mov_b32_dpp v11, v9 row_shr:4 row_mask:0xf bank_mask:0xe
	v_mov_b32_dpp v12, v0 row_shr:4 row_mask:0xf bank_mask:0xe
	v_mov_b32_dpp v13, v1 row_shr:4 row_mask:0xf bank_mask:0xe
	v_add_f64 v[8:9], v[8:9], v[10:11]
	v_add_f64 v[0:1], v[0:1], v[12:13]
	s_nop 0
	;; [unrolled: 7-line block ×3, first 2 shown]
	v_mov_b32_dpp v10, v8 row_bcast:15 row_mask:0xa bank_mask:0xf
	v_mov_b32_dpp v11, v9 row_bcast:15 row_mask:0xa bank_mask:0xf
	;; [unrolled: 1-line block ×4, first 2 shown]
	s_and_b64 exec, exec, vcc
	s_cbranch_execz .LBB114_23
; %bb.19:
	s_load_dwordx2 s[0:1], s[0:1], 0x38
	v_add_f64 v[8:9], v[8:9], v[10:11]
	v_add_f64 v[0:1], v[0:1], v[12:13]
	v_cmp_eq_f64_e32 vcc, 0, v[4:5]
	s_and_saveexec_b64 s[2:3], vcc
	s_xor_b64 s[2:3], exec, s[2:3]
	s_cbranch_execz .LBB114_21
; %bb.20:
	v_lshlrev_b32_e32 v6, 1, v6
	v_ashrrev_i32_e32 v7, 31, v6
	v_mul_f64 v[4:5], v[2:3], v[8:9]
	s_waitcnt lgkmcnt(0)
	v_lshl_add_u64 v[8:9], v[6:7], 3, s[0:1]
	v_mul_f64 v[6:7], v[2:3], v[0:1]
	global_store_dwordx4 v[8:9], v[4:7], off
                                        ; implicit-def: $vgpr6
                                        ; implicit-def: $vgpr2_vgpr3
                                        ; implicit-def: $vgpr8_vgpr9
                                        ; implicit-def: $vgpr4_vgpr5
                                        ; implicit-def: $vgpr0_vgpr1
.LBB114_21:
	s_andn2_saveexec_b64 s[2:3], s[2:3]
	s_cbranch_execz .LBB114_23
; %bb.22:
	v_lshlrev_b32_e32 v6, 1, v6
	v_ashrrev_i32_e32 v7, 31, v6
	s_waitcnt lgkmcnt(0)
	v_lshl_add_u64 v[14:15], v[6:7], 3, s[0:1]
	global_load_dwordx4 v[10:13], v[14:15], off
	v_mul_f64 v[6:7], v[2:3], v[8:9]
	v_mul_f64 v[8:9], v[2:3], v[0:1]
	s_waitcnt vmcnt(0)
	v_fmac_f64_e32 v[6:7], v[4:5], v[10:11]
	v_fmac_f64_e32 v[8:9], v[4:5], v[12:13]
	global_store_dwordx4 v[14:15], v[6:9], off
.LBB114_23:
	s_endpgm
	.section	.rodata,"a",@progbits
	.p2align	6, 0x0
	.amdhsa_kernel _ZN9rocsparseL19gebsrmvn_2xn_kernelILj128ELj9ELj32EdEEvi20rocsparse_direction_NS_24const_host_device_scalarIT2_EEPKiS6_PKS3_S8_S4_PS3_21rocsparse_index_base_b
		.amdhsa_group_segment_fixed_size 0
		.amdhsa_private_segment_fixed_size 0
		.amdhsa_kernarg_size 72
		.amdhsa_user_sgpr_count 2
		.amdhsa_user_sgpr_dispatch_ptr 0
		.amdhsa_user_sgpr_queue_ptr 0
		.amdhsa_user_sgpr_kernarg_segment_ptr 1
		.amdhsa_user_sgpr_dispatch_id 0
		.amdhsa_user_sgpr_kernarg_preload_length 0
		.amdhsa_user_sgpr_kernarg_preload_offset 0
		.amdhsa_user_sgpr_private_segment_size 0
		.amdhsa_uses_dynamic_stack 0
		.amdhsa_enable_private_segment 0
		.amdhsa_system_sgpr_workgroup_id_x 1
		.amdhsa_system_sgpr_workgroup_id_y 0
		.amdhsa_system_sgpr_workgroup_id_z 0
		.amdhsa_system_sgpr_workgroup_info 0
		.amdhsa_system_vgpr_workitem_id 0
		.amdhsa_next_free_vgpr 62
		.amdhsa_next_free_sgpr 18
		.amdhsa_accum_offset 64
		.amdhsa_reserve_vcc 1
		.amdhsa_float_round_mode_32 0
		.amdhsa_float_round_mode_16_64 0
		.amdhsa_float_denorm_mode_32 3
		.amdhsa_float_denorm_mode_16_64 3
		.amdhsa_dx10_clamp 1
		.amdhsa_ieee_mode 1
		.amdhsa_fp16_overflow 0
		.amdhsa_tg_split 0
		.amdhsa_exception_fp_ieee_invalid_op 0
		.amdhsa_exception_fp_denorm_src 0
		.amdhsa_exception_fp_ieee_div_zero 0
		.amdhsa_exception_fp_ieee_overflow 0
		.amdhsa_exception_fp_ieee_underflow 0
		.amdhsa_exception_fp_ieee_inexact 0
		.amdhsa_exception_int_div_zero 0
	.end_amdhsa_kernel
	.section	.text._ZN9rocsparseL19gebsrmvn_2xn_kernelILj128ELj9ELj32EdEEvi20rocsparse_direction_NS_24const_host_device_scalarIT2_EEPKiS6_PKS3_S8_S4_PS3_21rocsparse_index_base_b,"axG",@progbits,_ZN9rocsparseL19gebsrmvn_2xn_kernelILj128ELj9ELj32EdEEvi20rocsparse_direction_NS_24const_host_device_scalarIT2_EEPKiS6_PKS3_S8_S4_PS3_21rocsparse_index_base_b,comdat
.Lfunc_end114:
	.size	_ZN9rocsparseL19gebsrmvn_2xn_kernelILj128ELj9ELj32EdEEvi20rocsparse_direction_NS_24const_host_device_scalarIT2_EEPKiS6_PKS3_S8_S4_PS3_21rocsparse_index_base_b, .Lfunc_end114-_ZN9rocsparseL19gebsrmvn_2xn_kernelILj128ELj9ELj32EdEEvi20rocsparse_direction_NS_24const_host_device_scalarIT2_EEPKiS6_PKS3_S8_S4_PS3_21rocsparse_index_base_b
                                        ; -- End function
	.section	.AMDGPU.csdata,"",@progbits
; Kernel info:
; codeLenInByte = 1996
; NumSgprs: 24
; NumVgprs: 62
; NumAgprs: 0
; TotalNumVgprs: 62
; ScratchSize: 0
; MemoryBound: 0
; FloatMode: 240
; IeeeMode: 1
; LDSByteSize: 0 bytes/workgroup (compile time only)
; SGPRBlocks: 2
; VGPRBlocks: 7
; NumSGPRsForWavesPerEU: 24
; NumVGPRsForWavesPerEU: 62
; AccumOffset: 64
; Occupancy: 8
; WaveLimiterHint : 1
; COMPUTE_PGM_RSRC2:SCRATCH_EN: 0
; COMPUTE_PGM_RSRC2:USER_SGPR: 2
; COMPUTE_PGM_RSRC2:TRAP_HANDLER: 0
; COMPUTE_PGM_RSRC2:TGID_X_EN: 1
; COMPUTE_PGM_RSRC2:TGID_Y_EN: 0
; COMPUTE_PGM_RSRC2:TGID_Z_EN: 0
; COMPUTE_PGM_RSRC2:TIDIG_COMP_CNT: 0
; COMPUTE_PGM_RSRC3_GFX90A:ACCUM_OFFSET: 15
; COMPUTE_PGM_RSRC3_GFX90A:TG_SPLIT: 0
	.section	.text._ZN9rocsparseL19gebsrmvn_2xn_kernelILj128ELj9ELj64EdEEvi20rocsparse_direction_NS_24const_host_device_scalarIT2_EEPKiS6_PKS3_S8_S4_PS3_21rocsparse_index_base_b,"axG",@progbits,_ZN9rocsparseL19gebsrmvn_2xn_kernelILj128ELj9ELj64EdEEvi20rocsparse_direction_NS_24const_host_device_scalarIT2_EEPKiS6_PKS3_S8_S4_PS3_21rocsparse_index_base_b,comdat
	.globl	_ZN9rocsparseL19gebsrmvn_2xn_kernelILj128ELj9ELj64EdEEvi20rocsparse_direction_NS_24const_host_device_scalarIT2_EEPKiS6_PKS3_S8_S4_PS3_21rocsparse_index_base_b ; -- Begin function _ZN9rocsparseL19gebsrmvn_2xn_kernelILj128ELj9ELj64EdEEvi20rocsparse_direction_NS_24const_host_device_scalarIT2_EEPKiS6_PKS3_S8_S4_PS3_21rocsparse_index_base_b
	.p2align	8
	.type	_ZN9rocsparseL19gebsrmvn_2xn_kernelILj128ELj9ELj64EdEEvi20rocsparse_direction_NS_24const_host_device_scalarIT2_EEPKiS6_PKS3_S8_S4_PS3_21rocsparse_index_base_b,@function
_ZN9rocsparseL19gebsrmvn_2xn_kernelILj128ELj9ELj64EdEEvi20rocsparse_direction_NS_24const_host_device_scalarIT2_EEPKiS6_PKS3_S8_S4_PS3_21rocsparse_index_base_b: ; @_ZN9rocsparseL19gebsrmvn_2xn_kernelILj128ELj9ELj64EdEEvi20rocsparse_direction_NS_24const_host_device_scalarIT2_EEPKiS6_PKS3_S8_S4_PS3_21rocsparse_index_base_b
; %bb.0:
	s_load_dwordx2 s[12:13], s[0:1], 0x40
	s_load_dwordx2 s[8:9], s[0:1], 0x8
	;; [unrolled: 1-line block ×3, first 2 shown]
	s_waitcnt lgkmcnt(0)
	s_bitcmp1_b32 s13, 0
	s_cselect_b64 s[10:11], -1, 0
	s_xor_b64 s[6:7], s[10:11], -1
	s_and_b64 vcc, exec, s[10:11]
	v_mov_b64_e32 v[2:3], s[8:9]
	s_cbranch_vccnz .LBB115_2
; %bb.1:
	v_mov_b64_e32 v[2:3], s[8:9]
	flat_load_dwordx2 v[2:3], v[2:3]
.LBB115_2:
	s_andn2_b64 vcc, exec, s[6:7]
	v_mov_b64_e32 v[4:5], s[4:5]
	s_cbranch_vccnz .LBB115_4
; %bb.3:
	v_mov_b64_e32 v[4:5], s[4:5]
	flat_load_dwordx2 v[4:5], v[4:5]
.LBB115_4:
	s_waitcnt vmcnt(0) lgkmcnt(0)
	v_cmp_neq_f64_e32 vcc, 0, v[2:3]
	v_cmp_neq_f64_e64 s[4:5], 1.0, v[4:5]
	s_or_b64 s[4:5], vcc, s[4:5]
	s_and_saveexec_b64 s[6:7], s[4:5]
	s_cbranch_execz .LBB115_23
; %bb.5:
	s_load_dwordx2 s[14:15], s[0:1], 0x0
	v_lshrrev_b32_e32 v1, 6, v0
	v_lshl_or_b32 v6, s2, 1, v1
	s_waitcnt lgkmcnt(0)
	v_cmp_gt_i32_e32 vcc, s14, v6
	s_and_b64 exec, exec, vcc
	s_cbranch_execz .LBB115_23
; %bb.6:
	s_load_dwordx8 s[4:11], s[0:1], 0x10
	v_ashrrev_i32_e32 v7, 31, v6
	s_cmp_lg_u32 s15, 0
	s_waitcnt lgkmcnt(0)
	v_lshl_add_u64 v[8:9], v[6:7], 2, s[4:5]
	global_load_dwordx2 v[8:9], v[8:9], off
	v_and_b32_e32 v7, 63, v0
	s_waitcnt vmcnt(0)
	v_subrev_u32_e32 v0, s12, v8
	v_subrev_u32_e32 v18, s12, v9
	v_add_u32_e32 v10, v0, v7
	v_cmp_lt_i32_e64 s[2:3], v10, v18
	s_cbranch_scc0 .LBB115_12
; %bb.7:
	v_mov_b64_e32 v[8:9], 0
	s_mov_b64 s[4:5], 0
	v_mov_b64_e32 v[0:1], v[8:9]
	s_and_saveexec_b64 s[14:15], s[2:3]
	s_cbranch_execz .LBB115_11
; %bb.8:
	v_mad_u64_u32 v[12:13], s[16:17], v10, 18, 16
	v_mov_b64_e32 v[8:9], 0
	s_mov_b64 s[16:17], 0
	v_mov_b32_e32 v15, 0
	v_mov_b32_e32 v16, v10
	v_mov_b64_e32 v[0:1], v[8:9]
.LBB115_9:                              ; =>This Inner Loop Header: Depth=1
	v_ashrrev_i32_e32 v17, 31, v16
	v_add_u32_e32 v14, -16, v12
	v_lshl_add_u64 v[24:25], v[16:17], 2, s[6:7]
	v_lshl_add_u64 v[26:27], v[14:15], 3, s[8:9]
	global_load_dword v11, v[24:25], off
	global_load_dwordx4 v[20:23], v[26:27], off
	v_mov_b32_e32 v13, v15
	v_mov_b32_e32 v49, v15
	v_add_u32_e32 v14, -14, v12
	v_lshl_add_u64 v[32:33], v[12:13], 3, s[8:9]
	v_lshl_add_u64 v[34:35], v[14:15], 3, s[8:9]
	global_load_dwordx4 v[24:27], v[32:33], off
	global_load_dwordx4 v[28:31], v[34:35], off
	v_add_u32_e32 v16, 64, v16
	v_cmp_ge_i32_e32 vcc, v16, v18
	s_or_b64 s[16:17], vcc, s[16:17]
	s_waitcnt vmcnt(3)
	v_subrev_u32_e32 v11, s12, v11
	v_lshl_add_u32 v48, v11, 3, v11
	v_lshl_add_u64 v[32:33], v[48:49], 3, s[10:11]
	v_add_u32_e32 v14, 1, v48
	global_load_dwordx2 v[50:51], v[32:33], off
	v_lshl_add_u64 v[32:33], v[14:15], 3, s[10:11]
	global_load_dwordx2 v[52:53], v[32:33], off
	v_add_u32_e32 v14, -12, v12
	v_lshl_add_u64 v[32:33], v[14:15], 3, s[8:9]
	v_add_u32_e32 v14, 2, v48
	v_lshl_add_u64 v[36:37], v[14:15], 3, s[10:11]
	v_add_u32_e32 v14, -10, v12
	global_load_dwordx2 v[54:55], v[36:37], off
	v_lshl_add_u64 v[36:37], v[14:15], 3, s[8:9]
	v_add_u32_e32 v14, 3, v48
	v_lshl_add_u64 v[40:41], v[14:15], 3, s[10:11]
	v_add_u32_e32 v14, -8, v12
	global_load_dwordx2 v[56:57], v[40:41], off
	;; [unrolled: 5-line block ×3, first 2 shown]
	v_lshl_add_u64 v[44:45], v[14:15], 3, s[8:9]
	v_add_u32_e32 v14, 5, v48
	global_load_dwordx4 v[32:35], v[32:33], off
	v_lshl_add_u64 v[60:61], v[14:15], 3, s[10:11]
	v_add_u32_e32 v14, -4, v12
	global_load_dwordx4 v[36:39], v[36:37], off
	s_waitcnt vmcnt(6)
	v_fmac_f64_e32 v[8:9], v[20:21], v[50:51]
	v_lshl_add_u64 v[20:21], v[14:15], 3, s[8:9]
	v_add_u32_e32 v14, 6, v48
	global_load_dwordx4 v[40:43], v[40:41], off
	v_fmac_f64_e32 v[0:1], v[22:23], v[50:51]
	v_lshl_add_u64 v[50:51], v[14:15], 3, s[10:11]
	v_add_u32_e32 v14, -2, v12
	global_load_dwordx4 v[44:47], v[44:45], off
	s_waitcnt vmcnt(7)
	v_fmac_f64_e32 v[8:9], v[28:29], v[52:53]
	global_load_dwordx2 v[60:61], v[60:61], off
	v_lshl_add_u64 v[28:29], v[14:15], 3, s[8:9]
	v_add_u32_e32 v14, 7, v48
	global_load_dwordx4 v[20:23], v[20:21], off
	v_fmac_f64_e32 v[0:1], v[30:31], v[52:53]
	global_load_dwordx4 v[28:31], v[28:29], off
	v_lshl_add_u64 v[52:53], v[14:15], 3, s[10:11]
	global_load_dwordx2 v[50:51], v[50:51], off
	v_add_u32_e32 v14, 8, v48
	global_load_dwordx2 v[48:49], v[52:53], off
	v_lshl_add_u64 v[52:53], v[14:15], 3, s[10:11]
	global_load_dwordx2 v[52:53], v[52:53], off
	s_waitcnt vmcnt(9)
	v_fmac_f64_e32 v[8:9], v[32:33], v[54:55]
	v_fmac_f64_e32 v[0:1], v[34:35], v[54:55]
	v_add_u32_e32 v12, 0x480, v12
	s_waitcnt vmcnt(8)
	v_fmac_f64_e32 v[8:9], v[36:37], v[56:57]
	v_fmac_f64_e32 v[0:1], v[38:39], v[56:57]
	s_waitcnt vmcnt(7)
	v_fmac_f64_e32 v[8:9], v[40:41], v[58:59]
	v_fmac_f64_e32 v[0:1], v[42:43], v[58:59]
	;; [unrolled: 3-line block ×6, first 2 shown]
	s_andn2_b64 exec, exec, s[16:17]
	s_cbranch_execnz .LBB115_9
; %bb.10:
	s_or_b64 exec, exec, s[16:17]
.LBB115_11:
	s_or_b64 exec, exec, s[14:15]
	s_andn2_b64 vcc, exec, s[4:5]
	s_cbranch_vccz .LBB115_13
	s_branch .LBB115_18
.LBB115_12:
                                        ; implicit-def: $vgpr8_vgpr9
                                        ; implicit-def: $vgpr0_vgpr1
.LBB115_13:
	v_mov_b64_e32 v[8:9], 0
	v_mov_b64_e32 v[0:1], v[8:9]
	s_and_saveexec_b64 s[4:5], s[2:3]
	s_cbranch_execz .LBB115_17
; %bb.14:
	v_mad_u64_u32 v[12:13], s[2:3], v10, 18, 17
	v_mov_b64_e32 v[8:9], 0
	s_mov_b64 s[2:3], 0
	v_mov_b32_e32 v15, 0
	v_mov_b64_e32 v[0:1], v[8:9]
.LBB115_15:                             ; =>This Inner Loop Header: Depth=1
	v_ashrrev_i32_e32 v11, 31, v10
	v_subrev_u32_e32 v14, 17, v12
	v_add_u32_e32 v20, -8, v12
	v_mov_b32_e32 v21, v15
	v_mov_b32_e32 v13, v15
	v_lshl_add_u64 v[24:25], v[10:11], 2, s[6:7]
	v_lshl_add_u64 v[26:27], v[14:15], 3, s[8:9]
	v_lshl_add_u64 v[28:29], v[20:21], 3, s[8:9]
	v_lshl_add_u64 v[30:31], v[12:13], 3, s[8:9]
	global_load_dword v11, v[24:25], off
	global_load_dwordx2 v[32:33], v[28:29], off
	global_load_dwordx4 v[20:23], v[26:27], off
	global_load_dwordx2 v[34:35], v[30:31], off
	v_mov_b32_e32 v17, v15
	v_add_u32_e32 v10, 64, v10
	v_cmp_ge_i32_e32 vcc, v10, v18
	s_or_b64 s[2:3], vcc, s[2:3]
	s_waitcnt vmcnt(3)
	v_subrev_u32_e32 v11, s12, v11
	v_lshl_add_u32 v16, v11, 3, v11
	v_lshl_add_u64 v[24:25], v[16:17], 3, s[10:11]
	v_add_u32_e32 v14, 1, v16
	global_load_dwordx2 v[24:25], v[24:25], off
	v_lshl_add_u64 v[26:27], v[14:15], 3, s[10:11]
	global_load_dwordx2 v[26:27], v[26:27], off
	v_add_u32_e32 v14, -7, v12
	v_lshl_add_u64 v[28:29], v[14:15], 3, s[8:9]
	global_load_dwordx2 v[28:29], v[28:29], off
	v_add_u32_e32 v14, -15, v12
	v_lshl_add_u64 v[30:31], v[14:15], 3, s[8:9]
	global_load_dwordx2 v[30:31], v[30:31], off
	v_add_u32_e32 v14, 2, v16
	v_lshl_add_u64 v[36:37], v[14:15], 3, s[10:11]
	v_add_u32_e32 v14, -6, v12
	v_lshl_add_u64 v[38:39], v[14:15], 3, s[8:9]
	v_add_u32_e32 v14, -14, v12
	v_lshl_add_u64 v[40:41], v[14:15], 3, s[8:9]
	v_add_u32_e32 v14, 3, v16
	v_lshl_add_u64 v[42:43], v[14:15], 3, s[10:11]
	v_add_u32_e32 v14, -5, v12
	v_lshl_add_u64 v[44:45], v[14:15], 3, s[8:9]
	v_add_u32_e32 v14, -13, v12
	v_lshl_add_u64 v[46:47], v[14:15], 3, s[8:9]
	;; [unrolled: 6-line block ×4, first 2 shown]
	v_add_u32_e32 v14, 6, v16
	global_load_dwordx2 v[36:37], v[36:37], off
	s_waitcnt vmcnt(4)
	v_fmac_f64_e32 v[0:1], v[32:33], v[24:25]
	v_lshl_add_u64 v[32:33], v[14:15], 3, s[10:11]
	v_add_u32_e32 v14, -2, v12
	global_load_dwordx2 v[38:39], v[38:39], off
	v_fmac_f64_e32 v[8:9], v[20:21], v[24:25]
	global_load_dwordx2 v[40:41], v[40:41], off
	v_lshl_add_u64 v[20:21], v[14:15], 3, s[8:9]
	v_add_u32_e32 v14, -10, v12
	global_load_dwordx2 v[42:43], v[42:43], off
	s_waitcnt vmcnt(6)
	v_fmac_f64_e32 v[8:9], v[22:23], v[26:27]
	global_load_dwordx2 v[44:45], v[44:45], off
	v_lshl_add_u64 v[22:23], v[14:15], 3, s[8:9]
	global_load_dwordx2 v[46:47], v[46:47], off
	v_add_u32_e32 v14, 7, v16
	global_load_dwordx2 v[48:49], v[48:49], off
	s_nop 0
	global_load_dwordx2 v[50:51], v[50:51], off
	s_nop 0
	;; [unrolled: 2-line block ×3, first 2 shown]
	global_load_dwordx2 v[24:25], v[32:33], off
	v_lshl_add_u64 v[32:33], v[14:15], 3, s[10:11]
	v_add_u32_e32 v14, -1, v12
	global_load_dwordx2 v[54:55], v[54:55], off
	s_waitcnt vmcnt(10)
	v_fmac_f64_e32 v[8:9], v[30:31], v[36:37]
	global_load_dwordx2 v[56:57], v[56:57], off
	s_waitcnt vmcnt(8)
	v_fmac_f64_e32 v[8:9], v[40:41], v[42:43]
	;; [unrolled: 3-line block ×4, first 2 shown]
	global_load_dwordx2 v[22:23], v[22:23], off
	v_fmac_f64_e32 v[0:1], v[28:29], v[26:27]
	v_lshl_add_u64 v[26:27], v[14:15], 3, s[8:9]
	v_add_u32_e32 v14, -9, v12
	global_load_dwordx2 v[28:29], v[32:33], off
	v_lshl_add_u64 v[32:33], v[14:15], 3, s[8:9]
	v_add_u32_e32 v14, 8, v16
	global_load_dwordx2 v[16:17], v[26:27], off
	global_load_dwordx2 v[60:61], v[32:33], off
	v_lshl_add_u64 v[26:27], v[14:15], 3, s[10:11]
	global_load_dwordx2 v[26:27], v[26:27], off
	v_fmac_f64_e32 v[0:1], v[38:39], v[36:37]
	v_fmac_f64_e32 v[0:1], v[44:45], v[42:43]
	;; [unrolled: 1-line block ×3, first 2 shown]
	s_waitcnt vmcnt(7)
	v_fmac_f64_e32 v[0:1], v[56:57], v[54:55]
	v_add_u32_e32 v12, 0x480, v12
	s_waitcnt vmcnt(6)
	v_fmac_f64_e32 v[8:9], v[58:59], v[24:25]
	s_waitcnt vmcnt(5)
	v_fmac_f64_e32 v[0:1], v[20:21], v[24:25]
	s_waitcnt vmcnt(3)
	v_fmac_f64_e32 v[8:9], v[22:23], v[28:29]
	s_waitcnt vmcnt(2)
	v_fmac_f64_e32 v[0:1], v[16:17], v[28:29]
	s_waitcnt vmcnt(0)
	v_fmac_f64_e32 v[8:9], v[60:61], v[26:27]
	v_fmac_f64_e32 v[0:1], v[34:35], v[26:27]
	s_andn2_b64 exec, exec, s[2:3]
	s_cbranch_execnz .LBB115_15
; %bb.16:
	s_or_b64 exec, exec, s[2:3]
.LBB115_17:
	s_or_b64 exec, exec, s[4:5]
.LBB115_18:
	v_mov_b32_dpp v10, v8 row_shr:1 row_mask:0xf bank_mask:0xf
	v_mov_b32_dpp v11, v9 row_shr:1 row_mask:0xf bank_mask:0xf
	;; [unrolled: 1-line block ×4, first 2 shown]
	v_add_f64 v[8:9], v[8:9], v[10:11]
	v_add_f64 v[0:1], v[0:1], v[12:13]
	v_cmp_eq_u32_e32 vcc, 63, v7
	v_mov_b32_dpp v10, v8 row_shr:2 row_mask:0xf bank_mask:0xf
	v_mov_b32_dpp v11, v9 row_shr:2 row_mask:0xf bank_mask:0xf
	v_mov_b32_dpp v12, v0 row_shr:2 row_mask:0xf bank_mask:0xf
	v_mov_b32_dpp v13, v1 row_shr:2 row_mask:0xf bank_mask:0xf
	v_add_f64 v[8:9], v[8:9], v[10:11]
	v_add_f64 v[0:1], v[0:1], v[12:13]
	s_nop 0
	v_mov_b32_dpp v10, v8 row_shr:4 row_mask:0xf bank_mask:0xe
	v_mov_b32_dpp v11, v9 row_shr:4 row_mask:0xf bank_mask:0xe
	v_mov_b32_dpp v12, v0 row_shr:4 row_mask:0xf bank_mask:0xe
	v_mov_b32_dpp v13, v1 row_shr:4 row_mask:0xf bank_mask:0xe
	v_add_f64 v[8:9], v[8:9], v[10:11]
	v_add_f64 v[0:1], v[0:1], v[12:13]
	s_nop 0
	;; [unrolled: 7-line block ×3, first 2 shown]
	v_mov_b32_dpp v10, v8 row_bcast:15 row_mask:0xa bank_mask:0xf
	v_mov_b32_dpp v11, v9 row_bcast:15 row_mask:0xa bank_mask:0xf
	;; [unrolled: 1-line block ×4, first 2 shown]
	v_add_f64 v[8:9], v[8:9], v[10:11]
	v_add_f64 v[0:1], v[0:1], v[12:13]
	s_nop 0
	v_mov_b32_dpp v10, v8 row_bcast:31 row_mask:0xc bank_mask:0xf
	v_mov_b32_dpp v11, v9 row_bcast:31 row_mask:0xc bank_mask:0xf
	v_mov_b32_dpp v12, v0 row_bcast:31 row_mask:0xc bank_mask:0xf
	v_mov_b32_dpp v13, v1 row_bcast:31 row_mask:0xc bank_mask:0xf
	s_and_b64 exec, exec, vcc
	s_cbranch_execz .LBB115_23
; %bb.19:
	s_load_dwordx2 s[0:1], s[0:1], 0x38
	v_add_f64 v[8:9], v[8:9], v[10:11]
	v_add_f64 v[0:1], v[0:1], v[12:13]
	v_cmp_eq_f64_e32 vcc, 0, v[4:5]
	s_and_saveexec_b64 s[2:3], vcc
	s_xor_b64 s[2:3], exec, s[2:3]
	s_cbranch_execz .LBB115_21
; %bb.20:
	v_lshlrev_b32_e32 v6, 1, v6
	v_ashrrev_i32_e32 v7, 31, v6
	v_mul_f64 v[4:5], v[2:3], v[8:9]
	s_waitcnt lgkmcnt(0)
	v_lshl_add_u64 v[8:9], v[6:7], 3, s[0:1]
	v_mul_f64 v[6:7], v[2:3], v[0:1]
	global_store_dwordx4 v[8:9], v[4:7], off
                                        ; implicit-def: $vgpr6
                                        ; implicit-def: $vgpr2_vgpr3
                                        ; implicit-def: $vgpr8_vgpr9
                                        ; implicit-def: $vgpr4_vgpr5
                                        ; implicit-def: $vgpr0_vgpr1
.LBB115_21:
	s_andn2_saveexec_b64 s[2:3], s[2:3]
	s_cbranch_execz .LBB115_23
; %bb.22:
	v_lshlrev_b32_e32 v6, 1, v6
	v_ashrrev_i32_e32 v7, 31, v6
	s_waitcnt lgkmcnt(0)
	v_lshl_add_u64 v[14:15], v[6:7], 3, s[0:1]
	global_load_dwordx4 v[10:13], v[14:15], off
	v_mul_f64 v[6:7], v[2:3], v[8:9]
	v_mul_f64 v[8:9], v[2:3], v[0:1]
	s_waitcnt vmcnt(0)
	v_fmac_f64_e32 v[6:7], v[4:5], v[10:11]
	v_fmac_f64_e32 v[8:9], v[4:5], v[12:13]
	global_store_dwordx4 v[14:15], v[6:9], off
.LBB115_23:
	s_endpgm
	.section	.rodata,"a",@progbits
	.p2align	6, 0x0
	.amdhsa_kernel _ZN9rocsparseL19gebsrmvn_2xn_kernelILj128ELj9ELj64EdEEvi20rocsparse_direction_NS_24const_host_device_scalarIT2_EEPKiS6_PKS3_S8_S4_PS3_21rocsparse_index_base_b
		.amdhsa_group_segment_fixed_size 0
		.amdhsa_private_segment_fixed_size 0
		.amdhsa_kernarg_size 72
		.amdhsa_user_sgpr_count 2
		.amdhsa_user_sgpr_dispatch_ptr 0
		.amdhsa_user_sgpr_queue_ptr 0
		.amdhsa_user_sgpr_kernarg_segment_ptr 1
		.amdhsa_user_sgpr_dispatch_id 0
		.amdhsa_user_sgpr_kernarg_preload_length 0
		.amdhsa_user_sgpr_kernarg_preload_offset 0
		.amdhsa_user_sgpr_private_segment_size 0
		.amdhsa_uses_dynamic_stack 0
		.amdhsa_enable_private_segment 0
		.amdhsa_system_sgpr_workgroup_id_x 1
		.amdhsa_system_sgpr_workgroup_id_y 0
		.amdhsa_system_sgpr_workgroup_id_z 0
		.amdhsa_system_sgpr_workgroup_info 0
		.amdhsa_system_vgpr_workitem_id 0
		.amdhsa_next_free_vgpr 62
		.amdhsa_next_free_sgpr 18
		.amdhsa_accum_offset 64
		.amdhsa_reserve_vcc 1
		.amdhsa_float_round_mode_32 0
		.amdhsa_float_round_mode_16_64 0
		.amdhsa_float_denorm_mode_32 3
		.amdhsa_float_denorm_mode_16_64 3
		.amdhsa_dx10_clamp 1
		.amdhsa_ieee_mode 1
		.amdhsa_fp16_overflow 0
		.amdhsa_tg_split 0
		.amdhsa_exception_fp_ieee_invalid_op 0
		.amdhsa_exception_fp_denorm_src 0
		.amdhsa_exception_fp_ieee_div_zero 0
		.amdhsa_exception_fp_ieee_overflow 0
		.amdhsa_exception_fp_ieee_underflow 0
		.amdhsa_exception_fp_ieee_inexact 0
		.amdhsa_exception_int_div_zero 0
	.end_amdhsa_kernel
	.section	.text._ZN9rocsparseL19gebsrmvn_2xn_kernelILj128ELj9ELj64EdEEvi20rocsparse_direction_NS_24const_host_device_scalarIT2_EEPKiS6_PKS3_S8_S4_PS3_21rocsparse_index_base_b,"axG",@progbits,_ZN9rocsparseL19gebsrmvn_2xn_kernelILj128ELj9ELj64EdEEvi20rocsparse_direction_NS_24const_host_device_scalarIT2_EEPKiS6_PKS3_S8_S4_PS3_21rocsparse_index_base_b,comdat
.Lfunc_end115:
	.size	_ZN9rocsparseL19gebsrmvn_2xn_kernelILj128ELj9ELj64EdEEvi20rocsparse_direction_NS_24const_host_device_scalarIT2_EEPKiS6_PKS3_S8_S4_PS3_21rocsparse_index_base_b, .Lfunc_end115-_ZN9rocsparseL19gebsrmvn_2xn_kernelILj128ELj9ELj64EdEEvi20rocsparse_direction_NS_24const_host_device_scalarIT2_EEPKiS6_PKS3_S8_S4_PS3_21rocsparse_index_base_b
                                        ; -- End function
	.section	.AMDGPU.csdata,"",@progbits
; Kernel info:
; codeLenInByte = 2048
; NumSgprs: 24
; NumVgprs: 62
; NumAgprs: 0
; TotalNumVgprs: 62
; ScratchSize: 0
; MemoryBound: 0
; FloatMode: 240
; IeeeMode: 1
; LDSByteSize: 0 bytes/workgroup (compile time only)
; SGPRBlocks: 2
; VGPRBlocks: 7
; NumSGPRsForWavesPerEU: 24
; NumVGPRsForWavesPerEU: 62
; AccumOffset: 64
; Occupancy: 8
; WaveLimiterHint : 1
; COMPUTE_PGM_RSRC2:SCRATCH_EN: 0
; COMPUTE_PGM_RSRC2:USER_SGPR: 2
; COMPUTE_PGM_RSRC2:TRAP_HANDLER: 0
; COMPUTE_PGM_RSRC2:TGID_X_EN: 1
; COMPUTE_PGM_RSRC2:TGID_Y_EN: 0
; COMPUTE_PGM_RSRC2:TGID_Z_EN: 0
; COMPUTE_PGM_RSRC2:TIDIG_COMP_CNT: 0
; COMPUTE_PGM_RSRC3_GFX90A:ACCUM_OFFSET: 15
; COMPUTE_PGM_RSRC3_GFX90A:TG_SPLIT: 0
	.section	.text._ZN9rocsparseL19gebsrmvn_2xn_kernelILj128ELj10ELj4EdEEvi20rocsparse_direction_NS_24const_host_device_scalarIT2_EEPKiS6_PKS3_S8_S4_PS3_21rocsparse_index_base_b,"axG",@progbits,_ZN9rocsparseL19gebsrmvn_2xn_kernelILj128ELj10ELj4EdEEvi20rocsparse_direction_NS_24const_host_device_scalarIT2_EEPKiS6_PKS3_S8_S4_PS3_21rocsparse_index_base_b,comdat
	.globl	_ZN9rocsparseL19gebsrmvn_2xn_kernelILj128ELj10ELj4EdEEvi20rocsparse_direction_NS_24const_host_device_scalarIT2_EEPKiS6_PKS3_S8_S4_PS3_21rocsparse_index_base_b ; -- Begin function _ZN9rocsparseL19gebsrmvn_2xn_kernelILj128ELj10ELj4EdEEvi20rocsparse_direction_NS_24const_host_device_scalarIT2_EEPKiS6_PKS3_S8_S4_PS3_21rocsparse_index_base_b
	.p2align	8
	.type	_ZN9rocsparseL19gebsrmvn_2xn_kernelILj128ELj10ELj4EdEEvi20rocsparse_direction_NS_24const_host_device_scalarIT2_EEPKiS6_PKS3_S8_S4_PS3_21rocsparse_index_base_b,@function
_ZN9rocsparseL19gebsrmvn_2xn_kernelILj128ELj10ELj4EdEEvi20rocsparse_direction_NS_24const_host_device_scalarIT2_EEPKiS6_PKS3_S8_S4_PS3_21rocsparse_index_base_b: ; @_ZN9rocsparseL19gebsrmvn_2xn_kernelILj128ELj10ELj4EdEEvi20rocsparse_direction_NS_24const_host_device_scalarIT2_EEPKiS6_PKS3_S8_S4_PS3_21rocsparse_index_base_b
; %bb.0:
	s_load_dwordx2 s[12:13], s[0:1], 0x40
	s_load_dwordx2 s[8:9], s[0:1], 0x8
	s_load_dwordx2 s[4:5], s[0:1], 0x30
	s_waitcnt lgkmcnt(0)
	s_bitcmp1_b32 s13, 0
	s_cselect_b64 s[10:11], -1, 0
	s_xor_b64 s[6:7], s[10:11], -1
	s_and_b64 vcc, exec, s[10:11]
	v_mov_b64_e32 v[2:3], s[8:9]
	s_cbranch_vccnz .LBB116_2
; %bb.1:
	v_mov_b64_e32 v[2:3], s[8:9]
	flat_load_dwordx2 v[2:3], v[2:3]
.LBB116_2:
	s_andn2_b64 vcc, exec, s[6:7]
	v_mov_b64_e32 v[4:5], s[4:5]
	s_cbranch_vccnz .LBB116_4
; %bb.3:
	v_mov_b64_e32 v[4:5], s[4:5]
	flat_load_dwordx2 v[4:5], v[4:5]
.LBB116_4:
	s_waitcnt vmcnt(0) lgkmcnt(0)
	v_cmp_neq_f64_e32 vcc, 0, v[2:3]
	v_cmp_neq_f64_e64 s[4:5], 1.0, v[4:5]
	s_or_b64 s[4:5], vcc, s[4:5]
	s_and_saveexec_b64 s[6:7], s[4:5]
	s_cbranch_execz .LBB116_23
; %bb.5:
	s_load_dwordx2 s[14:15], s[0:1], 0x0
	v_lshrrev_b32_e32 v1, 2, v0
	v_lshl_or_b32 v6, s2, 5, v1
	s_waitcnt lgkmcnt(0)
	v_cmp_gt_i32_e32 vcc, s14, v6
	s_and_b64 exec, exec, vcc
	s_cbranch_execz .LBB116_23
; %bb.6:
	s_load_dwordx8 s[4:11], s[0:1], 0x10
	v_ashrrev_i32_e32 v7, 31, v6
	s_cmp_lg_u32 s15, 0
	s_waitcnt lgkmcnt(0)
	v_lshl_add_u64 v[8:9], v[6:7], 2, s[4:5]
	global_load_dwordx2 v[8:9], v[8:9], off
	v_and_b32_e32 v7, 3, v0
	s_waitcnt vmcnt(0)
	v_subrev_u32_e32 v0, s12, v8
	v_subrev_u32_e32 v20, s12, v9
	v_add_u32_e32 v8, v0, v7
	v_cmp_lt_i32_e64 s[2:3], v8, v20
	s_cbranch_scc0 .LBB116_12
; %bb.7:
	v_mov_b64_e32 v[0:1], 0
	s_mov_b64 s[4:5], 0
	v_mov_b64_e32 v[10:11], v[0:1]
	s_and_saveexec_b64 s[14:15], s[2:3]
	s_cbranch_execz .LBB116_11
; %bb.8:
	v_mad_u64_u32 v[12:13], s[16:17], v8, 20, 18
	v_mov_b64_e32 v[0:1], 0
	s_mov_b64 s[16:17], 0
	v_mov_b32_e32 v15, 0
	v_mov_b32_e32 v16, v8
	v_mov_b64_e32 v[10:11], v[0:1]
.LBB116_9:                              ; =>This Inner Loop Header: Depth=1
	v_ashrrev_i32_e32 v17, 31, v16
	v_subrev_u32_e32 v14, 18, v12
	v_lshl_add_u64 v[30:31], v[16:17], 2, s[6:7]
	v_lshl_add_u64 v[32:33], v[14:15], 3, s[8:9]
	global_load_dword v9, v[30:31], off
	global_load_dwordx4 v[22:25], v[32:33], off offset:16
	global_load_dwordx4 v[26:29], v[32:33], off
	v_mov_b32_e32 v19, v15
	v_add_u32_e32 v14, -14, v12
	v_lshl_add_u64 v[30:31], v[14:15], 3, s[8:9]
	global_load_dwordx4 v[30:33], v[30:31], off
	v_mov_b32_e32 v13, v15
	v_lshl_add_u64 v[62:63], v[12:13], 3, s[8:9]
	v_add_u32_e32 v16, 4, v16
	v_cmp_ge_i32_e32 vcc, v16, v20
	s_or_b64 s[16:17], vcc, s[16:17]
	s_waitcnt vmcnt(3)
	v_subrev_u32_e32 v9, s12, v9
	v_mul_lo_u32 v18, v9, 10
	v_lshl_add_u64 v[34:35], v[18:19], 3, s[10:11]
	global_load_dwordx4 v[34:37], v[34:35], off
	v_add_u32_e32 v14, 2, v18
	v_lshl_add_u64 v[38:39], v[14:15], 3, s[10:11]
	global_load_dwordx4 v[38:41], v[38:39], off
	v_add_u32_e32 v14, -12, v12
	v_lshl_add_u64 v[42:43], v[14:15], 3, s[8:9]
	global_load_dwordx4 v[42:45], v[42:43], off
	v_add_u32_e32 v14, -10, v12
	v_lshl_add_u64 v[46:47], v[14:15], 3, s[8:9]
	global_load_dwordx4 v[46:49], v[46:47], off
	v_add_u32_e32 v14, 4, v18
	v_lshl_add_u64 v[50:51], v[14:15], 3, s[10:11]
	v_add_u32_e32 v14, -8, v12
	v_lshl_add_u64 v[54:55], v[14:15], 3, s[8:9]
	v_add_u32_e32 v14, -6, v12
	v_lshl_add_u64 v[58:59], v[14:15], 3, s[8:9]
	v_add_u32_e32 v14, 6, v18
	global_load_dwordx4 v[50:53], v[50:51], off
	s_waitcnt vmcnt(4)
	v_fmac_f64_e32 v[0:1], v[26:27], v[34:35]
	v_fmac_f64_e32 v[10:11], v[28:29], v[34:35]
	v_lshl_add_u64 v[34:35], v[14:15], 3, s[10:11]
	v_add_u32_e32 v14, -4, v12
	global_load_dwordx4 v[54:57], v[54:55], off
	v_lshl_add_u64 v[64:65], v[14:15], 3, s[8:9]
	global_load_dwordx4 v[26:29], v[58:59], off
	v_add_u32_e32 v14, -2, v12
	v_fmac_f64_e32 v[0:1], v[22:23], v[36:37]
	v_fmac_f64_e32 v[10:11], v[24:25], v[36:37]
	global_load_dwordx4 v[22:25], v[34:35], off
	v_lshl_add_u64 v[66:67], v[14:15], 3, s[8:9]
	v_add_u32_e32 v14, 8, v18
	v_lshl_add_u64 v[18:19], v[14:15], 3, s[10:11]
	global_load_dwordx4 v[34:37], v[64:65], off
	global_load_dwordx4 v[58:61], v[66:67], off
	s_waitcnt vmcnt(8)
	v_fmac_f64_e32 v[0:1], v[30:31], v[38:39]
	v_fmac_f64_e32 v[10:11], v[32:33], v[38:39]
	global_load_dwordx4 v[30:33], v[18:19], off
	s_waitcnt vmcnt(8)
	v_fmac_f64_e32 v[0:1], v[42:43], v[40:41]
	v_fmac_f64_e32 v[10:11], v[44:45], v[40:41]
	;; [unrolled: 4-line block ×3, first 2 shown]
	v_add_u32_e32 v12, 0x50, v12
	s_waitcnt vmcnt(6)
	v_fmac_f64_e32 v[0:1], v[54:55], v[52:53]
	v_fmac_f64_e32 v[10:11], v[56:57], v[52:53]
	s_waitcnt vmcnt(4)
	v_fmac_f64_e32 v[0:1], v[26:27], v[22:23]
	v_fmac_f64_e32 v[10:11], v[28:29], v[22:23]
	;; [unrolled: 3-line block ×5, first 2 shown]
	s_andn2_b64 exec, exec, s[16:17]
	s_cbranch_execnz .LBB116_9
; %bb.10:
	s_or_b64 exec, exec, s[16:17]
.LBB116_11:
	s_or_b64 exec, exec, s[14:15]
	s_andn2_b64 vcc, exec, s[4:5]
	s_cbranch_vccz .LBB116_13
	s_branch .LBB116_18
.LBB116_12:
                                        ; implicit-def: $vgpr0_vgpr1
                                        ; implicit-def: $vgpr10_vgpr11
.LBB116_13:
	v_mov_b64_e32 v[0:1], 0
	v_mov_b64_e32 v[10:11], v[0:1]
	s_and_saveexec_b64 s[4:5], s[2:3]
	s_cbranch_execz .LBB116_17
; %bb.14:
	v_mad_u64_u32 v[12:13], s[2:3], v8, 20, 19
	v_mov_b64_e32 v[0:1], 0
	s_mov_b64 s[2:3], 0
	v_mov_b32_e32 v15, 0
	v_mov_b64_e32 v[10:11], v[0:1]
.LBB116_15:                             ; =>This Inner Loop Header: Depth=1
	v_ashrrev_i32_e32 v9, 31, v8
	v_subrev_u32_e32 v14, 19, v12
	v_lshl_add_u64 v[30:31], v[8:9], 2, s[6:7]
	v_lshl_add_u64 v[32:33], v[14:15], 3, s[8:9]
	global_load_dword v9, v[30:31], off
	global_load_dwordx4 v[22:25], v[32:33], off offset:16
	global_load_dwordx4 v[26:29], v[32:33], off
	v_add_u32_e32 v18, -9, v12
	v_mov_b32_e32 v19, v15
	v_mov_b32_e32 v17, v15
	;; [unrolled: 1-line block ×3, first 2 shown]
	v_lshl_add_u64 v[18:19], v[18:19], 3, s[8:9]
	v_add_u32_e32 v14, -8, v12
	v_lshl_add_u64 v[34:35], v[12:13], 3, s[8:9]
	v_lshl_add_u64 v[30:31], v[14:15], 3, s[8:9]
	global_load_dwordx2 v[42:43], v[18:19], off
	global_load_dwordx2 v[44:45], v[34:35], off
	global_load_dwordx2 v[46:47], v[30:31], off
	v_add_u32_e32 v8, 4, v8
	v_cmp_ge_i32_e32 vcc, v8, v20
	s_or_b64 s[2:3], vcc, s[2:3]
	s_waitcnt vmcnt(5)
	v_subrev_u32_e32 v9, s12, v9
	v_mul_lo_u32 v16, v9, 10
	v_lshl_add_u64 v[18:19], v[16:17], 3, s[10:11]
	global_load_dwordx4 v[30:33], v[18:19], off
	v_add_u32_e32 v14, 2, v16
	v_lshl_add_u64 v[18:19], v[14:15], 3, s[10:11]
	v_add_u32_e32 v14, -7, v12
	global_load_dwordx4 v[34:37], v[18:19], off
	v_lshl_add_u64 v[18:19], v[14:15], 3, s[8:9]
	global_load_dwordx2 v[48:49], v[18:19], off
	v_add_u32_e32 v14, -6, v12
	v_lshl_add_u64 v[18:19], v[14:15], 3, s[8:9]
	v_add_u32_e32 v14, -15, v12
	v_lshl_add_u64 v[38:39], v[14:15], 3, s[8:9]
	v_add_u32_e32 v14, 4, v16
	global_load_dwordx2 v[50:51], v[18:19], off
	global_load_dwordx2 v[52:53], v[38:39], off
	v_lshl_add_u64 v[18:19], v[14:15], 3, s[10:11]
	v_add_u32_e32 v14, -5, v12
	global_load_dwordx4 v[38:41], v[18:19], off
	v_lshl_add_u64 v[18:19], v[14:15], 3, s[8:9]
	v_add_u32_e32 v14, -14, v12
	v_lshl_add_u64 v[54:55], v[14:15], 3, s[8:9]
	v_add_u32_e32 v14, -4, v12
	global_load_dwordx2 v[56:57], v[18:19], off
	s_waitcnt vmcnt(6)
	v_fmac_f64_e32 v[0:1], v[26:27], v[30:31]
	global_load_dwordx2 v[54:55], v[54:55], off
	v_lshl_add_u64 v[18:19], v[14:15], 3, s[8:9]
	v_add_u32_e32 v14, -13, v12
	v_lshl_add_u64 v[58:59], v[14:15], 3, s[8:9]
	v_add_u32_e32 v14, 6, v16
	global_load_dwordx2 v[60:61], v[18:19], off
	global_load_dwordx2 v[62:63], v[58:59], off
	v_lshl_add_u64 v[18:19], v[14:15], 3, s[10:11]
	v_add_u32_e32 v14, -3, v12
	v_lshl_add_u64 v[58:59], v[14:15], 3, s[8:9]
	v_add_u32_e32 v14, -12, v12
	v_fmac_f64_e32 v[0:1], v[28:29], v[32:33]
	v_fmac_f64_e32 v[10:11], v[42:43], v[30:31]
	global_load_dwordx4 v[26:29], v[18:19], off
	v_lshl_add_u64 v[18:19], v[14:15], 3, s[8:9]
	v_add_u32_e32 v14, -2, v12
	v_fmac_f64_e32 v[10:11], v[46:47], v[32:33]
	v_lshl_add_u64 v[32:33], v[14:15], 3, s[8:9]
	v_add_u32_e32 v14, -11, v12
	global_load_dwordx2 v[30:31], v[58:59], off
	global_load_dwordx2 v[42:43], v[18:19], off
	v_lshl_add_u64 v[18:19], v[14:15], 3, s[8:9]
	v_add_u32_e32 v14, 8, v16
	v_lshl_add_u64 v[16:17], v[14:15], 3, s[10:11]
	v_add_u32_e32 v14, -1, v12
	global_load_dwordx2 v[46:47], v[32:33], off
	global_load_dwordx2 v[58:59], v[18:19], off
	s_waitcnt vmcnt(13)
	v_fmac_f64_e32 v[0:1], v[22:23], v[34:35]
	global_load_dwordx4 v[16:19], v[16:17], off
	v_lshl_add_u64 v[22:23], v[14:15], 3, s[8:9]
	v_add_u32_e32 v14, -10, v12
	v_fmac_f64_e32 v[0:1], v[24:25], v[36:37]
	s_waitcnt vmcnt(13)
	v_fmac_f64_e32 v[10:11], v[48:49], v[34:35]
	v_lshl_add_u64 v[24:25], v[14:15], 3, s[8:9]
	global_load_dwordx2 v[32:33], v[22:23], off
	global_load_dwordx2 v[34:35], v[24:25], off
	s_waitcnt vmcnt(14)
	v_fmac_f64_e32 v[10:11], v[50:51], v[36:37]
	s_waitcnt vmcnt(12)
	v_fmac_f64_e32 v[0:1], v[52:53], v[38:39]
	;; [unrolled: 2-line block ×3, first 2 shown]
	v_add_u32_e32 v12, 0x50, v12
	s_waitcnt vmcnt(10)
	v_fmac_f64_e32 v[0:1], v[54:55], v[40:41]
	s_waitcnt vmcnt(9)
	v_fmac_f64_e32 v[10:11], v[60:61], v[40:41]
	;; [unrolled: 2-line block ×9, first 2 shown]
	v_fmac_f64_e32 v[10:11], v[44:45], v[18:19]
	s_andn2_b64 exec, exec, s[2:3]
	s_cbranch_execnz .LBB116_15
; %bb.16:
	s_or_b64 exec, exec, s[2:3]
.LBB116_17:
	s_or_b64 exec, exec, s[4:5]
.LBB116_18:
	v_mov_b32_dpp v8, v0 row_shr:1 row_mask:0xf bank_mask:0xf
	v_mov_b32_dpp v9, v1 row_shr:1 row_mask:0xf bank_mask:0xf
	;; [unrolled: 1-line block ×4, first 2 shown]
	v_add_f64 v[0:1], v[0:1], v[8:9]
	v_add_f64 v[10:11], v[10:11], v[12:13]
	v_cmp_eq_u32_e32 vcc, 3, v7
	v_mov_b32_dpp v8, v0 row_shr:2 row_mask:0xf bank_mask:0xf
	v_mov_b32_dpp v9, v1 row_shr:2 row_mask:0xf bank_mask:0xf
	;; [unrolled: 1-line block ×4, first 2 shown]
	s_and_b64 exec, exec, vcc
	s_cbranch_execz .LBB116_23
; %bb.19:
	s_load_dwordx2 s[0:1], s[0:1], 0x38
	v_add_f64 v[8:9], v[0:1], v[8:9]
	v_add_f64 v[0:1], v[10:11], v[12:13]
	v_cmp_eq_f64_e32 vcc, 0, v[4:5]
	s_and_saveexec_b64 s[2:3], vcc
	s_xor_b64 s[2:3], exec, s[2:3]
	s_cbranch_execz .LBB116_21
; %bb.20:
	v_lshlrev_b32_e32 v6, 1, v6
	v_ashrrev_i32_e32 v7, 31, v6
	v_mul_f64 v[4:5], v[2:3], v[8:9]
	s_waitcnt lgkmcnt(0)
	v_lshl_add_u64 v[8:9], v[6:7], 3, s[0:1]
	v_mul_f64 v[6:7], v[2:3], v[0:1]
	global_store_dwordx4 v[8:9], v[4:7], off
                                        ; implicit-def: $vgpr6
                                        ; implicit-def: $vgpr2_vgpr3
                                        ; implicit-def: $vgpr8_vgpr9
                                        ; implicit-def: $vgpr4_vgpr5
                                        ; implicit-def: $vgpr0_vgpr1
.LBB116_21:
	s_andn2_saveexec_b64 s[2:3], s[2:3]
	s_cbranch_execz .LBB116_23
; %bb.22:
	v_lshlrev_b32_e32 v6, 1, v6
	v_ashrrev_i32_e32 v7, 31, v6
	s_waitcnt lgkmcnt(0)
	v_lshl_add_u64 v[14:15], v[6:7], 3, s[0:1]
	global_load_dwordx4 v[10:13], v[14:15], off
	v_mul_f64 v[6:7], v[2:3], v[8:9]
	v_mul_f64 v[8:9], v[2:3], v[0:1]
	s_waitcnt vmcnt(0)
	v_fmac_f64_e32 v[6:7], v[4:5], v[10:11]
	v_fmac_f64_e32 v[8:9], v[4:5], v[12:13]
	global_store_dwordx4 v[14:15], v[6:9], off
.LBB116_23:
	s_endpgm
	.section	.rodata,"a",@progbits
	.p2align	6, 0x0
	.amdhsa_kernel _ZN9rocsparseL19gebsrmvn_2xn_kernelILj128ELj10ELj4EdEEvi20rocsparse_direction_NS_24const_host_device_scalarIT2_EEPKiS6_PKS3_S8_S4_PS3_21rocsparse_index_base_b
		.amdhsa_group_segment_fixed_size 0
		.amdhsa_private_segment_fixed_size 0
		.amdhsa_kernarg_size 72
		.amdhsa_user_sgpr_count 2
		.amdhsa_user_sgpr_dispatch_ptr 0
		.amdhsa_user_sgpr_queue_ptr 0
		.amdhsa_user_sgpr_kernarg_segment_ptr 1
		.amdhsa_user_sgpr_dispatch_id 0
		.amdhsa_user_sgpr_kernarg_preload_length 0
		.amdhsa_user_sgpr_kernarg_preload_offset 0
		.amdhsa_user_sgpr_private_segment_size 0
		.amdhsa_uses_dynamic_stack 0
		.amdhsa_enable_private_segment 0
		.amdhsa_system_sgpr_workgroup_id_x 1
		.amdhsa_system_sgpr_workgroup_id_y 0
		.amdhsa_system_sgpr_workgroup_id_z 0
		.amdhsa_system_sgpr_workgroup_info 0
		.amdhsa_system_vgpr_workitem_id 0
		.amdhsa_next_free_vgpr 68
		.amdhsa_next_free_sgpr 18
		.amdhsa_accum_offset 68
		.amdhsa_reserve_vcc 1
		.amdhsa_float_round_mode_32 0
		.amdhsa_float_round_mode_16_64 0
		.amdhsa_float_denorm_mode_32 3
		.amdhsa_float_denorm_mode_16_64 3
		.amdhsa_dx10_clamp 1
		.amdhsa_ieee_mode 1
		.amdhsa_fp16_overflow 0
		.amdhsa_tg_split 0
		.amdhsa_exception_fp_ieee_invalid_op 0
		.amdhsa_exception_fp_denorm_src 0
		.amdhsa_exception_fp_ieee_div_zero 0
		.amdhsa_exception_fp_ieee_overflow 0
		.amdhsa_exception_fp_ieee_underflow 0
		.amdhsa_exception_fp_ieee_inexact 0
		.amdhsa_exception_int_div_zero 0
	.end_amdhsa_kernel
	.section	.text._ZN9rocsparseL19gebsrmvn_2xn_kernelILj128ELj10ELj4EdEEvi20rocsparse_direction_NS_24const_host_device_scalarIT2_EEPKiS6_PKS3_S8_S4_PS3_21rocsparse_index_base_b,"axG",@progbits,_ZN9rocsparseL19gebsrmvn_2xn_kernelILj128ELj10ELj4EdEEvi20rocsparse_direction_NS_24const_host_device_scalarIT2_EEPKiS6_PKS3_S8_S4_PS3_21rocsparse_index_base_b,comdat
.Lfunc_end116:
	.size	_ZN9rocsparseL19gebsrmvn_2xn_kernelILj128ELj10ELj4EdEEvi20rocsparse_direction_NS_24const_host_device_scalarIT2_EEPKiS6_PKS3_S8_S4_PS3_21rocsparse_index_base_b, .Lfunc_end116-_ZN9rocsparseL19gebsrmvn_2xn_kernelILj128ELj10ELj4EdEEvi20rocsparse_direction_NS_24const_host_device_scalarIT2_EEPKiS6_PKS3_S8_S4_PS3_21rocsparse_index_base_b
                                        ; -- End function
	.section	.AMDGPU.csdata,"",@progbits
; Kernel info:
; codeLenInByte = 1712
; NumSgprs: 24
; NumVgprs: 68
; NumAgprs: 0
; TotalNumVgprs: 68
; ScratchSize: 0
; MemoryBound: 0
; FloatMode: 240
; IeeeMode: 1
; LDSByteSize: 0 bytes/workgroup (compile time only)
; SGPRBlocks: 2
; VGPRBlocks: 8
; NumSGPRsForWavesPerEU: 24
; NumVGPRsForWavesPerEU: 68
; AccumOffset: 68
; Occupancy: 7
; WaveLimiterHint : 1
; COMPUTE_PGM_RSRC2:SCRATCH_EN: 0
; COMPUTE_PGM_RSRC2:USER_SGPR: 2
; COMPUTE_PGM_RSRC2:TRAP_HANDLER: 0
; COMPUTE_PGM_RSRC2:TGID_X_EN: 1
; COMPUTE_PGM_RSRC2:TGID_Y_EN: 0
; COMPUTE_PGM_RSRC2:TGID_Z_EN: 0
; COMPUTE_PGM_RSRC2:TIDIG_COMP_CNT: 0
; COMPUTE_PGM_RSRC3_GFX90A:ACCUM_OFFSET: 16
; COMPUTE_PGM_RSRC3_GFX90A:TG_SPLIT: 0
	.section	.text._ZN9rocsparseL19gebsrmvn_2xn_kernelILj128ELj10ELj8EdEEvi20rocsparse_direction_NS_24const_host_device_scalarIT2_EEPKiS6_PKS3_S8_S4_PS3_21rocsparse_index_base_b,"axG",@progbits,_ZN9rocsparseL19gebsrmvn_2xn_kernelILj128ELj10ELj8EdEEvi20rocsparse_direction_NS_24const_host_device_scalarIT2_EEPKiS6_PKS3_S8_S4_PS3_21rocsparse_index_base_b,comdat
	.globl	_ZN9rocsparseL19gebsrmvn_2xn_kernelILj128ELj10ELj8EdEEvi20rocsparse_direction_NS_24const_host_device_scalarIT2_EEPKiS6_PKS3_S8_S4_PS3_21rocsparse_index_base_b ; -- Begin function _ZN9rocsparseL19gebsrmvn_2xn_kernelILj128ELj10ELj8EdEEvi20rocsparse_direction_NS_24const_host_device_scalarIT2_EEPKiS6_PKS3_S8_S4_PS3_21rocsparse_index_base_b
	.p2align	8
	.type	_ZN9rocsparseL19gebsrmvn_2xn_kernelILj128ELj10ELj8EdEEvi20rocsparse_direction_NS_24const_host_device_scalarIT2_EEPKiS6_PKS3_S8_S4_PS3_21rocsparse_index_base_b,@function
_ZN9rocsparseL19gebsrmvn_2xn_kernelILj128ELj10ELj8EdEEvi20rocsparse_direction_NS_24const_host_device_scalarIT2_EEPKiS6_PKS3_S8_S4_PS3_21rocsparse_index_base_b: ; @_ZN9rocsparseL19gebsrmvn_2xn_kernelILj128ELj10ELj8EdEEvi20rocsparse_direction_NS_24const_host_device_scalarIT2_EEPKiS6_PKS3_S8_S4_PS3_21rocsparse_index_base_b
; %bb.0:
	s_load_dwordx2 s[12:13], s[0:1], 0x40
	s_load_dwordx2 s[8:9], s[0:1], 0x8
	;; [unrolled: 1-line block ×3, first 2 shown]
	s_waitcnt lgkmcnt(0)
	s_bitcmp1_b32 s13, 0
	s_cselect_b64 s[10:11], -1, 0
	s_xor_b64 s[6:7], s[10:11], -1
	s_and_b64 vcc, exec, s[10:11]
	v_mov_b64_e32 v[2:3], s[8:9]
	s_cbranch_vccnz .LBB117_2
; %bb.1:
	v_mov_b64_e32 v[2:3], s[8:9]
	flat_load_dwordx2 v[2:3], v[2:3]
.LBB117_2:
	s_andn2_b64 vcc, exec, s[6:7]
	v_mov_b64_e32 v[4:5], s[4:5]
	s_cbranch_vccnz .LBB117_4
; %bb.3:
	v_mov_b64_e32 v[4:5], s[4:5]
	flat_load_dwordx2 v[4:5], v[4:5]
.LBB117_4:
	s_waitcnt vmcnt(0) lgkmcnt(0)
	v_cmp_neq_f64_e32 vcc, 0, v[2:3]
	v_cmp_neq_f64_e64 s[4:5], 1.0, v[4:5]
	s_or_b64 s[4:5], vcc, s[4:5]
	s_and_saveexec_b64 s[6:7], s[4:5]
	s_cbranch_execz .LBB117_23
; %bb.5:
	s_load_dwordx2 s[14:15], s[0:1], 0x0
	v_lshrrev_b32_e32 v1, 3, v0
	v_lshl_or_b32 v6, s2, 4, v1
	s_waitcnt lgkmcnt(0)
	v_cmp_gt_i32_e32 vcc, s14, v6
	s_and_b64 exec, exec, vcc
	s_cbranch_execz .LBB117_23
; %bb.6:
	s_load_dwordx8 s[4:11], s[0:1], 0x10
	v_ashrrev_i32_e32 v7, 31, v6
	s_cmp_lg_u32 s15, 0
	s_waitcnt lgkmcnt(0)
	v_lshl_add_u64 v[8:9], v[6:7], 2, s[4:5]
	global_load_dwordx2 v[8:9], v[8:9], off
	v_and_b32_e32 v7, 7, v0
	s_waitcnt vmcnt(0)
	v_subrev_u32_e32 v0, s12, v8
	v_subrev_u32_e32 v20, s12, v9
	v_add_u32_e32 v8, v0, v7
	v_cmp_lt_i32_e64 s[2:3], v8, v20
	s_cbranch_scc0 .LBB117_12
; %bb.7:
	v_mov_b64_e32 v[0:1], 0
	s_mov_b64 s[4:5], 0
	v_mov_b64_e32 v[10:11], v[0:1]
	s_and_saveexec_b64 s[14:15], s[2:3]
	s_cbranch_execz .LBB117_11
; %bb.8:
	v_mad_u64_u32 v[12:13], s[16:17], v8, 20, 18
	v_mov_b64_e32 v[0:1], 0
	s_mov_b64 s[16:17], 0
	v_mov_b32_e32 v15, 0
	v_mov_b32_e32 v16, v8
	v_mov_b64_e32 v[10:11], v[0:1]
.LBB117_9:                              ; =>This Inner Loop Header: Depth=1
	v_ashrrev_i32_e32 v17, 31, v16
	v_subrev_u32_e32 v14, 18, v12
	v_lshl_add_u64 v[30:31], v[16:17], 2, s[6:7]
	v_lshl_add_u64 v[32:33], v[14:15], 3, s[8:9]
	global_load_dword v9, v[30:31], off
	global_load_dwordx4 v[22:25], v[32:33], off offset:16
	global_load_dwordx4 v[26:29], v[32:33], off
	v_mov_b32_e32 v19, v15
	v_add_u32_e32 v14, -14, v12
	v_lshl_add_u64 v[30:31], v[14:15], 3, s[8:9]
	global_load_dwordx4 v[30:33], v[30:31], off
	v_mov_b32_e32 v13, v15
	v_lshl_add_u64 v[62:63], v[12:13], 3, s[8:9]
	v_add_u32_e32 v16, 8, v16
	v_cmp_ge_i32_e32 vcc, v16, v20
	s_or_b64 s[16:17], vcc, s[16:17]
	s_waitcnt vmcnt(3)
	v_subrev_u32_e32 v9, s12, v9
	v_mul_lo_u32 v18, v9, 10
	v_lshl_add_u64 v[34:35], v[18:19], 3, s[10:11]
	global_load_dwordx4 v[34:37], v[34:35], off
	v_add_u32_e32 v14, 2, v18
	v_lshl_add_u64 v[38:39], v[14:15], 3, s[10:11]
	global_load_dwordx4 v[38:41], v[38:39], off
	v_add_u32_e32 v14, -12, v12
	v_lshl_add_u64 v[42:43], v[14:15], 3, s[8:9]
	global_load_dwordx4 v[42:45], v[42:43], off
	v_add_u32_e32 v14, -10, v12
	v_lshl_add_u64 v[46:47], v[14:15], 3, s[8:9]
	global_load_dwordx4 v[46:49], v[46:47], off
	v_add_u32_e32 v14, 4, v18
	v_lshl_add_u64 v[50:51], v[14:15], 3, s[10:11]
	v_add_u32_e32 v14, -8, v12
	v_lshl_add_u64 v[54:55], v[14:15], 3, s[8:9]
	v_add_u32_e32 v14, -6, v12
	v_lshl_add_u64 v[58:59], v[14:15], 3, s[8:9]
	v_add_u32_e32 v14, 6, v18
	global_load_dwordx4 v[50:53], v[50:51], off
	s_waitcnt vmcnt(4)
	v_fmac_f64_e32 v[0:1], v[26:27], v[34:35]
	v_fmac_f64_e32 v[10:11], v[28:29], v[34:35]
	v_lshl_add_u64 v[34:35], v[14:15], 3, s[10:11]
	v_add_u32_e32 v14, -4, v12
	global_load_dwordx4 v[54:57], v[54:55], off
	v_lshl_add_u64 v[64:65], v[14:15], 3, s[8:9]
	global_load_dwordx4 v[26:29], v[58:59], off
	v_add_u32_e32 v14, -2, v12
	v_fmac_f64_e32 v[0:1], v[22:23], v[36:37]
	v_fmac_f64_e32 v[10:11], v[24:25], v[36:37]
	global_load_dwordx4 v[22:25], v[34:35], off
	v_lshl_add_u64 v[66:67], v[14:15], 3, s[8:9]
	v_add_u32_e32 v14, 8, v18
	v_lshl_add_u64 v[18:19], v[14:15], 3, s[10:11]
	global_load_dwordx4 v[34:37], v[64:65], off
	global_load_dwordx4 v[58:61], v[66:67], off
	s_waitcnt vmcnt(8)
	v_fmac_f64_e32 v[0:1], v[30:31], v[38:39]
	v_fmac_f64_e32 v[10:11], v[32:33], v[38:39]
	global_load_dwordx4 v[30:33], v[18:19], off
	s_waitcnt vmcnt(8)
	v_fmac_f64_e32 v[0:1], v[42:43], v[40:41]
	v_fmac_f64_e32 v[10:11], v[44:45], v[40:41]
	global_load_dwordx4 v[38:41], v[62:63], off
	s_waitcnt vmcnt(7)
	v_fmac_f64_e32 v[0:1], v[46:47], v[50:51]
	v_fmac_f64_e32 v[10:11], v[48:49], v[50:51]
	v_add_u32_e32 v12, 0xa0, v12
	s_waitcnt vmcnt(6)
	v_fmac_f64_e32 v[0:1], v[54:55], v[52:53]
	v_fmac_f64_e32 v[10:11], v[56:57], v[52:53]
	s_waitcnt vmcnt(4)
	v_fmac_f64_e32 v[0:1], v[26:27], v[22:23]
	v_fmac_f64_e32 v[10:11], v[28:29], v[22:23]
	;; [unrolled: 3-line block ×5, first 2 shown]
	s_andn2_b64 exec, exec, s[16:17]
	s_cbranch_execnz .LBB117_9
; %bb.10:
	s_or_b64 exec, exec, s[16:17]
.LBB117_11:
	s_or_b64 exec, exec, s[14:15]
	s_andn2_b64 vcc, exec, s[4:5]
	s_cbranch_vccz .LBB117_13
	s_branch .LBB117_18
.LBB117_12:
                                        ; implicit-def: $vgpr0_vgpr1
                                        ; implicit-def: $vgpr10_vgpr11
.LBB117_13:
	v_mov_b64_e32 v[0:1], 0
	v_mov_b64_e32 v[10:11], v[0:1]
	s_and_saveexec_b64 s[4:5], s[2:3]
	s_cbranch_execz .LBB117_17
; %bb.14:
	v_mad_u64_u32 v[12:13], s[2:3], v8, 20, 19
	v_mov_b64_e32 v[0:1], 0
	s_mov_b64 s[2:3], 0
	v_mov_b32_e32 v15, 0
	v_mov_b64_e32 v[10:11], v[0:1]
.LBB117_15:                             ; =>This Inner Loop Header: Depth=1
	v_ashrrev_i32_e32 v9, 31, v8
	v_subrev_u32_e32 v14, 19, v12
	v_lshl_add_u64 v[30:31], v[8:9], 2, s[6:7]
	v_lshl_add_u64 v[32:33], v[14:15], 3, s[8:9]
	global_load_dword v9, v[30:31], off
	global_load_dwordx4 v[22:25], v[32:33], off offset:16
	global_load_dwordx4 v[26:29], v[32:33], off
	v_add_u32_e32 v18, -9, v12
	v_mov_b32_e32 v19, v15
	v_mov_b32_e32 v17, v15
	;; [unrolled: 1-line block ×3, first 2 shown]
	v_lshl_add_u64 v[18:19], v[18:19], 3, s[8:9]
	v_add_u32_e32 v14, -8, v12
	v_lshl_add_u64 v[34:35], v[12:13], 3, s[8:9]
	v_lshl_add_u64 v[30:31], v[14:15], 3, s[8:9]
	global_load_dwordx2 v[42:43], v[18:19], off
	global_load_dwordx2 v[44:45], v[34:35], off
	;; [unrolled: 1-line block ×3, first 2 shown]
	v_add_u32_e32 v8, 8, v8
	v_cmp_ge_i32_e32 vcc, v8, v20
	s_or_b64 s[2:3], vcc, s[2:3]
	s_waitcnt vmcnt(5)
	v_subrev_u32_e32 v9, s12, v9
	v_mul_lo_u32 v16, v9, 10
	v_lshl_add_u64 v[18:19], v[16:17], 3, s[10:11]
	global_load_dwordx4 v[30:33], v[18:19], off
	v_add_u32_e32 v14, 2, v16
	v_lshl_add_u64 v[18:19], v[14:15], 3, s[10:11]
	v_add_u32_e32 v14, -7, v12
	global_load_dwordx4 v[34:37], v[18:19], off
	v_lshl_add_u64 v[18:19], v[14:15], 3, s[8:9]
	global_load_dwordx2 v[48:49], v[18:19], off
	v_add_u32_e32 v14, -6, v12
	v_lshl_add_u64 v[18:19], v[14:15], 3, s[8:9]
	v_add_u32_e32 v14, -15, v12
	v_lshl_add_u64 v[38:39], v[14:15], 3, s[8:9]
	v_add_u32_e32 v14, 4, v16
	global_load_dwordx2 v[50:51], v[18:19], off
	global_load_dwordx2 v[52:53], v[38:39], off
	v_lshl_add_u64 v[18:19], v[14:15], 3, s[10:11]
	v_add_u32_e32 v14, -5, v12
	global_load_dwordx4 v[38:41], v[18:19], off
	v_lshl_add_u64 v[18:19], v[14:15], 3, s[8:9]
	v_add_u32_e32 v14, -14, v12
	v_lshl_add_u64 v[54:55], v[14:15], 3, s[8:9]
	v_add_u32_e32 v14, -4, v12
	global_load_dwordx2 v[56:57], v[18:19], off
	s_waitcnt vmcnt(6)
	v_fmac_f64_e32 v[0:1], v[26:27], v[30:31]
	global_load_dwordx2 v[54:55], v[54:55], off
	v_lshl_add_u64 v[18:19], v[14:15], 3, s[8:9]
	v_add_u32_e32 v14, -13, v12
	v_lshl_add_u64 v[58:59], v[14:15], 3, s[8:9]
	v_add_u32_e32 v14, 6, v16
	global_load_dwordx2 v[60:61], v[18:19], off
	global_load_dwordx2 v[62:63], v[58:59], off
	v_lshl_add_u64 v[18:19], v[14:15], 3, s[10:11]
	v_add_u32_e32 v14, -3, v12
	v_lshl_add_u64 v[58:59], v[14:15], 3, s[8:9]
	v_add_u32_e32 v14, -12, v12
	v_fmac_f64_e32 v[0:1], v[28:29], v[32:33]
	v_fmac_f64_e32 v[10:11], v[42:43], v[30:31]
	global_load_dwordx4 v[26:29], v[18:19], off
	v_lshl_add_u64 v[18:19], v[14:15], 3, s[8:9]
	v_add_u32_e32 v14, -2, v12
	v_fmac_f64_e32 v[10:11], v[46:47], v[32:33]
	v_lshl_add_u64 v[32:33], v[14:15], 3, s[8:9]
	v_add_u32_e32 v14, -11, v12
	global_load_dwordx2 v[30:31], v[58:59], off
	global_load_dwordx2 v[42:43], v[18:19], off
	v_lshl_add_u64 v[18:19], v[14:15], 3, s[8:9]
	v_add_u32_e32 v14, 8, v16
	v_lshl_add_u64 v[16:17], v[14:15], 3, s[10:11]
	v_add_u32_e32 v14, -1, v12
	global_load_dwordx2 v[46:47], v[32:33], off
	global_load_dwordx2 v[58:59], v[18:19], off
	s_waitcnt vmcnt(13)
	v_fmac_f64_e32 v[0:1], v[22:23], v[34:35]
	global_load_dwordx4 v[16:19], v[16:17], off
	v_lshl_add_u64 v[22:23], v[14:15], 3, s[8:9]
	v_add_u32_e32 v14, -10, v12
	v_fmac_f64_e32 v[0:1], v[24:25], v[36:37]
	s_waitcnt vmcnt(13)
	v_fmac_f64_e32 v[10:11], v[48:49], v[34:35]
	v_lshl_add_u64 v[24:25], v[14:15], 3, s[8:9]
	global_load_dwordx2 v[32:33], v[22:23], off
	global_load_dwordx2 v[34:35], v[24:25], off
	s_waitcnt vmcnt(14)
	v_fmac_f64_e32 v[10:11], v[50:51], v[36:37]
	s_waitcnt vmcnt(12)
	v_fmac_f64_e32 v[0:1], v[52:53], v[38:39]
	s_waitcnt vmcnt(11)
	v_fmac_f64_e32 v[10:11], v[56:57], v[38:39]
	v_add_u32_e32 v12, 0xa0, v12
	s_waitcnt vmcnt(10)
	v_fmac_f64_e32 v[0:1], v[54:55], v[40:41]
	s_waitcnt vmcnt(9)
	v_fmac_f64_e32 v[10:11], v[60:61], v[40:41]
	;; [unrolled: 2-line block ×9, first 2 shown]
	v_fmac_f64_e32 v[10:11], v[44:45], v[18:19]
	s_andn2_b64 exec, exec, s[2:3]
	s_cbranch_execnz .LBB117_15
; %bb.16:
	s_or_b64 exec, exec, s[2:3]
.LBB117_17:
	s_or_b64 exec, exec, s[4:5]
.LBB117_18:
	v_mov_b32_dpp v8, v0 row_shr:1 row_mask:0xf bank_mask:0xf
	v_mov_b32_dpp v9, v1 row_shr:1 row_mask:0xf bank_mask:0xf
	;; [unrolled: 1-line block ×4, first 2 shown]
	v_add_f64 v[0:1], v[0:1], v[8:9]
	v_add_f64 v[10:11], v[10:11], v[12:13]
	v_cmp_eq_u32_e32 vcc, 7, v7
	v_mov_b32_dpp v8, v0 row_shr:2 row_mask:0xf bank_mask:0xf
	v_mov_b32_dpp v9, v1 row_shr:2 row_mask:0xf bank_mask:0xf
	;; [unrolled: 1-line block ×4, first 2 shown]
	v_add_f64 v[0:1], v[0:1], v[8:9]
	v_add_f64 v[10:11], v[10:11], v[12:13]
	s_nop 0
	v_mov_b32_dpp v8, v0 row_shr:4 row_mask:0xf bank_mask:0xe
	v_mov_b32_dpp v9, v1 row_shr:4 row_mask:0xf bank_mask:0xe
	;; [unrolled: 1-line block ×4, first 2 shown]
	s_and_b64 exec, exec, vcc
	s_cbranch_execz .LBB117_23
; %bb.19:
	s_load_dwordx2 s[0:1], s[0:1], 0x38
	v_add_f64 v[8:9], v[0:1], v[8:9]
	v_add_f64 v[0:1], v[10:11], v[12:13]
	v_cmp_eq_f64_e32 vcc, 0, v[4:5]
	s_and_saveexec_b64 s[2:3], vcc
	s_xor_b64 s[2:3], exec, s[2:3]
	s_cbranch_execz .LBB117_21
; %bb.20:
	v_lshlrev_b32_e32 v6, 1, v6
	v_ashrrev_i32_e32 v7, 31, v6
	v_mul_f64 v[4:5], v[2:3], v[8:9]
	s_waitcnt lgkmcnt(0)
	v_lshl_add_u64 v[8:9], v[6:7], 3, s[0:1]
	v_mul_f64 v[6:7], v[2:3], v[0:1]
	global_store_dwordx4 v[8:9], v[4:7], off
                                        ; implicit-def: $vgpr6
                                        ; implicit-def: $vgpr2_vgpr3
                                        ; implicit-def: $vgpr8_vgpr9
                                        ; implicit-def: $vgpr4_vgpr5
                                        ; implicit-def: $vgpr0_vgpr1
.LBB117_21:
	s_andn2_saveexec_b64 s[2:3], s[2:3]
	s_cbranch_execz .LBB117_23
; %bb.22:
	v_lshlrev_b32_e32 v6, 1, v6
	v_ashrrev_i32_e32 v7, 31, v6
	s_waitcnt lgkmcnt(0)
	v_lshl_add_u64 v[14:15], v[6:7], 3, s[0:1]
	global_load_dwordx4 v[10:13], v[14:15], off
	v_mul_f64 v[6:7], v[2:3], v[8:9]
	v_mul_f64 v[8:9], v[2:3], v[0:1]
	s_waitcnt vmcnt(0)
	v_fmac_f64_e32 v[6:7], v[4:5], v[10:11]
	v_fmac_f64_e32 v[8:9], v[4:5], v[12:13]
	global_store_dwordx4 v[14:15], v[6:9], off
.LBB117_23:
	s_endpgm
	.section	.rodata,"a",@progbits
	.p2align	6, 0x0
	.amdhsa_kernel _ZN9rocsparseL19gebsrmvn_2xn_kernelILj128ELj10ELj8EdEEvi20rocsparse_direction_NS_24const_host_device_scalarIT2_EEPKiS6_PKS3_S8_S4_PS3_21rocsparse_index_base_b
		.amdhsa_group_segment_fixed_size 0
		.amdhsa_private_segment_fixed_size 0
		.amdhsa_kernarg_size 72
		.amdhsa_user_sgpr_count 2
		.amdhsa_user_sgpr_dispatch_ptr 0
		.amdhsa_user_sgpr_queue_ptr 0
		.amdhsa_user_sgpr_kernarg_segment_ptr 1
		.amdhsa_user_sgpr_dispatch_id 0
		.amdhsa_user_sgpr_kernarg_preload_length 0
		.amdhsa_user_sgpr_kernarg_preload_offset 0
		.amdhsa_user_sgpr_private_segment_size 0
		.amdhsa_uses_dynamic_stack 0
		.amdhsa_enable_private_segment 0
		.amdhsa_system_sgpr_workgroup_id_x 1
		.amdhsa_system_sgpr_workgroup_id_y 0
		.amdhsa_system_sgpr_workgroup_id_z 0
		.amdhsa_system_sgpr_workgroup_info 0
		.amdhsa_system_vgpr_workitem_id 0
		.amdhsa_next_free_vgpr 68
		.amdhsa_next_free_sgpr 18
		.amdhsa_accum_offset 68
		.amdhsa_reserve_vcc 1
		.amdhsa_float_round_mode_32 0
		.amdhsa_float_round_mode_16_64 0
		.amdhsa_float_denorm_mode_32 3
		.amdhsa_float_denorm_mode_16_64 3
		.amdhsa_dx10_clamp 1
		.amdhsa_ieee_mode 1
		.amdhsa_fp16_overflow 0
		.amdhsa_tg_split 0
		.amdhsa_exception_fp_ieee_invalid_op 0
		.amdhsa_exception_fp_denorm_src 0
		.amdhsa_exception_fp_ieee_div_zero 0
		.amdhsa_exception_fp_ieee_overflow 0
		.amdhsa_exception_fp_ieee_underflow 0
		.amdhsa_exception_fp_ieee_inexact 0
		.amdhsa_exception_int_div_zero 0
	.end_amdhsa_kernel
	.section	.text._ZN9rocsparseL19gebsrmvn_2xn_kernelILj128ELj10ELj8EdEEvi20rocsparse_direction_NS_24const_host_device_scalarIT2_EEPKiS6_PKS3_S8_S4_PS3_21rocsparse_index_base_b,"axG",@progbits,_ZN9rocsparseL19gebsrmvn_2xn_kernelILj128ELj10ELj8EdEEvi20rocsparse_direction_NS_24const_host_device_scalarIT2_EEPKiS6_PKS3_S8_S4_PS3_21rocsparse_index_base_b,comdat
.Lfunc_end117:
	.size	_ZN9rocsparseL19gebsrmvn_2xn_kernelILj128ELj10ELj8EdEEvi20rocsparse_direction_NS_24const_host_device_scalarIT2_EEPKiS6_PKS3_S8_S4_PS3_21rocsparse_index_base_b, .Lfunc_end117-_ZN9rocsparseL19gebsrmvn_2xn_kernelILj128ELj10ELj8EdEEvi20rocsparse_direction_NS_24const_host_device_scalarIT2_EEPKiS6_PKS3_S8_S4_PS3_21rocsparse_index_base_b
                                        ; -- End function
	.section	.AMDGPU.csdata,"",@progbits
; Kernel info:
; codeLenInByte = 1764
; NumSgprs: 24
; NumVgprs: 68
; NumAgprs: 0
; TotalNumVgprs: 68
; ScratchSize: 0
; MemoryBound: 0
; FloatMode: 240
; IeeeMode: 1
; LDSByteSize: 0 bytes/workgroup (compile time only)
; SGPRBlocks: 2
; VGPRBlocks: 8
; NumSGPRsForWavesPerEU: 24
; NumVGPRsForWavesPerEU: 68
; AccumOffset: 68
; Occupancy: 7
; WaveLimiterHint : 1
; COMPUTE_PGM_RSRC2:SCRATCH_EN: 0
; COMPUTE_PGM_RSRC2:USER_SGPR: 2
; COMPUTE_PGM_RSRC2:TRAP_HANDLER: 0
; COMPUTE_PGM_RSRC2:TGID_X_EN: 1
; COMPUTE_PGM_RSRC2:TGID_Y_EN: 0
; COMPUTE_PGM_RSRC2:TGID_Z_EN: 0
; COMPUTE_PGM_RSRC2:TIDIG_COMP_CNT: 0
; COMPUTE_PGM_RSRC3_GFX90A:ACCUM_OFFSET: 16
; COMPUTE_PGM_RSRC3_GFX90A:TG_SPLIT: 0
	.section	.text._ZN9rocsparseL19gebsrmvn_2xn_kernelILj128ELj10ELj16EdEEvi20rocsparse_direction_NS_24const_host_device_scalarIT2_EEPKiS6_PKS3_S8_S4_PS3_21rocsparse_index_base_b,"axG",@progbits,_ZN9rocsparseL19gebsrmvn_2xn_kernelILj128ELj10ELj16EdEEvi20rocsparse_direction_NS_24const_host_device_scalarIT2_EEPKiS6_PKS3_S8_S4_PS3_21rocsparse_index_base_b,comdat
	.globl	_ZN9rocsparseL19gebsrmvn_2xn_kernelILj128ELj10ELj16EdEEvi20rocsparse_direction_NS_24const_host_device_scalarIT2_EEPKiS6_PKS3_S8_S4_PS3_21rocsparse_index_base_b ; -- Begin function _ZN9rocsparseL19gebsrmvn_2xn_kernelILj128ELj10ELj16EdEEvi20rocsparse_direction_NS_24const_host_device_scalarIT2_EEPKiS6_PKS3_S8_S4_PS3_21rocsparse_index_base_b
	.p2align	8
	.type	_ZN9rocsparseL19gebsrmvn_2xn_kernelILj128ELj10ELj16EdEEvi20rocsparse_direction_NS_24const_host_device_scalarIT2_EEPKiS6_PKS3_S8_S4_PS3_21rocsparse_index_base_b,@function
_ZN9rocsparseL19gebsrmvn_2xn_kernelILj128ELj10ELj16EdEEvi20rocsparse_direction_NS_24const_host_device_scalarIT2_EEPKiS6_PKS3_S8_S4_PS3_21rocsparse_index_base_b: ; @_ZN9rocsparseL19gebsrmvn_2xn_kernelILj128ELj10ELj16EdEEvi20rocsparse_direction_NS_24const_host_device_scalarIT2_EEPKiS6_PKS3_S8_S4_PS3_21rocsparse_index_base_b
; %bb.0:
	s_load_dwordx2 s[12:13], s[0:1], 0x40
	s_load_dwordx2 s[8:9], s[0:1], 0x8
	;; [unrolled: 1-line block ×3, first 2 shown]
	s_waitcnt lgkmcnt(0)
	s_bitcmp1_b32 s13, 0
	s_cselect_b64 s[10:11], -1, 0
	s_xor_b64 s[6:7], s[10:11], -1
	s_and_b64 vcc, exec, s[10:11]
	v_mov_b64_e32 v[2:3], s[8:9]
	s_cbranch_vccnz .LBB118_2
; %bb.1:
	v_mov_b64_e32 v[2:3], s[8:9]
	flat_load_dwordx2 v[2:3], v[2:3]
.LBB118_2:
	s_andn2_b64 vcc, exec, s[6:7]
	v_mov_b64_e32 v[4:5], s[4:5]
	s_cbranch_vccnz .LBB118_4
; %bb.3:
	v_mov_b64_e32 v[4:5], s[4:5]
	flat_load_dwordx2 v[4:5], v[4:5]
.LBB118_4:
	s_waitcnt vmcnt(0) lgkmcnt(0)
	v_cmp_neq_f64_e32 vcc, 0, v[2:3]
	v_cmp_neq_f64_e64 s[4:5], 1.0, v[4:5]
	s_or_b64 s[4:5], vcc, s[4:5]
	s_and_saveexec_b64 s[6:7], s[4:5]
	s_cbranch_execz .LBB118_23
; %bb.5:
	s_load_dwordx2 s[14:15], s[0:1], 0x0
	v_lshrrev_b32_e32 v1, 4, v0
	v_lshl_or_b32 v6, s2, 3, v1
	s_waitcnt lgkmcnt(0)
	v_cmp_gt_i32_e32 vcc, s14, v6
	s_and_b64 exec, exec, vcc
	s_cbranch_execz .LBB118_23
; %bb.6:
	s_load_dwordx8 s[4:11], s[0:1], 0x10
	v_ashrrev_i32_e32 v7, 31, v6
	s_cmp_lg_u32 s15, 0
	s_waitcnt lgkmcnt(0)
	v_lshl_add_u64 v[8:9], v[6:7], 2, s[4:5]
	global_load_dwordx2 v[8:9], v[8:9], off
	v_and_b32_e32 v7, 15, v0
	s_waitcnt vmcnt(0)
	v_subrev_u32_e32 v0, s12, v8
	v_subrev_u32_e32 v20, s12, v9
	v_add_u32_e32 v10, v0, v7
	v_cmp_lt_i32_e64 s[2:3], v10, v20
	s_cbranch_scc0 .LBB118_12
; %bb.7:
	v_mov_b64_e32 v[0:1], 0
	s_mov_b64 s[4:5], 0
	v_mov_b64_e32 v[8:9], v[0:1]
	s_and_saveexec_b64 s[14:15], s[2:3]
	s_cbranch_execz .LBB118_11
; %bb.8:
	v_mad_u64_u32 v[12:13], s[16:17], v10, 20, 18
	v_mov_b64_e32 v[0:1], 0
	s_mov_b64 s[16:17], 0
	v_mov_b32_e32 v15, 0
	v_mov_b32_e32 v16, v10
	v_mov_b64_e32 v[8:9], v[0:1]
.LBB118_9:                              ; =>This Inner Loop Header: Depth=1
	v_ashrrev_i32_e32 v17, 31, v16
	v_subrev_u32_e32 v14, 18, v12
	v_lshl_add_u64 v[30:31], v[16:17], 2, s[6:7]
	v_lshl_add_u64 v[32:33], v[14:15], 3, s[8:9]
	global_load_dword v11, v[30:31], off
	global_load_dwordx4 v[22:25], v[32:33], off offset:16
	global_load_dwordx4 v[26:29], v[32:33], off
	v_mov_b32_e32 v19, v15
	v_add_u32_e32 v14, -14, v12
	v_lshl_add_u64 v[30:31], v[14:15], 3, s[8:9]
	global_load_dwordx4 v[30:33], v[30:31], off
	v_mov_b32_e32 v13, v15
	v_lshl_add_u64 v[62:63], v[12:13], 3, s[8:9]
	v_add_u32_e32 v16, 16, v16
	v_cmp_ge_i32_e32 vcc, v16, v20
	s_or_b64 s[16:17], vcc, s[16:17]
	s_waitcnt vmcnt(3)
	v_subrev_u32_e32 v11, s12, v11
	v_mul_lo_u32 v18, v11, 10
	v_lshl_add_u64 v[34:35], v[18:19], 3, s[10:11]
	global_load_dwordx4 v[34:37], v[34:35], off
	v_add_u32_e32 v14, 2, v18
	v_lshl_add_u64 v[38:39], v[14:15], 3, s[10:11]
	global_load_dwordx4 v[38:41], v[38:39], off
	v_add_u32_e32 v14, -12, v12
	v_lshl_add_u64 v[42:43], v[14:15], 3, s[8:9]
	global_load_dwordx4 v[42:45], v[42:43], off
	v_add_u32_e32 v14, -10, v12
	v_lshl_add_u64 v[46:47], v[14:15], 3, s[8:9]
	global_load_dwordx4 v[46:49], v[46:47], off
	v_add_u32_e32 v14, 4, v18
	v_lshl_add_u64 v[50:51], v[14:15], 3, s[10:11]
	v_add_u32_e32 v14, -8, v12
	v_lshl_add_u64 v[54:55], v[14:15], 3, s[8:9]
	v_add_u32_e32 v14, -6, v12
	v_lshl_add_u64 v[58:59], v[14:15], 3, s[8:9]
	v_add_u32_e32 v14, 6, v18
	global_load_dwordx4 v[50:53], v[50:51], off
	s_waitcnt vmcnt(4)
	v_fmac_f64_e32 v[0:1], v[26:27], v[34:35]
	v_fmac_f64_e32 v[8:9], v[28:29], v[34:35]
	v_lshl_add_u64 v[34:35], v[14:15], 3, s[10:11]
	v_add_u32_e32 v14, -4, v12
	global_load_dwordx4 v[54:57], v[54:55], off
	v_lshl_add_u64 v[64:65], v[14:15], 3, s[8:9]
	global_load_dwordx4 v[26:29], v[58:59], off
	v_add_u32_e32 v14, -2, v12
	v_fmac_f64_e32 v[0:1], v[22:23], v[36:37]
	v_fmac_f64_e32 v[8:9], v[24:25], v[36:37]
	global_load_dwordx4 v[22:25], v[34:35], off
	v_lshl_add_u64 v[66:67], v[14:15], 3, s[8:9]
	v_add_u32_e32 v14, 8, v18
	v_lshl_add_u64 v[18:19], v[14:15], 3, s[10:11]
	global_load_dwordx4 v[34:37], v[64:65], off
	global_load_dwordx4 v[58:61], v[66:67], off
	s_waitcnt vmcnt(8)
	v_fmac_f64_e32 v[0:1], v[30:31], v[38:39]
	v_fmac_f64_e32 v[8:9], v[32:33], v[38:39]
	global_load_dwordx4 v[30:33], v[18:19], off
	s_waitcnt vmcnt(8)
	v_fmac_f64_e32 v[0:1], v[42:43], v[40:41]
	v_fmac_f64_e32 v[8:9], v[44:45], v[40:41]
	;; [unrolled: 4-line block ×3, first 2 shown]
	v_add_u32_e32 v12, 0x140, v12
	s_waitcnt vmcnt(6)
	v_fmac_f64_e32 v[0:1], v[54:55], v[52:53]
	v_fmac_f64_e32 v[8:9], v[56:57], v[52:53]
	s_waitcnt vmcnt(4)
	v_fmac_f64_e32 v[0:1], v[26:27], v[22:23]
	v_fmac_f64_e32 v[8:9], v[28:29], v[22:23]
	;; [unrolled: 3-line block ×5, first 2 shown]
	s_andn2_b64 exec, exec, s[16:17]
	s_cbranch_execnz .LBB118_9
; %bb.10:
	s_or_b64 exec, exec, s[16:17]
.LBB118_11:
	s_or_b64 exec, exec, s[14:15]
	s_andn2_b64 vcc, exec, s[4:5]
	s_cbranch_vccz .LBB118_13
	s_branch .LBB118_18
.LBB118_12:
                                        ; implicit-def: $vgpr0_vgpr1
                                        ; implicit-def: $vgpr8_vgpr9
.LBB118_13:
	v_mov_b64_e32 v[0:1], 0
	v_mov_b64_e32 v[8:9], v[0:1]
	s_and_saveexec_b64 s[4:5], s[2:3]
	s_cbranch_execz .LBB118_17
; %bb.14:
	v_mad_u64_u32 v[12:13], s[2:3], v10, 20, 19
	v_mov_b64_e32 v[0:1], 0
	s_mov_b64 s[2:3], 0
	v_mov_b32_e32 v15, 0
	v_mov_b64_e32 v[8:9], v[0:1]
.LBB118_15:                             ; =>This Inner Loop Header: Depth=1
	v_ashrrev_i32_e32 v11, 31, v10
	v_subrev_u32_e32 v14, 19, v12
	v_lshl_add_u64 v[30:31], v[10:11], 2, s[6:7]
	v_lshl_add_u64 v[32:33], v[14:15], 3, s[8:9]
	global_load_dword v11, v[30:31], off
	global_load_dwordx4 v[22:25], v[32:33], off offset:16
	global_load_dwordx4 v[26:29], v[32:33], off
	v_add_u32_e32 v18, -9, v12
	v_mov_b32_e32 v19, v15
	v_mov_b32_e32 v17, v15
	;; [unrolled: 1-line block ×3, first 2 shown]
	v_lshl_add_u64 v[18:19], v[18:19], 3, s[8:9]
	v_add_u32_e32 v14, -8, v12
	v_lshl_add_u64 v[34:35], v[12:13], 3, s[8:9]
	v_lshl_add_u64 v[30:31], v[14:15], 3, s[8:9]
	global_load_dwordx2 v[42:43], v[18:19], off
	global_load_dwordx2 v[44:45], v[34:35], off
	;; [unrolled: 1-line block ×3, first 2 shown]
	v_add_u32_e32 v10, 16, v10
	v_cmp_ge_i32_e32 vcc, v10, v20
	s_or_b64 s[2:3], vcc, s[2:3]
	s_waitcnt vmcnt(5)
	v_subrev_u32_e32 v11, s12, v11
	v_mul_lo_u32 v16, v11, 10
	v_lshl_add_u64 v[18:19], v[16:17], 3, s[10:11]
	global_load_dwordx4 v[30:33], v[18:19], off
	v_add_u32_e32 v14, 2, v16
	v_lshl_add_u64 v[18:19], v[14:15], 3, s[10:11]
	v_add_u32_e32 v14, -7, v12
	global_load_dwordx4 v[34:37], v[18:19], off
	v_lshl_add_u64 v[18:19], v[14:15], 3, s[8:9]
	global_load_dwordx2 v[48:49], v[18:19], off
	v_add_u32_e32 v14, -6, v12
	v_lshl_add_u64 v[18:19], v[14:15], 3, s[8:9]
	v_add_u32_e32 v14, -15, v12
	v_lshl_add_u64 v[38:39], v[14:15], 3, s[8:9]
	v_add_u32_e32 v14, 4, v16
	global_load_dwordx2 v[50:51], v[18:19], off
	global_load_dwordx2 v[52:53], v[38:39], off
	v_lshl_add_u64 v[18:19], v[14:15], 3, s[10:11]
	v_add_u32_e32 v14, -5, v12
	global_load_dwordx4 v[38:41], v[18:19], off
	v_lshl_add_u64 v[18:19], v[14:15], 3, s[8:9]
	v_add_u32_e32 v14, -14, v12
	v_lshl_add_u64 v[54:55], v[14:15], 3, s[8:9]
	v_add_u32_e32 v14, -4, v12
	global_load_dwordx2 v[56:57], v[18:19], off
	s_waitcnt vmcnt(6)
	v_fmac_f64_e32 v[0:1], v[26:27], v[30:31]
	global_load_dwordx2 v[54:55], v[54:55], off
	v_lshl_add_u64 v[18:19], v[14:15], 3, s[8:9]
	v_add_u32_e32 v14, -13, v12
	v_lshl_add_u64 v[58:59], v[14:15], 3, s[8:9]
	v_add_u32_e32 v14, 6, v16
	global_load_dwordx2 v[60:61], v[18:19], off
	global_load_dwordx2 v[62:63], v[58:59], off
	v_lshl_add_u64 v[18:19], v[14:15], 3, s[10:11]
	v_add_u32_e32 v14, -3, v12
	v_lshl_add_u64 v[58:59], v[14:15], 3, s[8:9]
	v_add_u32_e32 v14, -12, v12
	v_fmac_f64_e32 v[0:1], v[28:29], v[32:33]
	v_fmac_f64_e32 v[8:9], v[42:43], v[30:31]
	global_load_dwordx4 v[26:29], v[18:19], off
	v_lshl_add_u64 v[18:19], v[14:15], 3, s[8:9]
	v_add_u32_e32 v14, -2, v12
	v_fmac_f64_e32 v[8:9], v[46:47], v[32:33]
	v_lshl_add_u64 v[32:33], v[14:15], 3, s[8:9]
	v_add_u32_e32 v14, -11, v12
	global_load_dwordx2 v[30:31], v[58:59], off
	global_load_dwordx2 v[42:43], v[18:19], off
	v_lshl_add_u64 v[18:19], v[14:15], 3, s[8:9]
	v_add_u32_e32 v14, 8, v16
	v_lshl_add_u64 v[16:17], v[14:15], 3, s[10:11]
	v_add_u32_e32 v14, -1, v12
	global_load_dwordx2 v[46:47], v[32:33], off
	global_load_dwordx2 v[58:59], v[18:19], off
	s_waitcnt vmcnt(13)
	v_fmac_f64_e32 v[0:1], v[22:23], v[34:35]
	global_load_dwordx4 v[16:19], v[16:17], off
	v_lshl_add_u64 v[22:23], v[14:15], 3, s[8:9]
	v_add_u32_e32 v14, -10, v12
	v_fmac_f64_e32 v[0:1], v[24:25], v[36:37]
	s_waitcnt vmcnt(13)
	v_fmac_f64_e32 v[8:9], v[48:49], v[34:35]
	v_lshl_add_u64 v[24:25], v[14:15], 3, s[8:9]
	global_load_dwordx2 v[32:33], v[22:23], off
	global_load_dwordx2 v[34:35], v[24:25], off
	s_waitcnt vmcnt(14)
	v_fmac_f64_e32 v[8:9], v[50:51], v[36:37]
	s_waitcnt vmcnt(12)
	v_fmac_f64_e32 v[0:1], v[52:53], v[38:39]
	;; [unrolled: 2-line block ×3, first 2 shown]
	v_add_u32_e32 v12, 0x140, v12
	s_waitcnt vmcnt(10)
	v_fmac_f64_e32 v[0:1], v[54:55], v[40:41]
	s_waitcnt vmcnt(9)
	v_fmac_f64_e32 v[8:9], v[60:61], v[40:41]
	;; [unrolled: 2-line block ×9, first 2 shown]
	v_fmac_f64_e32 v[8:9], v[44:45], v[18:19]
	s_andn2_b64 exec, exec, s[2:3]
	s_cbranch_execnz .LBB118_15
; %bb.16:
	s_or_b64 exec, exec, s[2:3]
.LBB118_17:
	s_or_b64 exec, exec, s[4:5]
.LBB118_18:
	v_mov_b32_dpp v10, v0 row_shr:1 row_mask:0xf bank_mask:0xf
	v_mov_b32_dpp v11, v1 row_shr:1 row_mask:0xf bank_mask:0xf
	;; [unrolled: 1-line block ×4, first 2 shown]
	v_add_f64 v[0:1], v[0:1], v[10:11]
	v_add_f64 v[8:9], v[8:9], v[12:13]
	v_cmp_eq_u32_e32 vcc, 15, v7
	v_mov_b32_dpp v10, v0 row_shr:2 row_mask:0xf bank_mask:0xf
	v_mov_b32_dpp v11, v1 row_shr:2 row_mask:0xf bank_mask:0xf
	;; [unrolled: 1-line block ×4, first 2 shown]
	v_add_f64 v[0:1], v[0:1], v[10:11]
	v_add_f64 v[8:9], v[8:9], v[12:13]
	s_nop 0
	v_mov_b32_dpp v10, v0 row_shr:4 row_mask:0xf bank_mask:0xe
	v_mov_b32_dpp v11, v1 row_shr:4 row_mask:0xf bank_mask:0xe
	;; [unrolled: 1-line block ×4, first 2 shown]
	v_add_f64 v[0:1], v[0:1], v[10:11]
	v_add_f64 v[12:13], v[8:9], v[12:13]
	s_nop 0
	v_mov_b32_dpp v10, v0 row_shr:8 row_mask:0xf bank_mask:0xc
	v_mov_b32_dpp v11, v1 row_shr:8 row_mask:0xf bank_mask:0xc
	;; [unrolled: 1-line block ×4, first 2 shown]
	s_and_b64 exec, exec, vcc
	s_cbranch_execz .LBB118_23
; %bb.19:
	s_load_dwordx2 s[0:1], s[0:1], 0x38
	v_add_f64 v[8:9], v[0:1], v[10:11]
	v_add_f64 v[0:1], v[12:13], v[14:15]
	v_cmp_eq_f64_e32 vcc, 0, v[4:5]
	s_and_saveexec_b64 s[2:3], vcc
	s_xor_b64 s[2:3], exec, s[2:3]
	s_cbranch_execz .LBB118_21
; %bb.20:
	v_lshlrev_b32_e32 v6, 1, v6
	v_ashrrev_i32_e32 v7, 31, v6
	v_mul_f64 v[4:5], v[2:3], v[8:9]
	s_waitcnt lgkmcnt(0)
	v_lshl_add_u64 v[8:9], v[6:7], 3, s[0:1]
	v_mul_f64 v[6:7], v[2:3], v[0:1]
	global_store_dwordx4 v[8:9], v[4:7], off
                                        ; implicit-def: $vgpr6
                                        ; implicit-def: $vgpr2_vgpr3
                                        ; implicit-def: $vgpr8_vgpr9
                                        ; implicit-def: $vgpr4_vgpr5
                                        ; implicit-def: $vgpr0_vgpr1
.LBB118_21:
	s_andn2_saveexec_b64 s[2:3], s[2:3]
	s_cbranch_execz .LBB118_23
; %bb.22:
	v_lshlrev_b32_e32 v6, 1, v6
	v_ashrrev_i32_e32 v7, 31, v6
	s_waitcnt lgkmcnt(0)
	v_lshl_add_u64 v[14:15], v[6:7], 3, s[0:1]
	global_load_dwordx4 v[10:13], v[14:15], off
	v_mul_f64 v[6:7], v[2:3], v[8:9]
	v_mul_f64 v[8:9], v[2:3], v[0:1]
	s_waitcnt vmcnt(0)
	v_fmac_f64_e32 v[6:7], v[4:5], v[10:11]
	v_fmac_f64_e32 v[8:9], v[4:5], v[12:13]
	global_store_dwordx4 v[14:15], v[6:9], off
.LBB118_23:
	s_endpgm
	.section	.rodata,"a",@progbits
	.p2align	6, 0x0
	.amdhsa_kernel _ZN9rocsparseL19gebsrmvn_2xn_kernelILj128ELj10ELj16EdEEvi20rocsparse_direction_NS_24const_host_device_scalarIT2_EEPKiS6_PKS3_S8_S4_PS3_21rocsparse_index_base_b
		.amdhsa_group_segment_fixed_size 0
		.amdhsa_private_segment_fixed_size 0
		.amdhsa_kernarg_size 72
		.amdhsa_user_sgpr_count 2
		.amdhsa_user_sgpr_dispatch_ptr 0
		.amdhsa_user_sgpr_queue_ptr 0
		.amdhsa_user_sgpr_kernarg_segment_ptr 1
		.amdhsa_user_sgpr_dispatch_id 0
		.amdhsa_user_sgpr_kernarg_preload_length 0
		.amdhsa_user_sgpr_kernarg_preload_offset 0
		.amdhsa_user_sgpr_private_segment_size 0
		.amdhsa_uses_dynamic_stack 0
		.amdhsa_enable_private_segment 0
		.amdhsa_system_sgpr_workgroup_id_x 1
		.amdhsa_system_sgpr_workgroup_id_y 0
		.amdhsa_system_sgpr_workgroup_id_z 0
		.amdhsa_system_sgpr_workgroup_info 0
		.amdhsa_system_vgpr_workitem_id 0
		.amdhsa_next_free_vgpr 68
		.amdhsa_next_free_sgpr 18
		.amdhsa_accum_offset 68
		.amdhsa_reserve_vcc 1
		.amdhsa_float_round_mode_32 0
		.amdhsa_float_round_mode_16_64 0
		.amdhsa_float_denorm_mode_32 3
		.amdhsa_float_denorm_mode_16_64 3
		.amdhsa_dx10_clamp 1
		.amdhsa_ieee_mode 1
		.amdhsa_fp16_overflow 0
		.amdhsa_tg_split 0
		.amdhsa_exception_fp_ieee_invalid_op 0
		.amdhsa_exception_fp_denorm_src 0
		.amdhsa_exception_fp_ieee_div_zero 0
		.amdhsa_exception_fp_ieee_overflow 0
		.amdhsa_exception_fp_ieee_underflow 0
		.amdhsa_exception_fp_ieee_inexact 0
		.amdhsa_exception_int_div_zero 0
	.end_amdhsa_kernel
	.section	.text._ZN9rocsparseL19gebsrmvn_2xn_kernelILj128ELj10ELj16EdEEvi20rocsparse_direction_NS_24const_host_device_scalarIT2_EEPKiS6_PKS3_S8_S4_PS3_21rocsparse_index_base_b,"axG",@progbits,_ZN9rocsparseL19gebsrmvn_2xn_kernelILj128ELj10ELj16EdEEvi20rocsparse_direction_NS_24const_host_device_scalarIT2_EEPKiS6_PKS3_S8_S4_PS3_21rocsparse_index_base_b,comdat
.Lfunc_end118:
	.size	_ZN9rocsparseL19gebsrmvn_2xn_kernelILj128ELj10ELj16EdEEvi20rocsparse_direction_NS_24const_host_device_scalarIT2_EEPKiS6_PKS3_S8_S4_PS3_21rocsparse_index_base_b, .Lfunc_end118-_ZN9rocsparseL19gebsrmvn_2xn_kernelILj128ELj10ELj16EdEEvi20rocsparse_direction_NS_24const_host_device_scalarIT2_EEPKiS6_PKS3_S8_S4_PS3_21rocsparse_index_base_b
                                        ; -- End function
	.section	.AMDGPU.csdata,"",@progbits
; Kernel info:
; codeLenInByte = 1816
; NumSgprs: 24
; NumVgprs: 68
; NumAgprs: 0
; TotalNumVgprs: 68
; ScratchSize: 0
; MemoryBound: 0
; FloatMode: 240
; IeeeMode: 1
; LDSByteSize: 0 bytes/workgroup (compile time only)
; SGPRBlocks: 2
; VGPRBlocks: 8
; NumSGPRsForWavesPerEU: 24
; NumVGPRsForWavesPerEU: 68
; AccumOffset: 68
; Occupancy: 7
; WaveLimiterHint : 1
; COMPUTE_PGM_RSRC2:SCRATCH_EN: 0
; COMPUTE_PGM_RSRC2:USER_SGPR: 2
; COMPUTE_PGM_RSRC2:TRAP_HANDLER: 0
; COMPUTE_PGM_RSRC2:TGID_X_EN: 1
; COMPUTE_PGM_RSRC2:TGID_Y_EN: 0
; COMPUTE_PGM_RSRC2:TGID_Z_EN: 0
; COMPUTE_PGM_RSRC2:TIDIG_COMP_CNT: 0
; COMPUTE_PGM_RSRC3_GFX90A:ACCUM_OFFSET: 16
; COMPUTE_PGM_RSRC3_GFX90A:TG_SPLIT: 0
	.section	.text._ZN9rocsparseL19gebsrmvn_2xn_kernelILj128ELj10ELj32EdEEvi20rocsparse_direction_NS_24const_host_device_scalarIT2_EEPKiS6_PKS3_S8_S4_PS3_21rocsparse_index_base_b,"axG",@progbits,_ZN9rocsparseL19gebsrmvn_2xn_kernelILj128ELj10ELj32EdEEvi20rocsparse_direction_NS_24const_host_device_scalarIT2_EEPKiS6_PKS3_S8_S4_PS3_21rocsparse_index_base_b,comdat
	.globl	_ZN9rocsparseL19gebsrmvn_2xn_kernelILj128ELj10ELj32EdEEvi20rocsparse_direction_NS_24const_host_device_scalarIT2_EEPKiS6_PKS3_S8_S4_PS3_21rocsparse_index_base_b ; -- Begin function _ZN9rocsparseL19gebsrmvn_2xn_kernelILj128ELj10ELj32EdEEvi20rocsparse_direction_NS_24const_host_device_scalarIT2_EEPKiS6_PKS3_S8_S4_PS3_21rocsparse_index_base_b
	.p2align	8
	.type	_ZN9rocsparseL19gebsrmvn_2xn_kernelILj128ELj10ELj32EdEEvi20rocsparse_direction_NS_24const_host_device_scalarIT2_EEPKiS6_PKS3_S8_S4_PS3_21rocsparse_index_base_b,@function
_ZN9rocsparseL19gebsrmvn_2xn_kernelILj128ELj10ELj32EdEEvi20rocsparse_direction_NS_24const_host_device_scalarIT2_EEPKiS6_PKS3_S8_S4_PS3_21rocsparse_index_base_b: ; @_ZN9rocsparseL19gebsrmvn_2xn_kernelILj128ELj10ELj32EdEEvi20rocsparse_direction_NS_24const_host_device_scalarIT2_EEPKiS6_PKS3_S8_S4_PS3_21rocsparse_index_base_b
; %bb.0:
	s_load_dwordx2 s[12:13], s[0:1], 0x40
	s_load_dwordx2 s[8:9], s[0:1], 0x8
	;; [unrolled: 1-line block ×3, first 2 shown]
	s_waitcnt lgkmcnt(0)
	s_bitcmp1_b32 s13, 0
	s_cselect_b64 s[10:11], -1, 0
	s_xor_b64 s[6:7], s[10:11], -1
	s_and_b64 vcc, exec, s[10:11]
	v_mov_b64_e32 v[2:3], s[8:9]
	s_cbranch_vccnz .LBB119_2
; %bb.1:
	v_mov_b64_e32 v[2:3], s[8:9]
	flat_load_dwordx2 v[2:3], v[2:3]
.LBB119_2:
	s_andn2_b64 vcc, exec, s[6:7]
	v_mov_b64_e32 v[4:5], s[4:5]
	s_cbranch_vccnz .LBB119_4
; %bb.3:
	v_mov_b64_e32 v[4:5], s[4:5]
	flat_load_dwordx2 v[4:5], v[4:5]
.LBB119_4:
	s_waitcnt vmcnt(0) lgkmcnt(0)
	v_cmp_neq_f64_e32 vcc, 0, v[2:3]
	v_cmp_neq_f64_e64 s[4:5], 1.0, v[4:5]
	s_or_b64 s[4:5], vcc, s[4:5]
	s_and_saveexec_b64 s[6:7], s[4:5]
	s_cbranch_execz .LBB119_23
; %bb.5:
	s_load_dwordx2 s[14:15], s[0:1], 0x0
	v_lshrrev_b32_e32 v1, 5, v0
	v_lshl_or_b32 v6, s2, 2, v1
	s_waitcnt lgkmcnt(0)
	v_cmp_gt_i32_e32 vcc, s14, v6
	s_and_b64 exec, exec, vcc
	s_cbranch_execz .LBB119_23
; %bb.6:
	s_load_dwordx8 s[4:11], s[0:1], 0x10
	v_ashrrev_i32_e32 v7, 31, v6
	s_cmp_lg_u32 s15, 0
	s_waitcnt lgkmcnt(0)
	v_lshl_add_u64 v[8:9], v[6:7], 2, s[4:5]
	global_load_dwordx2 v[8:9], v[8:9], off
	v_and_b32_e32 v7, 31, v0
	s_waitcnt vmcnt(0)
	v_subrev_u32_e32 v0, s12, v8
	v_subrev_u32_e32 v20, s12, v9
	v_add_u32_e32 v10, v0, v7
	v_cmp_lt_i32_e64 s[2:3], v10, v20
	s_cbranch_scc0 .LBB119_12
; %bb.7:
	v_mov_b64_e32 v[8:9], 0
	s_mov_b64 s[4:5], 0
	v_mov_b64_e32 v[0:1], v[8:9]
	s_and_saveexec_b64 s[14:15], s[2:3]
	s_cbranch_execz .LBB119_11
; %bb.8:
	v_mad_u64_u32 v[12:13], s[16:17], v10, 20, 18
	v_mov_b64_e32 v[8:9], 0
	s_mov_b64 s[16:17], 0
	v_mov_b32_e32 v15, 0
	v_mov_b32_e32 v16, v10
	v_mov_b64_e32 v[0:1], v[8:9]
.LBB119_9:                              ; =>This Inner Loop Header: Depth=1
	v_ashrrev_i32_e32 v17, 31, v16
	v_subrev_u32_e32 v14, 18, v12
	v_lshl_add_u64 v[30:31], v[16:17], 2, s[6:7]
	v_lshl_add_u64 v[32:33], v[14:15], 3, s[8:9]
	global_load_dword v11, v[30:31], off
	global_load_dwordx4 v[22:25], v[32:33], off offset:16
	global_load_dwordx4 v[26:29], v[32:33], off
	v_mov_b32_e32 v19, v15
	v_add_u32_e32 v14, -14, v12
	v_lshl_add_u64 v[30:31], v[14:15], 3, s[8:9]
	global_load_dwordx4 v[30:33], v[30:31], off
	v_mov_b32_e32 v13, v15
	v_lshl_add_u64 v[62:63], v[12:13], 3, s[8:9]
	v_add_u32_e32 v16, 32, v16
	v_cmp_ge_i32_e32 vcc, v16, v20
	s_or_b64 s[16:17], vcc, s[16:17]
	s_waitcnt vmcnt(3)
	v_subrev_u32_e32 v11, s12, v11
	v_mul_lo_u32 v18, v11, 10
	v_lshl_add_u64 v[34:35], v[18:19], 3, s[10:11]
	global_load_dwordx4 v[34:37], v[34:35], off
	v_add_u32_e32 v14, 2, v18
	v_lshl_add_u64 v[38:39], v[14:15], 3, s[10:11]
	global_load_dwordx4 v[38:41], v[38:39], off
	v_add_u32_e32 v14, -12, v12
	v_lshl_add_u64 v[42:43], v[14:15], 3, s[8:9]
	global_load_dwordx4 v[42:45], v[42:43], off
	v_add_u32_e32 v14, -10, v12
	v_lshl_add_u64 v[46:47], v[14:15], 3, s[8:9]
	global_load_dwordx4 v[46:49], v[46:47], off
	v_add_u32_e32 v14, 4, v18
	v_lshl_add_u64 v[50:51], v[14:15], 3, s[10:11]
	v_add_u32_e32 v14, -8, v12
	v_lshl_add_u64 v[54:55], v[14:15], 3, s[8:9]
	v_add_u32_e32 v14, -6, v12
	v_lshl_add_u64 v[58:59], v[14:15], 3, s[8:9]
	v_add_u32_e32 v14, 6, v18
	global_load_dwordx4 v[50:53], v[50:51], off
	s_waitcnt vmcnt(4)
	v_fmac_f64_e32 v[8:9], v[26:27], v[34:35]
	v_fmac_f64_e32 v[0:1], v[28:29], v[34:35]
	v_lshl_add_u64 v[34:35], v[14:15], 3, s[10:11]
	v_add_u32_e32 v14, -4, v12
	global_load_dwordx4 v[54:57], v[54:55], off
	v_lshl_add_u64 v[64:65], v[14:15], 3, s[8:9]
	global_load_dwordx4 v[26:29], v[58:59], off
	v_add_u32_e32 v14, -2, v12
	v_fmac_f64_e32 v[8:9], v[22:23], v[36:37]
	v_fmac_f64_e32 v[0:1], v[24:25], v[36:37]
	global_load_dwordx4 v[22:25], v[34:35], off
	v_lshl_add_u64 v[66:67], v[14:15], 3, s[8:9]
	v_add_u32_e32 v14, 8, v18
	v_lshl_add_u64 v[18:19], v[14:15], 3, s[10:11]
	global_load_dwordx4 v[34:37], v[64:65], off
	global_load_dwordx4 v[58:61], v[66:67], off
	s_waitcnt vmcnt(8)
	v_fmac_f64_e32 v[8:9], v[30:31], v[38:39]
	v_fmac_f64_e32 v[0:1], v[32:33], v[38:39]
	global_load_dwordx4 v[30:33], v[18:19], off
	s_waitcnt vmcnt(8)
	v_fmac_f64_e32 v[8:9], v[42:43], v[40:41]
	v_fmac_f64_e32 v[0:1], v[44:45], v[40:41]
	;; [unrolled: 4-line block ×3, first 2 shown]
	v_add_u32_e32 v12, 0x280, v12
	s_waitcnt vmcnt(6)
	v_fmac_f64_e32 v[8:9], v[54:55], v[52:53]
	v_fmac_f64_e32 v[0:1], v[56:57], v[52:53]
	s_waitcnt vmcnt(4)
	v_fmac_f64_e32 v[8:9], v[26:27], v[22:23]
	v_fmac_f64_e32 v[0:1], v[28:29], v[22:23]
	;; [unrolled: 3-line block ×5, first 2 shown]
	s_andn2_b64 exec, exec, s[16:17]
	s_cbranch_execnz .LBB119_9
; %bb.10:
	s_or_b64 exec, exec, s[16:17]
.LBB119_11:
	s_or_b64 exec, exec, s[14:15]
	s_andn2_b64 vcc, exec, s[4:5]
	s_cbranch_vccz .LBB119_13
	s_branch .LBB119_18
.LBB119_12:
                                        ; implicit-def: $vgpr8_vgpr9
                                        ; implicit-def: $vgpr0_vgpr1
.LBB119_13:
	v_mov_b64_e32 v[8:9], 0
	v_mov_b64_e32 v[0:1], v[8:9]
	s_and_saveexec_b64 s[4:5], s[2:3]
	s_cbranch_execz .LBB119_17
; %bb.14:
	v_mad_u64_u32 v[12:13], s[2:3], v10, 20, 19
	v_mov_b64_e32 v[8:9], 0
	s_mov_b64 s[2:3], 0
	v_mov_b32_e32 v15, 0
	v_mov_b64_e32 v[0:1], v[8:9]
.LBB119_15:                             ; =>This Inner Loop Header: Depth=1
	v_ashrrev_i32_e32 v11, 31, v10
	v_subrev_u32_e32 v14, 19, v12
	v_lshl_add_u64 v[30:31], v[10:11], 2, s[6:7]
	v_lshl_add_u64 v[32:33], v[14:15], 3, s[8:9]
	global_load_dword v11, v[30:31], off
	global_load_dwordx4 v[22:25], v[32:33], off offset:16
	global_load_dwordx4 v[26:29], v[32:33], off
	v_add_u32_e32 v18, -9, v12
	v_mov_b32_e32 v19, v15
	v_mov_b32_e32 v17, v15
	;; [unrolled: 1-line block ×3, first 2 shown]
	v_lshl_add_u64 v[18:19], v[18:19], 3, s[8:9]
	v_add_u32_e32 v14, -8, v12
	v_lshl_add_u64 v[34:35], v[12:13], 3, s[8:9]
	v_lshl_add_u64 v[30:31], v[14:15], 3, s[8:9]
	global_load_dwordx2 v[42:43], v[18:19], off
	global_load_dwordx2 v[44:45], v[34:35], off
	;; [unrolled: 1-line block ×3, first 2 shown]
	v_add_u32_e32 v10, 32, v10
	v_cmp_ge_i32_e32 vcc, v10, v20
	s_or_b64 s[2:3], vcc, s[2:3]
	s_waitcnt vmcnt(5)
	v_subrev_u32_e32 v11, s12, v11
	v_mul_lo_u32 v16, v11, 10
	v_lshl_add_u64 v[18:19], v[16:17], 3, s[10:11]
	global_load_dwordx4 v[30:33], v[18:19], off
	v_add_u32_e32 v14, 2, v16
	v_lshl_add_u64 v[18:19], v[14:15], 3, s[10:11]
	v_add_u32_e32 v14, -7, v12
	global_load_dwordx4 v[34:37], v[18:19], off
	v_lshl_add_u64 v[18:19], v[14:15], 3, s[8:9]
	global_load_dwordx2 v[48:49], v[18:19], off
	v_add_u32_e32 v14, -6, v12
	v_lshl_add_u64 v[18:19], v[14:15], 3, s[8:9]
	v_add_u32_e32 v14, -15, v12
	v_lshl_add_u64 v[38:39], v[14:15], 3, s[8:9]
	v_add_u32_e32 v14, 4, v16
	global_load_dwordx2 v[50:51], v[18:19], off
	global_load_dwordx2 v[52:53], v[38:39], off
	v_lshl_add_u64 v[18:19], v[14:15], 3, s[10:11]
	v_add_u32_e32 v14, -5, v12
	global_load_dwordx4 v[38:41], v[18:19], off
	v_lshl_add_u64 v[18:19], v[14:15], 3, s[8:9]
	v_add_u32_e32 v14, -14, v12
	v_lshl_add_u64 v[54:55], v[14:15], 3, s[8:9]
	v_add_u32_e32 v14, -4, v12
	global_load_dwordx2 v[56:57], v[18:19], off
	s_waitcnt vmcnt(6)
	v_fmac_f64_e32 v[8:9], v[26:27], v[30:31]
	global_load_dwordx2 v[54:55], v[54:55], off
	v_lshl_add_u64 v[18:19], v[14:15], 3, s[8:9]
	v_add_u32_e32 v14, -13, v12
	v_lshl_add_u64 v[58:59], v[14:15], 3, s[8:9]
	v_add_u32_e32 v14, 6, v16
	global_load_dwordx2 v[60:61], v[18:19], off
	global_load_dwordx2 v[62:63], v[58:59], off
	v_lshl_add_u64 v[18:19], v[14:15], 3, s[10:11]
	v_add_u32_e32 v14, -3, v12
	v_lshl_add_u64 v[58:59], v[14:15], 3, s[8:9]
	v_add_u32_e32 v14, -12, v12
	v_fmac_f64_e32 v[8:9], v[28:29], v[32:33]
	v_fmac_f64_e32 v[0:1], v[42:43], v[30:31]
	global_load_dwordx4 v[26:29], v[18:19], off
	v_lshl_add_u64 v[18:19], v[14:15], 3, s[8:9]
	v_add_u32_e32 v14, -2, v12
	v_fmac_f64_e32 v[0:1], v[46:47], v[32:33]
	v_lshl_add_u64 v[32:33], v[14:15], 3, s[8:9]
	v_add_u32_e32 v14, -11, v12
	global_load_dwordx2 v[30:31], v[58:59], off
	global_load_dwordx2 v[42:43], v[18:19], off
	v_lshl_add_u64 v[18:19], v[14:15], 3, s[8:9]
	v_add_u32_e32 v14, 8, v16
	v_lshl_add_u64 v[16:17], v[14:15], 3, s[10:11]
	v_add_u32_e32 v14, -1, v12
	global_load_dwordx2 v[46:47], v[32:33], off
	global_load_dwordx2 v[58:59], v[18:19], off
	s_waitcnt vmcnt(13)
	v_fmac_f64_e32 v[8:9], v[22:23], v[34:35]
	global_load_dwordx4 v[16:19], v[16:17], off
	v_lshl_add_u64 v[22:23], v[14:15], 3, s[8:9]
	v_add_u32_e32 v14, -10, v12
	v_fmac_f64_e32 v[8:9], v[24:25], v[36:37]
	s_waitcnt vmcnt(13)
	v_fmac_f64_e32 v[0:1], v[48:49], v[34:35]
	v_lshl_add_u64 v[24:25], v[14:15], 3, s[8:9]
	global_load_dwordx2 v[32:33], v[22:23], off
	global_load_dwordx2 v[34:35], v[24:25], off
	s_waitcnt vmcnt(14)
	v_fmac_f64_e32 v[0:1], v[50:51], v[36:37]
	s_waitcnt vmcnt(12)
	v_fmac_f64_e32 v[8:9], v[52:53], v[38:39]
	;; [unrolled: 2-line block ×3, first 2 shown]
	v_add_u32_e32 v12, 0x280, v12
	s_waitcnt vmcnt(10)
	v_fmac_f64_e32 v[8:9], v[54:55], v[40:41]
	s_waitcnt vmcnt(9)
	v_fmac_f64_e32 v[0:1], v[60:61], v[40:41]
	;; [unrolled: 2-line block ×9, first 2 shown]
	v_fmac_f64_e32 v[0:1], v[44:45], v[18:19]
	s_andn2_b64 exec, exec, s[2:3]
	s_cbranch_execnz .LBB119_15
; %bb.16:
	s_or_b64 exec, exec, s[2:3]
.LBB119_17:
	s_or_b64 exec, exec, s[4:5]
.LBB119_18:
	v_mov_b32_dpp v10, v8 row_shr:1 row_mask:0xf bank_mask:0xf
	v_mov_b32_dpp v11, v9 row_shr:1 row_mask:0xf bank_mask:0xf
	;; [unrolled: 1-line block ×4, first 2 shown]
	v_add_f64 v[8:9], v[8:9], v[10:11]
	v_add_f64 v[0:1], v[0:1], v[12:13]
	v_cmp_eq_u32_e32 vcc, 31, v7
	v_mov_b32_dpp v10, v8 row_shr:2 row_mask:0xf bank_mask:0xf
	v_mov_b32_dpp v11, v9 row_shr:2 row_mask:0xf bank_mask:0xf
	v_mov_b32_dpp v12, v0 row_shr:2 row_mask:0xf bank_mask:0xf
	v_mov_b32_dpp v13, v1 row_shr:2 row_mask:0xf bank_mask:0xf
	v_add_f64 v[8:9], v[8:9], v[10:11]
	v_add_f64 v[0:1], v[0:1], v[12:13]
	s_nop 0
	v_mov_b32_dpp v10, v8 row_shr:4 row_mask:0xf bank_mask:0xe
	v_mov_b32_dpp v11, v9 row_shr:4 row_mask:0xf bank_mask:0xe
	v_mov_b32_dpp v12, v0 row_shr:4 row_mask:0xf bank_mask:0xe
	v_mov_b32_dpp v13, v1 row_shr:4 row_mask:0xf bank_mask:0xe
	v_add_f64 v[8:9], v[8:9], v[10:11]
	v_add_f64 v[0:1], v[0:1], v[12:13]
	s_nop 0
	;; [unrolled: 7-line block ×3, first 2 shown]
	v_mov_b32_dpp v10, v8 row_bcast:15 row_mask:0xa bank_mask:0xf
	v_mov_b32_dpp v11, v9 row_bcast:15 row_mask:0xa bank_mask:0xf
	;; [unrolled: 1-line block ×4, first 2 shown]
	s_and_b64 exec, exec, vcc
	s_cbranch_execz .LBB119_23
; %bb.19:
	s_load_dwordx2 s[0:1], s[0:1], 0x38
	v_add_f64 v[8:9], v[8:9], v[10:11]
	v_add_f64 v[0:1], v[0:1], v[12:13]
	v_cmp_eq_f64_e32 vcc, 0, v[4:5]
	s_and_saveexec_b64 s[2:3], vcc
	s_xor_b64 s[2:3], exec, s[2:3]
	s_cbranch_execz .LBB119_21
; %bb.20:
	v_lshlrev_b32_e32 v6, 1, v6
	v_ashrrev_i32_e32 v7, 31, v6
	v_mul_f64 v[4:5], v[2:3], v[8:9]
	s_waitcnt lgkmcnt(0)
	v_lshl_add_u64 v[8:9], v[6:7], 3, s[0:1]
	v_mul_f64 v[6:7], v[2:3], v[0:1]
	global_store_dwordx4 v[8:9], v[4:7], off
                                        ; implicit-def: $vgpr6
                                        ; implicit-def: $vgpr2_vgpr3
                                        ; implicit-def: $vgpr8_vgpr9
                                        ; implicit-def: $vgpr4_vgpr5
                                        ; implicit-def: $vgpr0_vgpr1
.LBB119_21:
	s_andn2_saveexec_b64 s[2:3], s[2:3]
	s_cbranch_execz .LBB119_23
; %bb.22:
	v_lshlrev_b32_e32 v6, 1, v6
	v_ashrrev_i32_e32 v7, 31, v6
	s_waitcnt lgkmcnt(0)
	v_lshl_add_u64 v[14:15], v[6:7], 3, s[0:1]
	global_load_dwordx4 v[10:13], v[14:15], off
	v_mul_f64 v[6:7], v[2:3], v[8:9]
	v_mul_f64 v[8:9], v[2:3], v[0:1]
	s_waitcnt vmcnt(0)
	v_fmac_f64_e32 v[6:7], v[4:5], v[10:11]
	v_fmac_f64_e32 v[8:9], v[4:5], v[12:13]
	global_store_dwordx4 v[14:15], v[6:9], off
.LBB119_23:
	s_endpgm
	.section	.rodata,"a",@progbits
	.p2align	6, 0x0
	.amdhsa_kernel _ZN9rocsparseL19gebsrmvn_2xn_kernelILj128ELj10ELj32EdEEvi20rocsparse_direction_NS_24const_host_device_scalarIT2_EEPKiS6_PKS3_S8_S4_PS3_21rocsparse_index_base_b
		.amdhsa_group_segment_fixed_size 0
		.amdhsa_private_segment_fixed_size 0
		.amdhsa_kernarg_size 72
		.amdhsa_user_sgpr_count 2
		.amdhsa_user_sgpr_dispatch_ptr 0
		.amdhsa_user_sgpr_queue_ptr 0
		.amdhsa_user_sgpr_kernarg_segment_ptr 1
		.amdhsa_user_sgpr_dispatch_id 0
		.amdhsa_user_sgpr_kernarg_preload_length 0
		.amdhsa_user_sgpr_kernarg_preload_offset 0
		.amdhsa_user_sgpr_private_segment_size 0
		.amdhsa_uses_dynamic_stack 0
		.amdhsa_enable_private_segment 0
		.amdhsa_system_sgpr_workgroup_id_x 1
		.amdhsa_system_sgpr_workgroup_id_y 0
		.amdhsa_system_sgpr_workgroup_id_z 0
		.amdhsa_system_sgpr_workgroup_info 0
		.amdhsa_system_vgpr_workitem_id 0
		.amdhsa_next_free_vgpr 68
		.amdhsa_next_free_sgpr 18
		.amdhsa_accum_offset 68
		.amdhsa_reserve_vcc 1
		.amdhsa_float_round_mode_32 0
		.amdhsa_float_round_mode_16_64 0
		.amdhsa_float_denorm_mode_32 3
		.amdhsa_float_denorm_mode_16_64 3
		.amdhsa_dx10_clamp 1
		.amdhsa_ieee_mode 1
		.amdhsa_fp16_overflow 0
		.amdhsa_tg_split 0
		.amdhsa_exception_fp_ieee_invalid_op 0
		.amdhsa_exception_fp_denorm_src 0
		.amdhsa_exception_fp_ieee_div_zero 0
		.amdhsa_exception_fp_ieee_overflow 0
		.amdhsa_exception_fp_ieee_underflow 0
		.amdhsa_exception_fp_ieee_inexact 0
		.amdhsa_exception_int_div_zero 0
	.end_amdhsa_kernel
	.section	.text._ZN9rocsparseL19gebsrmvn_2xn_kernelILj128ELj10ELj32EdEEvi20rocsparse_direction_NS_24const_host_device_scalarIT2_EEPKiS6_PKS3_S8_S4_PS3_21rocsparse_index_base_b,"axG",@progbits,_ZN9rocsparseL19gebsrmvn_2xn_kernelILj128ELj10ELj32EdEEvi20rocsparse_direction_NS_24const_host_device_scalarIT2_EEPKiS6_PKS3_S8_S4_PS3_21rocsparse_index_base_b,comdat
.Lfunc_end119:
	.size	_ZN9rocsparseL19gebsrmvn_2xn_kernelILj128ELj10ELj32EdEEvi20rocsparse_direction_NS_24const_host_device_scalarIT2_EEPKiS6_PKS3_S8_S4_PS3_21rocsparse_index_base_b, .Lfunc_end119-_ZN9rocsparseL19gebsrmvn_2xn_kernelILj128ELj10ELj32EdEEvi20rocsparse_direction_NS_24const_host_device_scalarIT2_EEPKiS6_PKS3_S8_S4_PS3_21rocsparse_index_base_b
                                        ; -- End function
	.section	.AMDGPU.csdata,"",@progbits
; Kernel info:
; codeLenInByte = 1868
; NumSgprs: 24
; NumVgprs: 68
; NumAgprs: 0
; TotalNumVgprs: 68
; ScratchSize: 0
; MemoryBound: 0
; FloatMode: 240
; IeeeMode: 1
; LDSByteSize: 0 bytes/workgroup (compile time only)
; SGPRBlocks: 2
; VGPRBlocks: 8
; NumSGPRsForWavesPerEU: 24
; NumVGPRsForWavesPerEU: 68
; AccumOffset: 68
; Occupancy: 7
; WaveLimiterHint : 1
; COMPUTE_PGM_RSRC2:SCRATCH_EN: 0
; COMPUTE_PGM_RSRC2:USER_SGPR: 2
; COMPUTE_PGM_RSRC2:TRAP_HANDLER: 0
; COMPUTE_PGM_RSRC2:TGID_X_EN: 1
; COMPUTE_PGM_RSRC2:TGID_Y_EN: 0
; COMPUTE_PGM_RSRC2:TGID_Z_EN: 0
; COMPUTE_PGM_RSRC2:TIDIG_COMP_CNT: 0
; COMPUTE_PGM_RSRC3_GFX90A:ACCUM_OFFSET: 16
; COMPUTE_PGM_RSRC3_GFX90A:TG_SPLIT: 0
	.section	.text._ZN9rocsparseL19gebsrmvn_2xn_kernelILj128ELj10ELj64EdEEvi20rocsparse_direction_NS_24const_host_device_scalarIT2_EEPKiS6_PKS3_S8_S4_PS3_21rocsparse_index_base_b,"axG",@progbits,_ZN9rocsparseL19gebsrmvn_2xn_kernelILj128ELj10ELj64EdEEvi20rocsparse_direction_NS_24const_host_device_scalarIT2_EEPKiS6_PKS3_S8_S4_PS3_21rocsparse_index_base_b,comdat
	.globl	_ZN9rocsparseL19gebsrmvn_2xn_kernelILj128ELj10ELj64EdEEvi20rocsparse_direction_NS_24const_host_device_scalarIT2_EEPKiS6_PKS3_S8_S4_PS3_21rocsparse_index_base_b ; -- Begin function _ZN9rocsparseL19gebsrmvn_2xn_kernelILj128ELj10ELj64EdEEvi20rocsparse_direction_NS_24const_host_device_scalarIT2_EEPKiS6_PKS3_S8_S4_PS3_21rocsparse_index_base_b
	.p2align	8
	.type	_ZN9rocsparseL19gebsrmvn_2xn_kernelILj128ELj10ELj64EdEEvi20rocsparse_direction_NS_24const_host_device_scalarIT2_EEPKiS6_PKS3_S8_S4_PS3_21rocsparse_index_base_b,@function
_ZN9rocsparseL19gebsrmvn_2xn_kernelILj128ELj10ELj64EdEEvi20rocsparse_direction_NS_24const_host_device_scalarIT2_EEPKiS6_PKS3_S8_S4_PS3_21rocsparse_index_base_b: ; @_ZN9rocsparseL19gebsrmvn_2xn_kernelILj128ELj10ELj64EdEEvi20rocsparse_direction_NS_24const_host_device_scalarIT2_EEPKiS6_PKS3_S8_S4_PS3_21rocsparse_index_base_b
; %bb.0:
	s_load_dwordx2 s[12:13], s[0:1], 0x40
	s_load_dwordx2 s[8:9], s[0:1], 0x8
	;; [unrolled: 1-line block ×3, first 2 shown]
	s_waitcnt lgkmcnt(0)
	s_bitcmp1_b32 s13, 0
	s_cselect_b64 s[10:11], -1, 0
	s_xor_b64 s[6:7], s[10:11], -1
	s_and_b64 vcc, exec, s[10:11]
	v_mov_b64_e32 v[2:3], s[8:9]
	s_cbranch_vccnz .LBB120_2
; %bb.1:
	v_mov_b64_e32 v[2:3], s[8:9]
	flat_load_dwordx2 v[2:3], v[2:3]
.LBB120_2:
	s_andn2_b64 vcc, exec, s[6:7]
	v_mov_b64_e32 v[4:5], s[4:5]
	s_cbranch_vccnz .LBB120_4
; %bb.3:
	v_mov_b64_e32 v[4:5], s[4:5]
	flat_load_dwordx2 v[4:5], v[4:5]
.LBB120_4:
	s_waitcnt vmcnt(0) lgkmcnt(0)
	v_cmp_neq_f64_e32 vcc, 0, v[2:3]
	v_cmp_neq_f64_e64 s[4:5], 1.0, v[4:5]
	s_or_b64 s[4:5], vcc, s[4:5]
	s_and_saveexec_b64 s[6:7], s[4:5]
	s_cbranch_execz .LBB120_23
; %bb.5:
	s_load_dwordx2 s[14:15], s[0:1], 0x0
	v_lshrrev_b32_e32 v1, 6, v0
	v_lshl_or_b32 v6, s2, 1, v1
	s_waitcnt lgkmcnt(0)
	v_cmp_gt_i32_e32 vcc, s14, v6
	s_and_b64 exec, exec, vcc
	s_cbranch_execz .LBB120_23
; %bb.6:
	s_load_dwordx8 s[4:11], s[0:1], 0x10
	v_ashrrev_i32_e32 v7, 31, v6
	s_cmp_lg_u32 s15, 0
	s_waitcnt lgkmcnt(0)
	v_lshl_add_u64 v[8:9], v[6:7], 2, s[4:5]
	global_load_dwordx2 v[8:9], v[8:9], off
	v_and_b32_e32 v7, 63, v0
	s_waitcnt vmcnt(0)
	v_subrev_u32_e32 v0, s12, v8
	v_subrev_u32_e32 v20, s12, v9
	v_add_u32_e32 v10, v0, v7
	v_cmp_lt_i32_e64 s[2:3], v10, v20
	s_cbranch_scc0 .LBB120_12
; %bb.7:
	v_mov_b64_e32 v[8:9], 0
	s_mov_b64 s[4:5], 0
	v_mov_b64_e32 v[0:1], v[8:9]
	s_and_saveexec_b64 s[14:15], s[2:3]
	s_cbranch_execz .LBB120_11
; %bb.8:
	v_mad_u64_u32 v[12:13], s[16:17], v10, 20, 18
	v_mov_b64_e32 v[8:9], 0
	s_mov_b64 s[16:17], 0
	v_mov_b32_e32 v15, 0
	v_mov_b32_e32 v16, v10
	v_mov_b64_e32 v[0:1], v[8:9]
.LBB120_9:                              ; =>This Inner Loop Header: Depth=1
	v_ashrrev_i32_e32 v17, 31, v16
	v_subrev_u32_e32 v14, 18, v12
	v_lshl_add_u64 v[30:31], v[16:17], 2, s[6:7]
	v_lshl_add_u64 v[32:33], v[14:15], 3, s[8:9]
	global_load_dword v11, v[30:31], off
	global_load_dwordx4 v[22:25], v[32:33], off offset:16
	global_load_dwordx4 v[26:29], v[32:33], off
	v_mov_b32_e32 v19, v15
	v_add_u32_e32 v14, -14, v12
	v_lshl_add_u64 v[30:31], v[14:15], 3, s[8:9]
	global_load_dwordx4 v[30:33], v[30:31], off
	v_mov_b32_e32 v13, v15
	v_lshl_add_u64 v[62:63], v[12:13], 3, s[8:9]
	v_add_u32_e32 v16, 64, v16
	v_cmp_ge_i32_e32 vcc, v16, v20
	s_or_b64 s[16:17], vcc, s[16:17]
	s_waitcnt vmcnt(3)
	v_subrev_u32_e32 v11, s12, v11
	v_mul_lo_u32 v18, v11, 10
	v_lshl_add_u64 v[34:35], v[18:19], 3, s[10:11]
	global_load_dwordx4 v[34:37], v[34:35], off
	v_add_u32_e32 v14, 2, v18
	v_lshl_add_u64 v[38:39], v[14:15], 3, s[10:11]
	global_load_dwordx4 v[38:41], v[38:39], off
	v_add_u32_e32 v14, -12, v12
	v_lshl_add_u64 v[42:43], v[14:15], 3, s[8:9]
	global_load_dwordx4 v[42:45], v[42:43], off
	v_add_u32_e32 v14, -10, v12
	v_lshl_add_u64 v[46:47], v[14:15], 3, s[8:9]
	global_load_dwordx4 v[46:49], v[46:47], off
	v_add_u32_e32 v14, 4, v18
	v_lshl_add_u64 v[50:51], v[14:15], 3, s[10:11]
	v_add_u32_e32 v14, -8, v12
	v_lshl_add_u64 v[54:55], v[14:15], 3, s[8:9]
	v_add_u32_e32 v14, -6, v12
	v_lshl_add_u64 v[58:59], v[14:15], 3, s[8:9]
	v_add_u32_e32 v14, 6, v18
	global_load_dwordx4 v[50:53], v[50:51], off
	s_waitcnt vmcnt(4)
	v_fmac_f64_e32 v[8:9], v[26:27], v[34:35]
	v_fmac_f64_e32 v[0:1], v[28:29], v[34:35]
	v_lshl_add_u64 v[34:35], v[14:15], 3, s[10:11]
	v_add_u32_e32 v14, -4, v12
	global_load_dwordx4 v[54:57], v[54:55], off
	v_lshl_add_u64 v[64:65], v[14:15], 3, s[8:9]
	global_load_dwordx4 v[26:29], v[58:59], off
	v_add_u32_e32 v14, -2, v12
	v_fmac_f64_e32 v[8:9], v[22:23], v[36:37]
	v_fmac_f64_e32 v[0:1], v[24:25], v[36:37]
	global_load_dwordx4 v[22:25], v[34:35], off
	v_lshl_add_u64 v[66:67], v[14:15], 3, s[8:9]
	v_add_u32_e32 v14, 8, v18
	v_lshl_add_u64 v[18:19], v[14:15], 3, s[10:11]
	global_load_dwordx4 v[34:37], v[64:65], off
	global_load_dwordx4 v[58:61], v[66:67], off
	s_waitcnt vmcnt(8)
	v_fmac_f64_e32 v[8:9], v[30:31], v[38:39]
	v_fmac_f64_e32 v[0:1], v[32:33], v[38:39]
	global_load_dwordx4 v[30:33], v[18:19], off
	s_waitcnt vmcnt(8)
	v_fmac_f64_e32 v[8:9], v[42:43], v[40:41]
	v_fmac_f64_e32 v[0:1], v[44:45], v[40:41]
	;; [unrolled: 4-line block ×3, first 2 shown]
	v_add_u32_e32 v12, 0x500, v12
	s_waitcnt vmcnt(6)
	v_fmac_f64_e32 v[8:9], v[54:55], v[52:53]
	v_fmac_f64_e32 v[0:1], v[56:57], v[52:53]
	s_waitcnt vmcnt(4)
	v_fmac_f64_e32 v[8:9], v[26:27], v[22:23]
	v_fmac_f64_e32 v[0:1], v[28:29], v[22:23]
	;; [unrolled: 3-line block ×5, first 2 shown]
	s_andn2_b64 exec, exec, s[16:17]
	s_cbranch_execnz .LBB120_9
; %bb.10:
	s_or_b64 exec, exec, s[16:17]
.LBB120_11:
	s_or_b64 exec, exec, s[14:15]
	s_andn2_b64 vcc, exec, s[4:5]
	s_cbranch_vccz .LBB120_13
	s_branch .LBB120_18
.LBB120_12:
                                        ; implicit-def: $vgpr8_vgpr9
                                        ; implicit-def: $vgpr0_vgpr1
.LBB120_13:
	v_mov_b64_e32 v[8:9], 0
	v_mov_b64_e32 v[0:1], v[8:9]
	s_and_saveexec_b64 s[4:5], s[2:3]
	s_cbranch_execz .LBB120_17
; %bb.14:
	v_mad_u64_u32 v[12:13], s[2:3], v10, 20, 19
	v_mov_b64_e32 v[8:9], 0
	s_mov_b64 s[2:3], 0
	v_mov_b32_e32 v15, 0
	v_mov_b64_e32 v[0:1], v[8:9]
.LBB120_15:                             ; =>This Inner Loop Header: Depth=1
	v_ashrrev_i32_e32 v11, 31, v10
	v_subrev_u32_e32 v14, 19, v12
	v_lshl_add_u64 v[30:31], v[10:11], 2, s[6:7]
	v_lshl_add_u64 v[32:33], v[14:15], 3, s[8:9]
	global_load_dword v11, v[30:31], off
	global_load_dwordx4 v[22:25], v[32:33], off offset:16
	global_load_dwordx4 v[26:29], v[32:33], off
	v_add_u32_e32 v18, -9, v12
	v_mov_b32_e32 v19, v15
	v_mov_b32_e32 v17, v15
	;; [unrolled: 1-line block ×3, first 2 shown]
	v_lshl_add_u64 v[18:19], v[18:19], 3, s[8:9]
	v_add_u32_e32 v14, -8, v12
	v_lshl_add_u64 v[34:35], v[12:13], 3, s[8:9]
	v_lshl_add_u64 v[30:31], v[14:15], 3, s[8:9]
	global_load_dwordx2 v[42:43], v[18:19], off
	global_load_dwordx2 v[44:45], v[34:35], off
	;; [unrolled: 1-line block ×3, first 2 shown]
	v_add_u32_e32 v10, 64, v10
	v_cmp_ge_i32_e32 vcc, v10, v20
	s_or_b64 s[2:3], vcc, s[2:3]
	s_waitcnt vmcnt(5)
	v_subrev_u32_e32 v11, s12, v11
	v_mul_lo_u32 v16, v11, 10
	v_lshl_add_u64 v[18:19], v[16:17], 3, s[10:11]
	global_load_dwordx4 v[30:33], v[18:19], off
	v_add_u32_e32 v14, 2, v16
	v_lshl_add_u64 v[18:19], v[14:15], 3, s[10:11]
	v_add_u32_e32 v14, -7, v12
	global_load_dwordx4 v[34:37], v[18:19], off
	v_lshl_add_u64 v[18:19], v[14:15], 3, s[8:9]
	global_load_dwordx2 v[48:49], v[18:19], off
	v_add_u32_e32 v14, -6, v12
	v_lshl_add_u64 v[18:19], v[14:15], 3, s[8:9]
	v_add_u32_e32 v14, -15, v12
	v_lshl_add_u64 v[38:39], v[14:15], 3, s[8:9]
	v_add_u32_e32 v14, 4, v16
	global_load_dwordx2 v[50:51], v[18:19], off
	global_load_dwordx2 v[52:53], v[38:39], off
	v_lshl_add_u64 v[18:19], v[14:15], 3, s[10:11]
	v_add_u32_e32 v14, -5, v12
	global_load_dwordx4 v[38:41], v[18:19], off
	v_lshl_add_u64 v[18:19], v[14:15], 3, s[8:9]
	v_add_u32_e32 v14, -14, v12
	v_lshl_add_u64 v[54:55], v[14:15], 3, s[8:9]
	v_add_u32_e32 v14, -4, v12
	global_load_dwordx2 v[56:57], v[18:19], off
	s_waitcnt vmcnt(6)
	v_fmac_f64_e32 v[8:9], v[26:27], v[30:31]
	global_load_dwordx2 v[54:55], v[54:55], off
	v_lshl_add_u64 v[18:19], v[14:15], 3, s[8:9]
	v_add_u32_e32 v14, -13, v12
	v_lshl_add_u64 v[58:59], v[14:15], 3, s[8:9]
	v_add_u32_e32 v14, 6, v16
	global_load_dwordx2 v[60:61], v[18:19], off
	global_load_dwordx2 v[62:63], v[58:59], off
	v_lshl_add_u64 v[18:19], v[14:15], 3, s[10:11]
	v_add_u32_e32 v14, -3, v12
	v_lshl_add_u64 v[58:59], v[14:15], 3, s[8:9]
	v_add_u32_e32 v14, -12, v12
	v_fmac_f64_e32 v[8:9], v[28:29], v[32:33]
	v_fmac_f64_e32 v[0:1], v[42:43], v[30:31]
	global_load_dwordx4 v[26:29], v[18:19], off
	v_lshl_add_u64 v[18:19], v[14:15], 3, s[8:9]
	v_add_u32_e32 v14, -2, v12
	v_fmac_f64_e32 v[0:1], v[46:47], v[32:33]
	v_lshl_add_u64 v[32:33], v[14:15], 3, s[8:9]
	v_add_u32_e32 v14, -11, v12
	global_load_dwordx2 v[30:31], v[58:59], off
	global_load_dwordx2 v[42:43], v[18:19], off
	v_lshl_add_u64 v[18:19], v[14:15], 3, s[8:9]
	v_add_u32_e32 v14, 8, v16
	v_lshl_add_u64 v[16:17], v[14:15], 3, s[10:11]
	v_add_u32_e32 v14, -1, v12
	global_load_dwordx2 v[46:47], v[32:33], off
	global_load_dwordx2 v[58:59], v[18:19], off
	s_waitcnt vmcnt(13)
	v_fmac_f64_e32 v[8:9], v[22:23], v[34:35]
	global_load_dwordx4 v[16:19], v[16:17], off
	v_lshl_add_u64 v[22:23], v[14:15], 3, s[8:9]
	v_add_u32_e32 v14, -10, v12
	v_fmac_f64_e32 v[8:9], v[24:25], v[36:37]
	s_waitcnt vmcnt(13)
	v_fmac_f64_e32 v[0:1], v[48:49], v[34:35]
	v_lshl_add_u64 v[24:25], v[14:15], 3, s[8:9]
	global_load_dwordx2 v[32:33], v[22:23], off
	global_load_dwordx2 v[34:35], v[24:25], off
	s_waitcnt vmcnt(14)
	v_fmac_f64_e32 v[0:1], v[50:51], v[36:37]
	s_waitcnt vmcnt(12)
	v_fmac_f64_e32 v[8:9], v[52:53], v[38:39]
	;; [unrolled: 2-line block ×3, first 2 shown]
	v_add_u32_e32 v12, 0x500, v12
	s_waitcnt vmcnt(10)
	v_fmac_f64_e32 v[8:9], v[54:55], v[40:41]
	s_waitcnt vmcnt(9)
	v_fmac_f64_e32 v[0:1], v[60:61], v[40:41]
	;; [unrolled: 2-line block ×9, first 2 shown]
	v_fmac_f64_e32 v[0:1], v[44:45], v[18:19]
	s_andn2_b64 exec, exec, s[2:3]
	s_cbranch_execnz .LBB120_15
; %bb.16:
	s_or_b64 exec, exec, s[2:3]
.LBB120_17:
	s_or_b64 exec, exec, s[4:5]
.LBB120_18:
	v_mov_b32_dpp v10, v8 row_shr:1 row_mask:0xf bank_mask:0xf
	v_mov_b32_dpp v11, v9 row_shr:1 row_mask:0xf bank_mask:0xf
	;; [unrolled: 1-line block ×4, first 2 shown]
	v_add_f64 v[8:9], v[8:9], v[10:11]
	v_add_f64 v[0:1], v[0:1], v[12:13]
	v_cmp_eq_u32_e32 vcc, 63, v7
	v_mov_b32_dpp v10, v8 row_shr:2 row_mask:0xf bank_mask:0xf
	v_mov_b32_dpp v11, v9 row_shr:2 row_mask:0xf bank_mask:0xf
	v_mov_b32_dpp v12, v0 row_shr:2 row_mask:0xf bank_mask:0xf
	v_mov_b32_dpp v13, v1 row_shr:2 row_mask:0xf bank_mask:0xf
	v_add_f64 v[8:9], v[8:9], v[10:11]
	v_add_f64 v[0:1], v[0:1], v[12:13]
	s_nop 0
	v_mov_b32_dpp v10, v8 row_shr:4 row_mask:0xf bank_mask:0xe
	v_mov_b32_dpp v11, v9 row_shr:4 row_mask:0xf bank_mask:0xe
	v_mov_b32_dpp v12, v0 row_shr:4 row_mask:0xf bank_mask:0xe
	v_mov_b32_dpp v13, v1 row_shr:4 row_mask:0xf bank_mask:0xe
	v_add_f64 v[8:9], v[8:9], v[10:11]
	v_add_f64 v[0:1], v[0:1], v[12:13]
	s_nop 0
	;; [unrolled: 7-line block ×3, first 2 shown]
	v_mov_b32_dpp v10, v8 row_bcast:15 row_mask:0xa bank_mask:0xf
	v_mov_b32_dpp v11, v9 row_bcast:15 row_mask:0xa bank_mask:0xf
	;; [unrolled: 1-line block ×4, first 2 shown]
	v_add_f64 v[8:9], v[8:9], v[10:11]
	v_add_f64 v[0:1], v[0:1], v[12:13]
	s_nop 0
	v_mov_b32_dpp v10, v8 row_bcast:31 row_mask:0xc bank_mask:0xf
	v_mov_b32_dpp v11, v9 row_bcast:31 row_mask:0xc bank_mask:0xf
	;; [unrolled: 1-line block ×4, first 2 shown]
	s_and_b64 exec, exec, vcc
	s_cbranch_execz .LBB120_23
; %bb.19:
	s_load_dwordx2 s[0:1], s[0:1], 0x38
	v_add_f64 v[8:9], v[8:9], v[10:11]
	v_add_f64 v[0:1], v[0:1], v[12:13]
	v_cmp_eq_f64_e32 vcc, 0, v[4:5]
	s_and_saveexec_b64 s[2:3], vcc
	s_xor_b64 s[2:3], exec, s[2:3]
	s_cbranch_execz .LBB120_21
; %bb.20:
	v_lshlrev_b32_e32 v6, 1, v6
	v_ashrrev_i32_e32 v7, 31, v6
	v_mul_f64 v[4:5], v[2:3], v[8:9]
	s_waitcnt lgkmcnt(0)
	v_lshl_add_u64 v[8:9], v[6:7], 3, s[0:1]
	v_mul_f64 v[6:7], v[2:3], v[0:1]
	global_store_dwordx4 v[8:9], v[4:7], off
                                        ; implicit-def: $vgpr6
                                        ; implicit-def: $vgpr2_vgpr3
                                        ; implicit-def: $vgpr8_vgpr9
                                        ; implicit-def: $vgpr4_vgpr5
                                        ; implicit-def: $vgpr0_vgpr1
.LBB120_21:
	s_andn2_saveexec_b64 s[2:3], s[2:3]
	s_cbranch_execz .LBB120_23
; %bb.22:
	v_lshlrev_b32_e32 v6, 1, v6
	v_ashrrev_i32_e32 v7, 31, v6
	s_waitcnt lgkmcnt(0)
	v_lshl_add_u64 v[14:15], v[6:7], 3, s[0:1]
	global_load_dwordx4 v[10:13], v[14:15], off
	v_mul_f64 v[6:7], v[2:3], v[8:9]
	v_mul_f64 v[8:9], v[2:3], v[0:1]
	s_waitcnt vmcnt(0)
	v_fmac_f64_e32 v[6:7], v[4:5], v[10:11]
	v_fmac_f64_e32 v[8:9], v[4:5], v[12:13]
	global_store_dwordx4 v[14:15], v[6:9], off
.LBB120_23:
	s_endpgm
	.section	.rodata,"a",@progbits
	.p2align	6, 0x0
	.amdhsa_kernel _ZN9rocsparseL19gebsrmvn_2xn_kernelILj128ELj10ELj64EdEEvi20rocsparse_direction_NS_24const_host_device_scalarIT2_EEPKiS6_PKS3_S8_S4_PS3_21rocsparse_index_base_b
		.amdhsa_group_segment_fixed_size 0
		.amdhsa_private_segment_fixed_size 0
		.amdhsa_kernarg_size 72
		.amdhsa_user_sgpr_count 2
		.amdhsa_user_sgpr_dispatch_ptr 0
		.amdhsa_user_sgpr_queue_ptr 0
		.amdhsa_user_sgpr_kernarg_segment_ptr 1
		.amdhsa_user_sgpr_dispatch_id 0
		.amdhsa_user_sgpr_kernarg_preload_length 0
		.amdhsa_user_sgpr_kernarg_preload_offset 0
		.amdhsa_user_sgpr_private_segment_size 0
		.amdhsa_uses_dynamic_stack 0
		.amdhsa_enable_private_segment 0
		.amdhsa_system_sgpr_workgroup_id_x 1
		.amdhsa_system_sgpr_workgroup_id_y 0
		.amdhsa_system_sgpr_workgroup_id_z 0
		.amdhsa_system_sgpr_workgroup_info 0
		.amdhsa_system_vgpr_workitem_id 0
		.amdhsa_next_free_vgpr 68
		.amdhsa_next_free_sgpr 18
		.amdhsa_accum_offset 68
		.amdhsa_reserve_vcc 1
		.amdhsa_float_round_mode_32 0
		.amdhsa_float_round_mode_16_64 0
		.amdhsa_float_denorm_mode_32 3
		.amdhsa_float_denorm_mode_16_64 3
		.amdhsa_dx10_clamp 1
		.amdhsa_ieee_mode 1
		.amdhsa_fp16_overflow 0
		.amdhsa_tg_split 0
		.amdhsa_exception_fp_ieee_invalid_op 0
		.amdhsa_exception_fp_denorm_src 0
		.amdhsa_exception_fp_ieee_div_zero 0
		.amdhsa_exception_fp_ieee_overflow 0
		.amdhsa_exception_fp_ieee_underflow 0
		.amdhsa_exception_fp_ieee_inexact 0
		.amdhsa_exception_int_div_zero 0
	.end_amdhsa_kernel
	.section	.text._ZN9rocsparseL19gebsrmvn_2xn_kernelILj128ELj10ELj64EdEEvi20rocsparse_direction_NS_24const_host_device_scalarIT2_EEPKiS6_PKS3_S8_S4_PS3_21rocsparse_index_base_b,"axG",@progbits,_ZN9rocsparseL19gebsrmvn_2xn_kernelILj128ELj10ELj64EdEEvi20rocsparse_direction_NS_24const_host_device_scalarIT2_EEPKiS6_PKS3_S8_S4_PS3_21rocsparse_index_base_b,comdat
.Lfunc_end120:
	.size	_ZN9rocsparseL19gebsrmvn_2xn_kernelILj128ELj10ELj64EdEEvi20rocsparse_direction_NS_24const_host_device_scalarIT2_EEPKiS6_PKS3_S8_S4_PS3_21rocsparse_index_base_b, .Lfunc_end120-_ZN9rocsparseL19gebsrmvn_2xn_kernelILj128ELj10ELj64EdEEvi20rocsparse_direction_NS_24const_host_device_scalarIT2_EEPKiS6_PKS3_S8_S4_PS3_21rocsparse_index_base_b
                                        ; -- End function
	.section	.AMDGPU.csdata,"",@progbits
; Kernel info:
; codeLenInByte = 1920
; NumSgprs: 24
; NumVgprs: 68
; NumAgprs: 0
; TotalNumVgprs: 68
; ScratchSize: 0
; MemoryBound: 0
; FloatMode: 240
; IeeeMode: 1
; LDSByteSize: 0 bytes/workgroup (compile time only)
; SGPRBlocks: 2
; VGPRBlocks: 8
; NumSGPRsForWavesPerEU: 24
; NumVGPRsForWavesPerEU: 68
; AccumOffset: 68
; Occupancy: 7
; WaveLimiterHint : 1
; COMPUTE_PGM_RSRC2:SCRATCH_EN: 0
; COMPUTE_PGM_RSRC2:USER_SGPR: 2
; COMPUTE_PGM_RSRC2:TRAP_HANDLER: 0
; COMPUTE_PGM_RSRC2:TGID_X_EN: 1
; COMPUTE_PGM_RSRC2:TGID_Y_EN: 0
; COMPUTE_PGM_RSRC2:TGID_Z_EN: 0
; COMPUTE_PGM_RSRC2:TIDIG_COMP_CNT: 0
; COMPUTE_PGM_RSRC3_GFX90A:ACCUM_OFFSET: 16
; COMPUTE_PGM_RSRC3_GFX90A:TG_SPLIT: 0
	.section	.text._ZN9rocsparseL19gebsrmvn_2xn_kernelILj128ELj11ELj4EdEEvi20rocsparse_direction_NS_24const_host_device_scalarIT2_EEPKiS6_PKS3_S8_S4_PS3_21rocsparse_index_base_b,"axG",@progbits,_ZN9rocsparseL19gebsrmvn_2xn_kernelILj128ELj11ELj4EdEEvi20rocsparse_direction_NS_24const_host_device_scalarIT2_EEPKiS6_PKS3_S8_S4_PS3_21rocsparse_index_base_b,comdat
	.globl	_ZN9rocsparseL19gebsrmvn_2xn_kernelILj128ELj11ELj4EdEEvi20rocsparse_direction_NS_24const_host_device_scalarIT2_EEPKiS6_PKS3_S8_S4_PS3_21rocsparse_index_base_b ; -- Begin function _ZN9rocsparseL19gebsrmvn_2xn_kernelILj128ELj11ELj4EdEEvi20rocsparse_direction_NS_24const_host_device_scalarIT2_EEPKiS6_PKS3_S8_S4_PS3_21rocsparse_index_base_b
	.p2align	8
	.type	_ZN9rocsparseL19gebsrmvn_2xn_kernelILj128ELj11ELj4EdEEvi20rocsparse_direction_NS_24const_host_device_scalarIT2_EEPKiS6_PKS3_S8_S4_PS3_21rocsparse_index_base_b,@function
_ZN9rocsparseL19gebsrmvn_2xn_kernelILj128ELj11ELj4EdEEvi20rocsparse_direction_NS_24const_host_device_scalarIT2_EEPKiS6_PKS3_S8_S4_PS3_21rocsparse_index_base_b: ; @_ZN9rocsparseL19gebsrmvn_2xn_kernelILj128ELj11ELj4EdEEvi20rocsparse_direction_NS_24const_host_device_scalarIT2_EEPKiS6_PKS3_S8_S4_PS3_21rocsparse_index_base_b
; %bb.0:
	s_load_dwordx2 s[12:13], s[0:1], 0x40
	s_load_dwordx2 s[8:9], s[0:1], 0x8
	;; [unrolled: 1-line block ×3, first 2 shown]
	s_waitcnt lgkmcnt(0)
	s_bitcmp1_b32 s13, 0
	s_cselect_b64 s[10:11], -1, 0
	s_xor_b64 s[6:7], s[10:11], -1
	s_and_b64 vcc, exec, s[10:11]
	v_mov_b64_e32 v[2:3], s[8:9]
	s_cbranch_vccnz .LBB121_2
; %bb.1:
	v_mov_b64_e32 v[2:3], s[8:9]
	flat_load_dwordx2 v[2:3], v[2:3]
.LBB121_2:
	s_andn2_b64 vcc, exec, s[6:7]
	v_mov_b64_e32 v[4:5], s[4:5]
	s_cbranch_vccnz .LBB121_4
; %bb.3:
	v_mov_b64_e32 v[4:5], s[4:5]
	flat_load_dwordx2 v[4:5], v[4:5]
.LBB121_4:
	s_waitcnt vmcnt(0) lgkmcnt(0)
	v_cmp_neq_f64_e32 vcc, 0, v[2:3]
	v_cmp_neq_f64_e64 s[4:5], 1.0, v[4:5]
	s_or_b64 s[4:5], vcc, s[4:5]
	s_and_saveexec_b64 s[6:7], s[4:5]
	s_cbranch_execz .LBB121_23
; %bb.5:
	s_load_dwordx2 s[14:15], s[0:1], 0x0
	v_lshrrev_b32_e32 v1, 2, v0
	v_lshl_or_b32 v6, s2, 5, v1
	s_waitcnt lgkmcnt(0)
	v_cmp_gt_i32_e32 vcc, s14, v6
	s_and_b64 exec, exec, vcc
	s_cbranch_execz .LBB121_23
; %bb.6:
	s_load_dwordx8 s[4:11], s[0:1], 0x10
	v_ashrrev_i32_e32 v7, 31, v6
	s_cmp_lg_u32 s15, 0
	s_waitcnt lgkmcnt(0)
	v_lshl_add_u64 v[8:9], v[6:7], 2, s[4:5]
	global_load_dwordx2 v[8:9], v[8:9], off
	v_and_b32_e32 v7, 3, v0
	s_waitcnt vmcnt(0)
	v_subrev_u32_e32 v0, s12, v8
	v_subrev_u32_e32 v20, s12, v9
	v_add_u32_e32 v8, v0, v7
	v_cmp_lt_i32_e64 s[2:3], v8, v20
	s_cbranch_scc0 .LBB121_12
; %bb.7:
	v_mov_b64_e32 v[0:1], 0
	s_mov_b64 s[4:5], 0
	v_mov_b64_e32 v[10:11], v[0:1]
	s_and_saveexec_b64 s[14:15], s[2:3]
	s_cbranch_execz .LBB121_11
; %bb.8:
	v_mad_u64_u32 v[12:13], s[16:17], v8, 22, 20
	v_mov_b64_e32 v[0:1], 0
	s_mov_b64 s[16:17], 0
	v_mov_b32_e32 v15, 0
	v_mov_b32_e32 v16, v8
	v_mov_b64_e32 v[10:11], v[0:1]
.LBB121_9:                              ; =>This Inner Loop Header: Depth=1
	v_ashrrev_i32_e32 v17, 31, v16
	v_subrev_u32_e32 v14, 20, v12
	v_lshl_add_u64 v[26:27], v[16:17], 2, s[6:7]
	v_lshl_add_u64 v[28:29], v[14:15], 3, s[8:9]
	global_load_dword v9, v[26:27], off
	global_load_dwordx4 v[22:25], v[28:29], off
	v_mov_b32_e32 v13, v15
	v_mov_b32_e32 v19, v15
	v_subrev_u32_e32 v14, 18, v12
	v_lshl_add_u64 v[34:35], v[12:13], 3, s[8:9]
	v_lshl_add_u64 v[36:37], v[14:15], 3, s[8:9]
	global_load_dwordx4 v[26:29], v[34:35], off
	global_load_dwordx4 v[30:33], v[36:37], off
	v_add_u32_e32 v16, 4, v16
	v_cmp_ge_i32_e32 vcc, v16, v20
	s_or_b64 s[16:17], vcc, s[16:17]
	s_waitcnt vmcnt(3)
	v_subrev_u32_e32 v9, s12, v9
	v_mul_lo_u32 v18, v9, 11
	v_lshl_add_u64 v[34:35], v[18:19], 3, s[10:11]
	v_add_u32_e32 v14, 1, v18
	global_load_dwordx2 v[50:51], v[34:35], off
	v_lshl_add_u64 v[34:35], v[14:15], 3, s[10:11]
	v_add_u32_e32 v14, -16, v12
	global_load_dwordx2 v[52:53], v[34:35], off
	v_lshl_add_u64 v[34:35], v[14:15], 3, s[8:9]
	v_add_u32_e32 v14, 2, v18
	v_lshl_add_u64 v[38:39], v[14:15], 3, s[10:11]
	v_add_u32_e32 v14, -14, v12
	global_load_dwordx4 v[34:37], v[34:35], off
	s_waitcnt vmcnt(2)
	v_fmac_f64_e32 v[0:1], v[22:23], v[50:51]
	global_load_dwordx2 v[54:55], v[38:39], off
	v_lshl_add_u64 v[38:39], v[14:15], 3, s[8:9]
	v_add_u32_e32 v14, 3, v18
	v_lshl_add_u64 v[42:43], v[14:15], 3, s[10:11]
	global_load_dwordx4 v[38:41], v[38:39], off
	v_add_u32_e32 v14, -12, v12
	global_load_dwordx2 v[56:57], v[42:43], off
	v_lshl_add_u64 v[42:43], v[14:15], 3, s[8:9]
	v_add_u32_e32 v14, 4, v18
	v_lshl_add_u64 v[46:47], v[14:15], 3, s[10:11]
	v_add_u32_e32 v14, -10, v12
	global_load_dwordx2 v[58:59], v[46:47], off
	v_lshl_add_u64 v[46:47], v[14:15], 3, s[8:9]
	v_add_u32_e32 v14, 5, v18
	v_lshl_add_u64 v[60:61], v[14:15], 3, s[10:11]
	v_add_u32_e32 v14, -8, v12
	v_lshl_add_u64 v[22:23], v[14:15], 3, s[8:9]
	v_add_u32_e32 v14, 6, v18
	v_fmac_f64_e32 v[10:11], v[24:25], v[50:51]
	v_lshl_add_u64 v[50:51], v[14:15], 3, s[10:11]
	v_add_u32_e32 v14, -6, v12
	s_waitcnt vmcnt(5)
	v_fmac_f64_e32 v[0:1], v[30:31], v[52:53]
	v_lshl_add_u64 v[30:31], v[14:15], 3, s[8:9]
	v_add_u32_e32 v14, 7, v18
	global_load_dwordx4 v[42:45], v[42:43], off
	v_fmac_f64_e32 v[10:11], v[32:33], v[52:53]
	v_lshl_add_u64 v[52:53], v[14:15], 3, s[10:11]
	v_add_u32_e32 v14, -4, v12
	global_load_dwordx4 v[46:49], v[46:47], off
	s_waitcnt vmcnt(5)
	v_fmac_f64_e32 v[0:1], v[34:35], v[54:55]
	global_load_dwordx2 v[60:61], v[60:61], off
	v_lshl_add_u64 v[34:35], v[14:15], 3, s[8:9]
	v_add_u32_e32 v14, 8, v18
	global_load_dwordx4 v[22:25], v[22:23], off
	v_fmac_f64_e32 v[10:11], v[36:37], v[54:55]
	global_load_dwordx4 v[30:33], v[30:31], off
	v_lshl_add_u64 v[54:55], v[14:15], 3, s[10:11]
	global_load_dwordx2 v[50:51], v[50:51], off
	v_add_u32_e32 v14, -2, v12
	global_load_dwordx2 v[52:53], v[52:53], off
	v_add_u32_e32 v12, 0x58, v12
	global_load_dwordx2 v[54:55], v[54:55], off
	s_nop 0
	global_load_dwordx4 v[34:37], v[34:35], off
	s_waitcnt vmcnt(10)
	v_fmac_f64_e32 v[0:1], v[38:39], v[56:57]
	v_lshl_add_u64 v[38:39], v[14:15], 3, s[8:9]
	v_add_u32_e32 v14, 9, v18
	v_fmac_f64_e32 v[10:11], v[40:41], v[56:57]
	v_lshl_add_u64 v[56:57], v[14:15], 3, s[10:11]
	v_add_u32_e32 v14, 10, v18
	global_load_dwordx2 v[18:19], v[56:57], off
	v_lshl_add_u64 v[56:57], v[14:15], 3, s[10:11]
	global_load_dwordx4 v[38:41], v[38:39], off
	s_waitcnt vmcnt(10)
	v_fmac_f64_e32 v[0:1], v[42:43], v[58:59]
	global_load_dwordx2 v[56:57], v[56:57], off
	v_fmac_f64_e32 v[10:11], v[44:45], v[58:59]
	s_waitcnt vmcnt(9)
	v_fmac_f64_e32 v[0:1], v[46:47], v[60:61]
	v_fmac_f64_e32 v[10:11], v[48:49], v[60:61]
	s_waitcnt vmcnt(6)
	v_fmac_f64_e32 v[0:1], v[22:23], v[50:51]
	;; [unrolled: 3-line block ×6, first 2 shown]
	v_fmac_f64_e32 v[10:11], v[28:29], v[56:57]
	s_andn2_b64 exec, exec, s[16:17]
	s_cbranch_execnz .LBB121_9
; %bb.10:
	s_or_b64 exec, exec, s[16:17]
.LBB121_11:
	s_or_b64 exec, exec, s[14:15]
	s_andn2_b64 vcc, exec, s[4:5]
	s_cbranch_vccz .LBB121_13
	s_branch .LBB121_18
.LBB121_12:
                                        ; implicit-def: $vgpr0_vgpr1
                                        ; implicit-def: $vgpr10_vgpr11
.LBB121_13:
	v_mov_b64_e32 v[0:1], 0
	v_mov_b64_e32 v[10:11], v[0:1]
	s_and_saveexec_b64 s[4:5], s[2:3]
	s_cbranch_execz .LBB121_17
; %bb.14:
	v_mad_u64_u32 v[12:13], s[2:3], v8, 22, 21
	v_mov_b64_e32 v[0:1], 0
	s_mov_b64 s[2:3], 0
	v_mov_b32_e32 v15, 0
	v_mov_b64_e32 v[10:11], v[0:1]
.LBB121_15:                             ; =>This Inner Loop Header: Depth=1
	v_ashrrev_i32_e32 v9, 31, v8
	v_subrev_u32_e32 v14, 21, v12
	v_add_u32_e32 v18, -10, v12
	v_mov_b32_e32 v19, v15
	v_mov_b32_e32 v13, v15
	v_lshl_add_u64 v[26:27], v[8:9], 2, s[6:7]
	v_lshl_add_u64 v[28:29], v[14:15], 3, s[8:9]
	;; [unrolled: 1-line block ×4, first 2 shown]
	global_load_dword v9, v[26:27], off
	global_load_dwordx4 v[22:25], v[28:29], off
	global_load_dwordx2 v[32:33], v[18:19], off
	global_load_dwordx2 v[34:35], v[30:31], off
	v_mov_b32_e32 v17, v15
	v_add_u32_e32 v8, 4, v8
	v_cmp_ge_i32_e32 vcc, v8, v20
	s_or_b64 s[2:3], vcc, s[2:3]
	s_waitcnt vmcnt(3)
	v_subrev_u32_e32 v9, s12, v9
	v_mul_lo_u32 v16, v9, 11
	v_lshl_add_u64 v[18:19], v[16:17], 3, s[10:11]
	global_load_dwordx2 v[18:19], v[18:19], off
	v_add_u32_e32 v14, 1, v16
	v_lshl_add_u64 v[26:27], v[14:15], 3, s[10:11]
	global_load_dwordx2 v[26:27], v[26:27], off
	v_add_u32_e32 v14, -9, v12
	v_lshl_add_u64 v[28:29], v[14:15], 3, s[8:9]
	v_subrev_u32_e32 v14, 19, v12
	global_load_dwordx2 v[28:29], v[28:29], off
	v_lshl_add_u64 v[30:31], v[14:15], 3, s[8:9]
	global_load_dwordx2 v[30:31], v[30:31], off
	v_add_u32_e32 v14, 2, v16
	v_lshl_add_u64 v[36:37], v[14:15], 3, s[10:11]
	v_add_u32_e32 v14, -8, v12
	global_load_dwordx2 v[36:37], v[36:37], off
	v_lshl_add_u64 v[38:39], v[14:15], 3, s[8:9]
	global_load_dwordx2 v[38:39], v[38:39], off
	v_subrev_u32_e32 v14, 18, v12
	v_lshl_add_u64 v[40:41], v[14:15], 3, s[8:9]
	global_load_dwordx2 v[40:41], v[40:41], off
	v_add_u32_e32 v14, 3, v16
	v_lshl_add_u64 v[42:43], v[14:15], 3, s[10:11]
	v_add_u32_e32 v14, -7, v12
	v_lshl_add_u64 v[44:45], v[14:15], 3, s[8:9]
	v_subrev_u32_e32 v14, 17, v12
	v_lshl_add_u64 v[46:47], v[14:15], 3, s[8:9]
	v_add_u32_e32 v14, 4, v16
	global_load_dwordx2 v[42:43], v[42:43], off
	s_nop 0
	global_load_dwordx2 v[48:49], v[44:45], off
	global_load_dwordx2 v[50:51], v[46:47], off
	v_lshl_add_u64 v[44:45], v[14:15], 3, s[10:11]
	v_add_u32_e32 v14, -6, v12
	v_lshl_add_u64 v[46:47], v[14:15], 3, s[8:9]
	v_add_u32_e32 v14, -16, v12
	v_lshl_add_u64 v[52:53], v[14:15], 3, s[8:9]
	v_add_u32_e32 v14, 5, v16
	global_load_dwordx2 v[44:45], v[44:45], off
	s_nop 0
	global_load_dwordx2 v[54:55], v[46:47], off
	global_load_dwordx2 v[56:57], v[52:53], off
	v_lshl_add_u64 v[46:47], v[14:15], 3, s[10:11]
	v_add_u32_e32 v14, -5, v12
	v_lshl_add_u64 v[52:53], v[14:15], 3, s[8:9]
	v_add_u32_e32 v14, -15, v12
	;; [unrolled: 10-line block ×3, first 2 shown]
	v_lshl_add_u64 v[64:65], v[14:15], 3, s[8:9]
	v_add_u32_e32 v14, 7, v16
	global_load_dwordx2 v[52:53], v[52:53], off
	s_nop 0
	global_load_dwordx2 v[66:67], v[58:59], off
	global_load_dwordx2 v[68:69], v[64:65], off
	s_waitcnt vmcnt(18)
	v_fmac_f64_e32 v[10:11], v[32:33], v[18:19]
	v_lshl_add_u64 v[32:33], v[14:15], 3, s[10:11]
	v_add_u32_e32 v14, -3, v12
	v_fmac_f64_e32 v[0:1], v[22:23], v[18:19]
	v_lshl_add_u64 v[18:19], v[14:15], 3, s[8:9]
	v_add_u32_e32 v14, -13, v12
	v_lshl_add_u64 v[22:23], v[14:15], 3, s[8:9]
	v_add_u32_e32 v14, 8, v16
	global_load_dwordx2 v[32:33], v[32:33], off
	s_waitcnt vmcnt(18)
	v_fmac_f64_e32 v[0:1], v[24:25], v[26:27]
	global_load_dwordx2 v[24:25], v[18:19], off
	global_load_dwordx2 v[58:59], v[22:23], off
	v_lshl_add_u64 v[18:19], v[14:15], 3, s[10:11]
	v_add_u32_e32 v14, -2, v12
	v_lshl_add_u64 v[22:23], v[14:15], 3, s[8:9]
	v_add_u32_e32 v14, -12, v12
	s_waitcnt vmcnt(19)
	v_fmac_f64_e32 v[10:11], v[28:29], v[26:27]
	v_lshl_add_u64 v[26:27], v[14:15], 3, s[8:9]
	v_add_u32_e32 v14, 9, v16
	global_load_dwordx2 v[18:19], v[18:19], off
	s_nop 0
	global_load_dwordx2 v[28:29], v[22:23], off
	global_load_dwordx2 v[64:65], v[26:27], off
	v_lshl_add_u64 v[22:23], v[14:15], 3, s[10:11]
	v_add_u32_e32 v14, -1, v12
	v_lshl_add_u64 v[26:27], v[14:15], 3, s[8:9]
	v_add_u32_e32 v14, -11, v12
	s_waitcnt vmcnt(20)
	v_fmac_f64_e32 v[0:1], v[30:31], v[36:37]
	v_lshl_add_u64 v[30:31], v[14:15], 3, s[8:9]
	v_add_u32_e32 v14, 10, v16
	global_load_dwordx2 v[22:23], v[22:23], off
	s_waitcnt vmcnt(20)
	v_fmac_f64_e32 v[10:11], v[38:39], v[36:37]
	global_load_dwordx2 v[16:17], v[26:27], off
	global_load_dwordx2 v[36:37], v[30:31], off
	v_lshl_add_u64 v[26:27], v[14:15], 3, s[10:11]
	global_load_dwordx2 v[26:27], v[26:27], off
	s_waitcnt vmcnt(21)
	v_fmac_f64_e32 v[0:1], v[40:41], v[42:43]
	s_waitcnt vmcnt(20)
	v_fmac_f64_e32 v[10:11], v[48:49], v[42:43]
	;; [unrolled: 2-line block ×4, first 2 shown]
	v_add_u32_e32 v12, 0x58, v12
	s_waitcnt vmcnt(15)
	v_fmac_f64_e32 v[0:1], v[56:57], v[46:47]
	s_waitcnt vmcnt(14)
	v_fmac_f64_e32 v[10:11], v[60:61], v[46:47]
	;; [unrolled: 2-line block ×11, first 2 shown]
	v_fmac_f64_e32 v[10:11], v[34:35], v[26:27]
	s_andn2_b64 exec, exec, s[2:3]
	s_cbranch_execnz .LBB121_15
; %bb.16:
	s_or_b64 exec, exec, s[2:3]
.LBB121_17:
	s_or_b64 exec, exec, s[4:5]
.LBB121_18:
	v_mov_b32_dpp v8, v0 row_shr:1 row_mask:0xf bank_mask:0xf
	v_mov_b32_dpp v9, v1 row_shr:1 row_mask:0xf bank_mask:0xf
	;; [unrolled: 1-line block ×4, first 2 shown]
	v_add_f64 v[0:1], v[0:1], v[8:9]
	v_add_f64 v[10:11], v[10:11], v[12:13]
	v_cmp_eq_u32_e32 vcc, 3, v7
	v_mov_b32_dpp v8, v0 row_shr:2 row_mask:0xf bank_mask:0xf
	v_mov_b32_dpp v9, v1 row_shr:2 row_mask:0xf bank_mask:0xf
	;; [unrolled: 1-line block ×4, first 2 shown]
	s_and_b64 exec, exec, vcc
	s_cbranch_execz .LBB121_23
; %bb.19:
	s_load_dwordx2 s[0:1], s[0:1], 0x38
	v_add_f64 v[8:9], v[0:1], v[8:9]
	v_add_f64 v[0:1], v[10:11], v[12:13]
	v_cmp_eq_f64_e32 vcc, 0, v[4:5]
	s_and_saveexec_b64 s[2:3], vcc
	s_xor_b64 s[2:3], exec, s[2:3]
	s_cbranch_execz .LBB121_21
; %bb.20:
	v_lshlrev_b32_e32 v6, 1, v6
	v_ashrrev_i32_e32 v7, 31, v6
	v_mul_f64 v[4:5], v[2:3], v[8:9]
	s_waitcnt lgkmcnt(0)
	v_lshl_add_u64 v[8:9], v[6:7], 3, s[0:1]
	v_mul_f64 v[6:7], v[2:3], v[0:1]
	global_store_dwordx4 v[8:9], v[4:7], off
                                        ; implicit-def: $vgpr6
                                        ; implicit-def: $vgpr2_vgpr3
                                        ; implicit-def: $vgpr8_vgpr9
                                        ; implicit-def: $vgpr4_vgpr5
                                        ; implicit-def: $vgpr0_vgpr1
.LBB121_21:
	s_andn2_saveexec_b64 s[2:3], s[2:3]
	s_cbranch_execz .LBB121_23
; %bb.22:
	v_lshlrev_b32_e32 v6, 1, v6
	v_ashrrev_i32_e32 v7, 31, v6
	s_waitcnt lgkmcnt(0)
	v_lshl_add_u64 v[14:15], v[6:7], 3, s[0:1]
	global_load_dwordx4 v[10:13], v[14:15], off
	v_mul_f64 v[6:7], v[2:3], v[8:9]
	v_mul_f64 v[8:9], v[2:3], v[0:1]
	s_waitcnt vmcnt(0)
	v_fmac_f64_e32 v[6:7], v[4:5], v[10:11]
	v_fmac_f64_e32 v[8:9], v[4:5], v[12:13]
	global_store_dwordx4 v[14:15], v[6:9], off
.LBB121_23:
	s_endpgm
	.section	.rodata,"a",@progbits
	.p2align	6, 0x0
	.amdhsa_kernel _ZN9rocsparseL19gebsrmvn_2xn_kernelILj128ELj11ELj4EdEEvi20rocsparse_direction_NS_24const_host_device_scalarIT2_EEPKiS6_PKS3_S8_S4_PS3_21rocsparse_index_base_b
		.amdhsa_group_segment_fixed_size 0
		.amdhsa_private_segment_fixed_size 0
		.amdhsa_kernarg_size 72
		.amdhsa_user_sgpr_count 2
		.amdhsa_user_sgpr_dispatch_ptr 0
		.amdhsa_user_sgpr_queue_ptr 0
		.amdhsa_user_sgpr_kernarg_segment_ptr 1
		.amdhsa_user_sgpr_dispatch_id 0
		.amdhsa_user_sgpr_kernarg_preload_length 0
		.amdhsa_user_sgpr_kernarg_preload_offset 0
		.amdhsa_user_sgpr_private_segment_size 0
		.amdhsa_uses_dynamic_stack 0
		.amdhsa_enable_private_segment 0
		.amdhsa_system_sgpr_workgroup_id_x 1
		.amdhsa_system_sgpr_workgroup_id_y 0
		.amdhsa_system_sgpr_workgroup_id_z 0
		.amdhsa_system_sgpr_workgroup_info 0
		.amdhsa_system_vgpr_workitem_id 0
		.amdhsa_next_free_vgpr 70
		.amdhsa_next_free_sgpr 18
		.amdhsa_accum_offset 72
		.amdhsa_reserve_vcc 1
		.amdhsa_float_round_mode_32 0
		.amdhsa_float_round_mode_16_64 0
		.amdhsa_float_denorm_mode_32 3
		.amdhsa_float_denorm_mode_16_64 3
		.amdhsa_dx10_clamp 1
		.amdhsa_ieee_mode 1
		.amdhsa_fp16_overflow 0
		.amdhsa_tg_split 0
		.amdhsa_exception_fp_ieee_invalid_op 0
		.amdhsa_exception_fp_denorm_src 0
		.amdhsa_exception_fp_ieee_div_zero 0
		.amdhsa_exception_fp_ieee_overflow 0
		.amdhsa_exception_fp_ieee_underflow 0
		.amdhsa_exception_fp_ieee_inexact 0
		.amdhsa_exception_int_div_zero 0
	.end_amdhsa_kernel
	.section	.text._ZN9rocsparseL19gebsrmvn_2xn_kernelILj128ELj11ELj4EdEEvi20rocsparse_direction_NS_24const_host_device_scalarIT2_EEPKiS6_PKS3_S8_S4_PS3_21rocsparse_index_base_b,"axG",@progbits,_ZN9rocsparseL19gebsrmvn_2xn_kernelILj128ELj11ELj4EdEEvi20rocsparse_direction_NS_24const_host_device_scalarIT2_EEPKiS6_PKS3_S8_S4_PS3_21rocsparse_index_base_b,comdat
.Lfunc_end121:
	.size	_ZN9rocsparseL19gebsrmvn_2xn_kernelILj128ELj11ELj4EdEEvi20rocsparse_direction_NS_24const_host_device_scalarIT2_EEPKiS6_PKS3_S8_S4_PS3_21rocsparse_index_base_b, .Lfunc_end121-_ZN9rocsparseL19gebsrmvn_2xn_kernelILj128ELj11ELj4EdEEvi20rocsparse_direction_NS_24const_host_device_scalarIT2_EEPKiS6_PKS3_S8_S4_PS3_21rocsparse_index_base_b
                                        ; -- End function
	.section	.AMDGPU.csdata,"",@progbits
; Kernel info:
; codeLenInByte = 2124
; NumSgprs: 24
; NumVgprs: 70
; NumAgprs: 0
; TotalNumVgprs: 70
; ScratchSize: 0
; MemoryBound: 0
; FloatMode: 240
; IeeeMode: 1
; LDSByteSize: 0 bytes/workgroup (compile time only)
; SGPRBlocks: 2
; VGPRBlocks: 8
; NumSGPRsForWavesPerEU: 24
; NumVGPRsForWavesPerEU: 70
; AccumOffset: 72
; Occupancy: 7
; WaveLimiterHint : 1
; COMPUTE_PGM_RSRC2:SCRATCH_EN: 0
; COMPUTE_PGM_RSRC2:USER_SGPR: 2
; COMPUTE_PGM_RSRC2:TRAP_HANDLER: 0
; COMPUTE_PGM_RSRC2:TGID_X_EN: 1
; COMPUTE_PGM_RSRC2:TGID_Y_EN: 0
; COMPUTE_PGM_RSRC2:TGID_Z_EN: 0
; COMPUTE_PGM_RSRC2:TIDIG_COMP_CNT: 0
; COMPUTE_PGM_RSRC3_GFX90A:ACCUM_OFFSET: 17
; COMPUTE_PGM_RSRC3_GFX90A:TG_SPLIT: 0
	.section	.text._ZN9rocsparseL19gebsrmvn_2xn_kernelILj128ELj11ELj8EdEEvi20rocsparse_direction_NS_24const_host_device_scalarIT2_EEPKiS6_PKS3_S8_S4_PS3_21rocsparse_index_base_b,"axG",@progbits,_ZN9rocsparseL19gebsrmvn_2xn_kernelILj128ELj11ELj8EdEEvi20rocsparse_direction_NS_24const_host_device_scalarIT2_EEPKiS6_PKS3_S8_S4_PS3_21rocsparse_index_base_b,comdat
	.globl	_ZN9rocsparseL19gebsrmvn_2xn_kernelILj128ELj11ELj8EdEEvi20rocsparse_direction_NS_24const_host_device_scalarIT2_EEPKiS6_PKS3_S8_S4_PS3_21rocsparse_index_base_b ; -- Begin function _ZN9rocsparseL19gebsrmvn_2xn_kernelILj128ELj11ELj8EdEEvi20rocsparse_direction_NS_24const_host_device_scalarIT2_EEPKiS6_PKS3_S8_S4_PS3_21rocsparse_index_base_b
	.p2align	8
	.type	_ZN9rocsparseL19gebsrmvn_2xn_kernelILj128ELj11ELj8EdEEvi20rocsparse_direction_NS_24const_host_device_scalarIT2_EEPKiS6_PKS3_S8_S4_PS3_21rocsparse_index_base_b,@function
_ZN9rocsparseL19gebsrmvn_2xn_kernelILj128ELj11ELj8EdEEvi20rocsparse_direction_NS_24const_host_device_scalarIT2_EEPKiS6_PKS3_S8_S4_PS3_21rocsparse_index_base_b: ; @_ZN9rocsparseL19gebsrmvn_2xn_kernelILj128ELj11ELj8EdEEvi20rocsparse_direction_NS_24const_host_device_scalarIT2_EEPKiS6_PKS3_S8_S4_PS3_21rocsparse_index_base_b
; %bb.0:
	s_load_dwordx2 s[12:13], s[0:1], 0x40
	s_load_dwordx2 s[8:9], s[0:1], 0x8
	s_load_dwordx2 s[4:5], s[0:1], 0x30
	s_waitcnt lgkmcnt(0)
	s_bitcmp1_b32 s13, 0
	s_cselect_b64 s[10:11], -1, 0
	s_xor_b64 s[6:7], s[10:11], -1
	s_and_b64 vcc, exec, s[10:11]
	v_mov_b64_e32 v[2:3], s[8:9]
	s_cbranch_vccnz .LBB122_2
; %bb.1:
	v_mov_b64_e32 v[2:3], s[8:9]
	flat_load_dwordx2 v[2:3], v[2:3]
.LBB122_2:
	s_andn2_b64 vcc, exec, s[6:7]
	v_mov_b64_e32 v[4:5], s[4:5]
	s_cbranch_vccnz .LBB122_4
; %bb.3:
	v_mov_b64_e32 v[4:5], s[4:5]
	flat_load_dwordx2 v[4:5], v[4:5]
.LBB122_4:
	s_waitcnt vmcnt(0) lgkmcnt(0)
	v_cmp_neq_f64_e32 vcc, 0, v[2:3]
	v_cmp_neq_f64_e64 s[4:5], 1.0, v[4:5]
	s_or_b64 s[4:5], vcc, s[4:5]
	s_and_saveexec_b64 s[6:7], s[4:5]
	s_cbranch_execz .LBB122_23
; %bb.5:
	s_load_dwordx2 s[14:15], s[0:1], 0x0
	v_lshrrev_b32_e32 v1, 3, v0
	v_lshl_or_b32 v6, s2, 4, v1
	s_waitcnt lgkmcnt(0)
	v_cmp_gt_i32_e32 vcc, s14, v6
	s_and_b64 exec, exec, vcc
	s_cbranch_execz .LBB122_23
; %bb.6:
	s_load_dwordx8 s[4:11], s[0:1], 0x10
	v_ashrrev_i32_e32 v7, 31, v6
	s_cmp_lg_u32 s15, 0
	s_waitcnt lgkmcnt(0)
	v_lshl_add_u64 v[8:9], v[6:7], 2, s[4:5]
	global_load_dwordx2 v[8:9], v[8:9], off
	v_and_b32_e32 v7, 7, v0
	s_waitcnt vmcnt(0)
	v_subrev_u32_e32 v0, s12, v8
	v_subrev_u32_e32 v20, s12, v9
	v_add_u32_e32 v8, v0, v7
	v_cmp_lt_i32_e64 s[2:3], v8, v20
	s_cbranch_scc0 .LBB122_12
; %bb.7:
	v_mov_b64_e32 v[0:1], 0
	s_mov_b64 s[4:5], 0
	v_mov_b64_e32 v[10:11], v[0:1]
	s_and_saveexec_b64 s[14:15], s[2:3]
	s_cbranch_execz .LBB122_11
; %bb.8:
	v_mad_u64_u32 v[12:13], s[16:17], v8, 22, 20
	v_mov_b64_e32 v[0:1], 0
	s_mov_b64 s[16:17], 0
	v_mov_b32_e32 v15, 0
	v_mov_b32_e32 v16, v8
	v_mov_b64_e32 v[10:11], v[0:1]
.LBB122_9:                              ; =>This Inner Loop Header: Depth=1
	v_ashrrev_i32_e32 v17, 31, v16
	v_subrev_u32_e32 v14, 20, v12
	v_lshl_add_u64 v[26:27], v[16:17], 2, s[6:7]
	v_lshl_add_u64 v[28:29], v[14:15], 3, s[8:9]
	global_load_dword v9, v[26:27], off
	global_load_dwordx4 v[22:25], v[28:29], off
	v_mov_b32_e32 v13, v15
	v_mov_b32_e32 v19, v15
	v_subrev_u32_e32 v14, 18, v12
	v_lshl_add_u64 v[34:35], v[12:13], 3, s[8:9]
	v_lshl_add_u64 v[36:37], v[14:15], 3, s[8:9]
	global_load_dwordx4 v[26:29], v[34:35], off
	global_load_dwordx4 v[30:33], v[36:37], off
	v_add_u32_e32 v16, 8, v16
	v_cmp_ge_i32_e32 vcc, v16, v20
	s_or_b64 s[16:17], vcc, s[16:17]
	s_waitcnt vmcnt(3)
	v_subrev_u32_e32 v9, s12, v9
	v_mul_lo_u32 v18, v9, 11
	v_lshl_add_u64 v[34:35], v[18:19], 3, s[10:11]
	v_add_u32_e32 v14, 1, v18
	global_load_dwordx2 v[50:51], v[34:35], off
	v_lshl_add_u64 v[34:35], v[14:15], 3, s[10:11]
	v_add_u32_e32 v14, -16, v12
	global_load_dwordx2 v[52:53], v[34:35], off
	v_lshl_add_u64 v[34:35], v[14:15], 3, s[8:9]
	v_add_u32_e32 v14, 2, v18
	v_lshl_add_u64 v[38:39], v[14:15], 3, s[10:11]
	v_add_u32_e32 v14, -14, v12
	global_load_dwordx4 v[34:37], v[34:35], off
	s_waitcnt vmcnt(2)
	v_fmac_f64_e32 v[0:1], v[22:23], v[50:51]
	global_load_dwordx2 v[54:55], v[38:39], off
	v_lshl_add_u64 v[38:39], v[14:15], 3, s[8:9]
	v_add_u32_e32 v14, 3, v18
	v_lshl_add_u64 v[42:43], v[14:15], 3, s[10:11]
	global_load_dwordx4 v[38:41], v[38:39], off
	v_add_u32_e32 v14, -12, v12
	global_load_dwordx2 v[56:57], v[42:43], off
	v_lshl_add_u64 v[42:43], v[14:15], 3, s[8:9]
	v_add_u32_e32 v14, 4, v18
	v_lshl_add_u64 v[46:47], v[14:15], 3, s[10:11]
	v_add_u32_e32 v14, -10, v12
	global_load_dwordx2 v[58:59], v[46:47], off
	v_lshl_add_u64 v[46:47], v[14:15], 3, s[8:9]
	v_add_u32_e32 v14, 5, v18
	v_lshl_add_u64 v[60:61], v[14:15], 3, s[10:11]
	v_add_u32_e32 v14, -8, v12
	v_lshl_add_u64 v[22:23], v[14:15], 3, s[8:9]
	v_add_u32_e32 v14, 6, v18
	v_fmac_f64_e32 v[10:11], v[24:25], v[50:51]
	v_lshl_add_u64 v[50:51], v[14:15], 3, s[10:11]
	v_add_u32_e32 v14, -6, v12
	s_waitcnt vmcnt(5)
	v_fmac_f64_e32 v[0:1], v[30:31], v[52:53]
	v_lshl_add_u64 v[30:31], v[14:15], 3, s[8:9]
	v_add_u32_e32 v14, 7, v18
	global_load_dwordx4 v[42:45], v[42:43], off
	v_fmac_f64_e32 v[10:11], v[32:33], v[52:53]
	v_lshl_add_u64 v[52:53], v[14:15], 3, s[10:11]
	v_add_u32_e32 v14, -4, v12
	global_load_dwordx4 v[46:49], v[46:47], off
	s_waitcnt vmcnt(5)
	v_fmac_f64_e32 v[0:1], v[34:35], v[54:55]
	global_load_dwordx2 v[60:61], v[60:61], off
	v_lshl_add_u64 v[34:35], v[14:15], 3, s[8:9]
	v_add_u32_e32 v14, 8, v18
	global_load_dwordx4 v[22:25], v[22:23], off
	v_fmac_f64_e32 v[10:11], v[36:37], v[54:55]
	global_load_dwordx4 v[30:33], v[30:31], off
	v_lshl_add_u64 v[54:55], v[14:15], 3, s[10:11]
	global_load_dwordx2 v[50:51], v[50:51], off
	v_add_u32_e32 v14, -2, v12
	global_load_dwordx2 v[52:53], v[52:53], off
	v_add_u32_e32 v12, 0xb0, v12
	global_load_dwordx2 v[54:55], v[54:55], off
	s_nop 0
	global_load_dwordx4 v[34:37], v[34:35], off
	s_waitcnt vmcnt(10)
	v_fmac_f64_e32 v[0:1], v[38:39], v[56:57]
	v_lshl_add_u64 v[38:39], v[14:15], 3, s[8:9]
	v_add_u32_e32 v14, 9, v18
	v_fmac_f64_e32 v[10:11], v[40:41], v[56:57]
	v_lshl_add_u64 v[56:57], v[14:15], 3, s[10:11]
	v_add_u32_e32 v14, 10, v18
	global_load_dwordx2 v[18:19], v[56:57], off
	v_lshl_add_u64 v[56:57], v[14:15], 3, s[10:11]
	global_load_dwordx4 v[38:41], v[38:39], off
	s_waitcnt vmcnt(10)
	v_fmac_f64_e32 v[0:1], v[42:43], v[58:59]
	global_load_dwordx2 v[56:57], v[56:57], off
	v_fmac_f64_e32 v[10:11], v[44:45], v[58:59]
	s_waitcnt vmcnt(9)
	v_fmac_f64_e32 v[0:1], v[46:47], v[60:61]
	v_fmac_f64_e32 v[10:11], v[48:49], v[60:61]
	s_waitcnt vmcnt(6)
	v_fmac_f64_e32 v[0:1], v[22:23], v[50:51]
	;; [unrolled: 3-line block ×6, first 2 shown]
	v_fmac_f64_e32 v[10:11], v[28:29], v[56:57]
	s_andn2_b64 exec, exec, s[16:17]
	s_cbranch_execnz .LBB122_9
; %bb.10:
	s_or_b64 exec, exec, s[16:17]
.LBB122_11:
	s_or_b64 exec, exec, s[14:15]
	s_andn2_b64 vcc, exec, s[4:5]
	s_cbranch_vccz .LBB122_13
	s_branch .LBB122_18
.LBB122_12:
                                        ; implicit-def: $vgpr0_vgpr1
                                        ; implicit-def: $vgpr10_vgpr11
.LBB122_13:
	v_mov_b64_e32 v[0:1], 0
	v_mov_b64_e32 v[10:11], v[0:1]
	s_and_saveexec_b64 s[4:5], s[2:3]
	s_cbranch_execz .LBB122_17
; %bb.14:
	v_mad_u64_u32 v[12:13], s[2:3], v8, 22, 21
	v_mov_b64_e32 v[0:1], 0
	s_mov_b64 s[2:3], 0
	v_mov_b32_e32 v15, 0
	v_mov_b64_e32 v[10:11], v[0:1]
.LBB122_15:                             ; =>This Inner Loop Header: Depth=1
	v_ashrrev_i32_e32 v9, 31, v8
	v_subrev_u32_e32 v14, 21, v12
	v_add_u32_e32 v18, -10, v12
	v_mov_b32_e32 v19, v15
	v_mov_b32_e32 v13, v15
	v_lshl_add_u64 v[26:27], v[8:9], 2, s[6:7]
	v_lshl_add_u64 v[28:29], v[14:15], 3, s[8:9]
	v_lshl_add_u64 v[18:19], v[18:19], 3, s[8:9]
	v_lshl_add_u64 v[30:31], v[12:13], 3, s[8:9]
	global_load_dword v9, v[26:27], off
	global_load_dwordx4 v[22:25], v[28:29], off
	global_load_dwordx2 v[32:33], v[18:19], off
	global_load_dwordx2 v[34:35], v[30:31], off
	v_mov_b32_e32 v17, v15
	v_add_u32_e32 v8, 8, v8
	v_cmp_ge_i32_e32 vcc, v8, v20
	s_or_b64 s[2:3], vcc, s[2:3]
	s_waitcnt vmcnt(3)
	v_subrev_u32_e32 v9, s12, v9
	v_mul_lo_u32 v16, v9, 11
	v_lshl_add_u64 v[18:19], v[16:17], 3, s[10:11]
	global_load_dwordx2 v[18:19], v[18:19], off
	v_add_u32_e32 v14, 1, v16
	v_lshl_add_u64 v[26:27], v[14:15], 3, s[10:11]
	global_load_dwordx2 v[26:27], v[26:27], off
	v_add_u32_e32 v14, -9, v12
	v_lshl_add_u64 v[28:29], v[14:15], 3, s[8:9]
	v_subrev_u32_e32 v14, 19, v12
	global_load_dwordx2 v[28:29], v[28:29], off
	v_lshl_add_u64 v[30:31], v[14:15], 3, s[8:9]
	global_load_dwordx2 v[30:31], v[30:31], off
	v_add_u32_e32 v14, 2, v16
	v_lshl_add_u64 v[36:37], v[14:15], 3, s[10:11]
	v_add_u32_e32 v14, -8, v12
	global_load_dwordx2 v[36:37], v[36:37], off
	v_lshl_add_u64 v[38:39], v[14:15], 3, s[8:9]
	global_load_dwordx2 v[38:39], v[38:39], off
	v_subrev_u32_e32 v14, 18, v12
	v_lshl_add_u64 v[40:41], v[14:15], 3, s[8:9]
	global_load_dwordx2 v[40:41], v[40:41], off
	v_add_u32_e32 v14, 3, v16
	v_lshl_add_u64 v[42:43], v[14:15], 3, s[10:11]
	v_add_u32_e32 v14, -7, v12
	v_lshl_add_u64 v[44:45], v[14:15], 3, s[8:9]
	v_subrev_u32_e32 v14, 17, v12
	v_lshl_add_u64 v[46:47], v[14:15], 3, s[8:9]
	v_add_u32_e32 v14, 4, v16
	global_load_dwordx2 v[42:43], v[42:43], off
	s_nop 0
	global_load_dwordx2 v[48:49], v[44:45], off
	global_load_dwordx2 v[50:51], v[46:47], off
	v_lshl_add_u64 v[44:45], v[14:15], 3, s[10:11]
	v_add_u32_e32 v14, -6, v12
	v_lshl_add_u64 v[46:47], v[14:15], 3, s[8:9]
	v_add_u32_e32 v14, -16, v12
	v_lshl_add_u64 v[52:53], v[14:15], 3, s[8:9]
	v_add_u32_e32 v14, 5, v16
	global_load_dwordx2 v[44:45], v[44:45], off
	s_nop 0
	global_load_dwordx2 v[54:55], v[46:47], off
	global_load_dwordx2 v[56:57], v[52:53], off
	v_lshl_add_u64 v[46:47], v[14:15], 3, s[10:11]
	v_add_u32_e32 v14, -5, v12
	v_lshl_add_u64 v[52:53], v[14:15], 3, s[8:9]
	v_add_u32_e32 v14, -15, v12
	;; [unrolled: 10-line block ×3, first 2 shown]
	v_lshl_add_u64 v[64:65], v[14:15], 3, s[8:9]
	v_add_u32_e32 v14, 7, v16
	global_load_dwordx2 v[52:53], v[52:53], off
	s_nop 0
	global_load_dwordx2 v[66:67], v[58:59], off
	global_load_dwordx2 v[68:69], v[64:65], off
	s_waitcnt vmcnt(18)
	v_fmac_f64_e32 v[10:11], v[32:33], v[18:19]
	v_lshl_add_u64 v[32:33], v[14:15], 3, s[10:11]
	v_add_u32_e32 v14, -3, v12
	v_fmac_f64_e32 v[0:1], v[22:23], v[18:19]
	v_lshl_add_u64 v[18:19], v[14:15], 3, s[8:9]
	v_add_u32_e32 v14, -13, v12
	v_lshl_add_u64 v[22:23], v[14:15], 3, s[8:9]
	v_add_u32_e32 v14, 8, v16
	global_load_dwordx2 v[32:33], v[32:33], off
	s_waitcnt vmcnt(18)
	v_fmac_f64_e32 v[0:1], v[24:25], v[26:27]
	global_load_dwordx2 v[24:25], v[18:19], off
	global_load_dwordx2 v[58:59], v[22:23], off
	v_lshl_add_u64 v[18:19], v[14:15], 3, s[10:11]
	v_add_u32_e32 v14, -2, v12
	v_lshl_add_u64 v[22:23], v[14:15], 3, s[8:9]
	v_add_u32_e32 v14, -12, v12
	s_waitcnt vmcnt(19)
	v_fmac_f64_e32 v[10:11], v[28:29], v[26:27]
	v_lshl_add_u64 v[26:27], v[14:15], 3, s[8:9]
	v_add_u32_e32 v14, 9, v16
	global_load_dwordx2 v[18:19], v[18:19], off
	s_nop 0
	global_load_dwordx2 v[28:29], v[22:23], off
	global_load_dwordx2 v[64:65], v[26:27], off
	v_lshl_add_u64 v[22:23], v[14:15], 3, s[10:11]
	v_add_u32_e32 v14, -1, v12
	v_lshl_add_u64 v[26:27], v[14:15], 3, s[8:9]
	v_add_u32_e32 v14, -11, v12
	s_waitcnt vmcnt(20)
	v_fmac_f64_e32 v[0:1], v[30:31], v[36:37]
	v_lshl_add_u64 v[30:31], v[14:15], 3, s[8:9]
	v_add_u32_e32 v14, 10, v16
	global_load_dwordx2 v[22:23], v[22:23], off
	s_waitcnt vmcnt(20)
	v_fmac_f64_e32 v[10:11], v[38:39], v[36:37]
	global_load_dwordx2 v[16:17], v[26:27], off
	global_load_dwordx2 v[36:37], v[30:31], off
	v_lshl_add_u64 v[26:27], v[14:15], 3, s[10:11]
	global_load_dwordx2 v[26:27], v[26:27], off
	s_waitcnt vmcnt(21)
	v_fmac_f64_e32 v[0:1], v[40:41], v[42:43]
	s_waitcnt vmcnt(20)
	v_fmac_f64_e32 v[10:11], v[48:49], v[42:43]
	;; [unrolled: 2-line block ×4, first 2 shown]
	v_add_u32_e32 v12, 0xb0, v12
	s_waitcnt vmcnt(15)
	v_fmac_f64_e32 v[0:1], v[56:57], v[46:47]
	s_waitcnt vmcnt(14)
	v_fmac_f64_e32 v[10:11], v[60:61], v[46:47]
	s_waitcnt vmcnt(12)
	v_fmac_f64_e32 v[0:1], v[62:63], v[52:53]
	s_waitcnt vmcnt(11)
	v_fmac_f64_e32 v[10:11], v[66:67], v[52:53]
	s_waitcnt vmcnt(9)
	v_fmac_f64_e32 v[0:1], v[68:69], v[32:33]
	s_waitcnt vmcnt(8)
	v_fmac_f64_e32 v[10:11], v[24:25], v[32:33]
	s_waitcnt vmcnt(6)
	v_fmac_f64_e32 v[0:1], v[58:59], v[18:19]
	s_waitcnt vmcnt(5)
	v_fmac_f64_e32 v[10:11], v[28:29], v[18:19]
	s_waitcnt vmcnt(3)
	v_fmac_f64_e32 v[0:1], v[64:65], v[22:23]
	s_waitcnt vmcnt(2)
	v_fmac_f64_e32 v[10:11], v[16:17], v[22:23]
	s_waitcnt vmcnt(0)
	v_fmac_f64_e32 v[0:1], v[36:37], v[26:27]
	v_fmac_f64_e32 v[10:11], v[34:35], v[26:27]
	s_andn2_b64 exec, exec, s[2:3]
	s_cbranch_execnz .LBB122_15
; %bb.16:
	s_or_b64 exec, exec, s[2:3]
.LBB122_17:
	s_or_b64 exec, exec, s[4:5]
.LBB122_18:
	v_mov_b32_dpp v8, v0 row_shr:1 row_mask:0xf bank_mask:0xf
	v_mov_b32_dpp v9, v1 row_shr:1 row_mask:0xf bank_mask:0xf
	;; [unrolled: 1-line block ×4, first 2 shown]
	v_add_f64 v[0:1], v[0:1], v[8:9]
	v_add_f64 v[10:11], v[10:11], v[12:13]
	v_cmp_eq_u32_e32 vcc, 7, v7
	v_mov_b32_dpp v8, v0 row_shr:2 row_mask:0xf bank_mask:0xf
	v_mov_b32_dpp v9, v1 row_shr:2 row_mask:0xf bank_mask:0xf
	;; [unrolled: 1-line block ×4, first 2 shown]
	v_add_f64 v[0:1], v[0:1], v[8:9]
	v_add_f64 v[10:11], v[10:11], v[12:13]
	s_nop 0
	v_mov_b32_dpp v8, v0 row_shr:4 row_mask:0xf bank_mask:0xe
	v_mov_b32_dpp v9, v1 row_shr:4 row_mask:0xf bank_mask:0xe
	;; [unrolled: 1-line block ×4, first 2 shown]
	s_and_b64 exec, exec, vcc
	s_cbranch_execz .LBB122_23
; %bb.19:
	s_load_dwordx2 s[0:1], s[0:1], 0x38
	v_add_f64 v[8:9], v[0:1], v[8:9]
	v_add_f64 v[0:1], v[10:11], v[12:13]
	v_cmp_eq_f64_e32 vcc, 0, v[4:5]
	s_and_saveexec_b64 s[2:3], vcc
	s_xor_b64 s[2:3], exec, s[2:3]
	s_cbranch_execz .LBB122_21
; %bb.20:
	v_lshlrev_b32_e32 v6, 1, v6
	v_ashrrev_i32_e32 v7, 31, v6
	v_mul_f64 v[4:5], v[2:3], v[8:9]
	s_waitcnt lgkmcnt(0)
	v_lshl_add_u64 v[8:9], v[6:7], 3, s[0:1]
	v_mul_f64 v[6:7], v[2:3], v[0:1]
	global_store_dwordx4 v[8:9], v[4:7], off
                                        ; implicit-def: $vgpr6
                                        ; implicit-def: $vgpr2_vgpr3
                                        ; implicit-def: $vgpr8_vgpr9
                                        ; implicit-def: $vgpr4_vgpr5
                                        ; implicit-def: $vgpr0_vgpr1
.LBB122_21:
	s_andn2_saveexec_b64 s[2:3], s[2:3]
	s_cbranch_execz .LBB122_23
; %bb.22:
	v_lshlrev_b32_e32 v6, 1, v6
	v_ashrrev_i32_e32 v7, 31, v6
	s_waitcnt lgkmcnt(0)
	v_lshl_add_u64 v[14:15], v[6:7], 3, s[0:1]
	global_load_dwordx4 v[10:13], v[14:15], off
	v_mul_f64 v[6:7], v[2:3], v[8:9]
	v_mul_f64 v[8:9], v[2:3], v[0:1]
	s_waitcnt vmcnt(0)
	v_fmac_f64_e32 v[6:7], v[4:5], v[10:11]
	v_fmac_f64_e32 v[8:9], v[4:5], v[12:13]
	global_store_dwordx4 v[14:15], v[6:9], off
.LBB122_23:
	s_endpgm
	.section	.rodata,"a",@progbits
	.p2align	6, 0x0
	.amdhsa_kernel _ZN9rocsparseL19gebsrmvn_2xn_kernelILj128ELj11ELj8EdEEvi20rocsparse_direction_NS_24const_host_device_scalarIT2_EEPKiS6_PKS3_S8_S4_PS3_21rocsparse_index_base_b
		.amdhsa_group_segment_fixed_size 0
		.amdhsa_private_segment_fixed_size 0
		.amdhsa_kernarg_size 72
		.amdhsa_user_sgpr_count 2
		.amdhsa_user_sgpr_dispatch_ptr 0
		.amdhsa_user_sgpr_queue_ptr 0
		.amdhsa_user_sgpr_kernarg_segment_ptr 1
		.amdhsa_user_sgpr_dispatch_id 0
		.amdhsa_user_sgpr_kernarg_preload_length 0
		.amdhsa_user_sgpr_kernarg_preload_offset 0
		.amdhsa_user_sgpr_private_segment_size 0
		.amdhsa_uses_dynamic_stack 0
		.amdhsa_enable_private_segment 0
		.amdhsa_system_sgpr_workgroup_id_x 1
		.amdhsa_system_sgpr_workgroup_id_y 0
		.amdhsa_system_sgpr_workgroup_id_z 0
		.amdhsa_system_sgpr_workgroup_info 0
		.amdhsa_system_vgpr_workitem_id 0
		.amdhsa_next_free_vgpr 70
		.amdhsa_next_free_sgpr 18
		.amdhsa_accum_offset 72
		.amdhsa_reserve_vcc 1
		.amdhsa_float_round_mode_32 0
		.amdhsa_float_round_mode_16_64 0
		.amdhsa_float_denorm_mode_32 3
		.amdhsa_float_denorm_mode_16_64 3
		.amdhsa_dx10_clamp 1
		.amdhsa_ieee_mode 1
		.amdhsa_fp16_overflow 0
		.amdhsa_tg_split 0
		.amdhsa_exception_fp_ieee_invalid_op 0
		.amdhsa_exception_fp_denorm_src 0
		.amdhsa_exception_fp_ieee_div_zero 0
		.amdhsa_exception_fp_ieee_overflow 0
		.amdhsa_exception_fp_ieee_underflow 0
		.amdhsa_exception_fp_ieee_inexact 0
		.amdhsa_exception_int_div_zero 0
	.end_amdhsa_kernel
	.section	.text._ZN9rocsparseL19gebsrmvn_2xn_kernelILj128ELj11ELj8EdEEvi20rocsparse_direction_NS_24const_host_device_scalarIT2_EEPKiS6_PKS3_S8_S4_PS3_21rocsparse_index_base_b,"axG",@progbits,_ZN9rocsparseL19gebsrmvn_2xn_kernelILj128ELj11ELj8EdEEvi20rocsparse_direction_NS_24const_host_device_scalarIT2_EEPKiS6_PKS3_S8_S4_PS3_21rocsparse_index_base_b,comdat
.Lfunc_end122:
	.size	_ZN9rocsparseL19gebsrmvn_2xn_kernelILj128ELj11ELj8EdEEvi20rocsparse_direction_NS_24const_host_device_scalarIT2_EEPKiS6_PKS3_S8_S4_PS3_21rocsparse_index_base_b, .Lfunc_end122-_ZN9rocsparseL19gebsrmvn_2xn_kernelILj128ELj11ELj8EdEEvi20rocsparse_direction_NS_24const_host_device_scalarIT2_EEPKiS6_PKS3_S8_S4_PS3_21rocsparse_index_base_b
                                        ; -- End function
	.section	.AMDGPU.csdata,"",@progbits
; Kernel info:
; codeLenInByte = 2176
; NumSgprs: 24
; NumVgprs: 70
; NumAgprs: 0
; TotalNumVgprs: 70
; ScratchSize: 0
; MemoryBound: 0
; FloatMode: 240
; IeeeMode: 1
; LDSByteSize: 0 bytes/workgroup (compile time only)
; SGPRBlocks: 2
; VGPRBlocks: 8
; NumSGPRsForWavesPerEU: 24
; NumVGPRsForWavesPerEU: 70
; AccumOffset: 72
; Occupancy: 7
; WaveLimiterHint : 1
; COMPUTE_PGM_RSRC2:SCRATCH_EN: 0
; COMPUTE_PGM_RSRC2:USER_SGPR: 2
; COMPUTE_PGM_RSRC2:TRAP_HANDLER: 0
; COMPUTE_PGM_RSRC2:TGID_X_EN: 1
; COMPUTE_PGM_RSRC2:TGID_Y_EN: 0
; COMPUTE_PGM_RSRC2:TGID_Z_EN: 0
; COMPUTE_PGM_RSRC2:TIDIG_COMP_CNT: 0
; COMPUTE_PGM_RSRC3_GFX90A:ACCUM_OFFSET: 17
; COMPUTE_PGM_RSRC3_GFX90A:TG_SPLIT: 0
	.section	.text._ZN9rocsparseL19gebsrmvn_2xn_kernelILj128ELj11ELj16EdEEvi20rocsparse_direction_NS_24const_host_device_scalarIT2_EEPKiS6_PKS3_S8_S4_PS3_21rocsparse_index_base_b,"axG",@progbits,_ZN9rocsparseL19gebsrmvn_2xn_kernelILj128ELj11ELj16EdEEvi20rocsparse_direction_NS_24const_host_device_scalarIT2_EEPKiS6_PKS3_S8_S4_PS3_21rocsparse_index_base_b,comdat
	.globl	_ZN9rocsparseL19gebsrmvn_2xn_kernelILj128ELj11ELj16EdEEvi20rocsparse_direction_NS_24const_host_device_scalarIT2_EEPKiS6_PKS3_S8_S4_PS3_21rocsparse_index_base_b ; -- Begin function _ZN9rocsparseL19gebsrmvn_2xn_kernelILj128ELj11ELj16EdEEvi20rocsparse_direction_NS_24const_host_device_scalarIT2_EEPKiS6_PKS3_S8_S4_PS3_21rocsparse_index_base_b
	.p2align	8
	.type	_ZN9rocsparseL19gebsrmvn_2xn_kernelILj128ELj11ELj16EdEEvi20rocsparse_direction_NS_24const_host_device_scalarIT2_EEPKiS6_PKS3_S8_S4_PS3_21rocsparse_index_base_b,@function
_ZN9rocsparseL19gebsrmvn_2xn_kernelILj128ELj11ELj16EdEEvi20rocsparse_direction_NS_24const_host_device_scalarIT2_EEPKiS6_PKS3_S8_S4_PS3_21rocsparse_index_base_b: ; @_ZN9rocsparseL19gebsrmvn_2xn_kernelILj128ELj11ELj16EdEEvi20rocsparse_direction_NS_24const_host_device_scalarIT2_EEPKiS6_PKS3_S8_S4_PS3_21rocsparse_index_base_b
; %bb.0:
	s_load_dwordx2 s[12:13], s[0:1], 0x40
	s_load_dwordx2 s[8:9], s[0:1], 0x8
	;; [unrolled: 1-line block ×3, first 2 shown]
	s_waitcnt lgkmcnt(0)
	s_bitcmp1_b32 s13, 0
	s_cselect_b64 s[10:11], -1, 0
	s_xor_b64 s[6:7], s[10:11], -1
	s_and_b64 vcc, exec, s[10:11]
	v_mov_b64_e32 v[2:3], s[8:9]
	s_cbranch_vccnz .LBB123_2
; %bb.1:
	v_mov_b64_e32 v[2:3], s[8:9]
	flat_load_dwordx2 v[2:3], v[2:3]
.LBB123_2:
	s_andn2_b64 vcc, exec, s[6:7]
	v_mov_b64_e32 v[4:5], s[4:5]
	s_cbranch_vccnz .LBB123_4
; %bb.3:
	v_mov_b64_e32 v[4:5], s[4:5]
	flat_load_dwordx2 v[4:5], v[4:5]
.LBB123_4:
	s_waitcnt vmcnt(0) lgkmcnt(0)
	v_cmp_neq_f64_e32 vcc, 0, v[2:3]
	v_cmp_neq_f64_e64 s[4:5], 1.0, v[4:5]
	s_or_b64 s[4:5], vcc, s[4:5]
	s_and_saveexec_b64 s[6:7], s[4:5]
	s_cbranch_execz .LBB123_23
; %bb.5:
	s_load_dwordx2 s[14:15], s[0:1], 0x0
	v_lshrrev_b32_e32 v1, 4, v0
	v_lshl_or_b32 v6, s2, 3, v1
	s_waitcnt lgkmcnt(0)
	v_cmp_gt_i32_e32 vcc, s14, v6
	s_and_b64 exec, exec, vcc
	s_cbranch_execz .LBB123_23
; %bb.6:
	s_load_dwordx8 s[4:11], s[0:1], 0x10
	v_ashrrev_i32_e32 v7, 31, v6
	s_cmp_lg_u32 s15, 0
	s_waitcnt lgkmcnt(0)
	v_lshl_add_u64 v[8:9], v[6:7], 2, s[4:5]
	global_load_dwordx2 v[8:9], v[8:9], off
	v_and_b32_e32 v7, 15, v0
	s_waitcnt vmcnt(0)
	v_subrev_u32_e32 v0, s12, v8
	v_subrev_u32_e32 v20, s12, v9
	v_add_u32_e32 v10, v0, v7
	v_cmp_lt_i32_e64 s[2:3], v10, v20
	s_cbranch_scc0 .LBB123_12
; %bb.7:
	v_mov_b64_e32 v[0:1], 0
	s_mov_b64 s[4:5], 0
	v_mov_b64_e32 v[8:9], v[0:1]
	s_and_saveexec_b64 s[14:15], s[2:3]
	s_cbranch_execz .LBB123_11
; %bb.8:
	v_mad_u64_u32 v[12:13], s[16:17], v10, 22, 20
	v_mov_b64_e32 v[0:1], 0
	s_mov_b64 s[16:17], 0
	v_mov_b32_e32 v15, 0
	v_mov_b32_e32 v16, v10
	v_mov_b64_e32 v[8:9], v[0:1]
.LBB123_9:                              ; =>This Inner Loop Header: Depth=1
	v_ashrrev_i32_e32 v17, 31, v16
	v_subrev_u32_e32 v14, 20, v12
	v_lshl_add_u64 v[26:27], v[16:17], 2, s[6:7]
	v_lshl_add_u64 v[28:29], v[14:15], 3, s[8:9]
	global_load_dword v11, v[26:27], off
	global_load_dwordx4 v[22:25], v[28:29], off
	v_mov_b32_e32 v13, v15
	v_mov_b32_e32 v19, v15
	v_subrev_u32_e32 v14, 18, v12
	v_lshl_add_u64 v[34:35], v[12:13], 3, s[8:9]
	v_lshl_add_u64 v[36:37], v[14:15], 3, s[8:9]
	global_load_dwordx4 v[26:29], v[34:35], off
	global_load_dwordx4 v[30:33], v[36:37], off
	v_add_u32_e32 v16, 16, v16
	v_cmp_ge_i32_e32 vcc, v16, v20
	s_or_b64 s[16:17], vcc, s[16:17]
	s_waitcnt vmcnt(3)
	v_subrev_u32_e32 v11, s12, v11
	v_mul_lo_u32 v18, v11, 11
	v_lshl_add_u64 v[34:35], v[18:19], 3, s[10:11]
	v_add_u32_e32 v14, 1, v18
	global_load_dwordx2 v[50:51], v[34:35], off
	v_lshl_add_u64 v[34:35], v[14:15], 3, s[10:11]
	v_add_u32_e32 v14, -16, v12
	global_load_dwordx2 v[52:53], v[34:35], off
	v_lshl_add_u64 v[34:35], v[14:15], 3, s[8:9]
	v_add_u32_e32 v14, 2, v18
	v_lshl_add_u64 v[38:39], v[14:15], 3, s[10:11]
	v_add_u32_e32 v14, -14, v12
	global_load_dwordx4 v[34:37], v[34:35], off
	s_waitcnt vmcnt(2)
	v_fmac_f64_e32 v[0:1], v[22:23], v[50:51]
	global_load_dwordx2 v[54:55], v[38:39], off
	v_lshl_add_u64 v[38:39], v[14:15], 3, s[8:9]
	v_add_u32_e32 v14, 3, v18
	v_lshl_add_u64 v[42:43], v[14:15], 3, s[10:11]
	global_load_dwordx4 v[38:41], v[38:39], off
	v_add_u32_e32 v14, -12, v12
	global_load_dwordx2 v[56:57], v[42:43], off
	v_lshl_add_u64 v[42:43], v[14:15], 3, s[8:9]
	v_add_u32_e32 v14, 4, v18
	v_lshl_add_u64 v[46:47], v[14:15], 3, s[10:11]
	v_add_u32_e32 v14, -10, v12
	global_load_dwordx2 v[58:59], v[46:47], off
	v_lshl_add_u64 v[46:47], v[14:15], 3, s[8:9]
	v_add_u32_e32 v14, 5, v18
	v_lshl_add_u64 v[60:61], v[14:15], 3, s[10:11]
	v_add_u32_e32 v14, -8, v12
	v_lshl_add_u64 v[22:23], v[14:15], 3, s[8:9]
	v_add_u32_e32 v14, 6, v18
	v_fmac_f64_e32 v[8:9], v[24:25], v[50:51]
	v_lshl_add_u64 v[50:51], v[14:15], 3, s[10:11]
	v_add_u32_e32 v14, -6, v12
	s_waitcnt vmcnt(5)
	v_fmac_f64_e32 v[0:1], v[30:31], v[52:53]
	v_lshl_add_u64 v[30:31], v[14:15], 3, s[8:9]
	v_add_u32_e32 v14, 7, v18
	global_load_dwordx4 v[42:45], v[42:43], off
	v_fmac_f64_e32 v[8:9], v[32:33], v[52:53]
	v_lshl_add_u64 v[52:53], v[14:15], 3, s[10:11]
	v_add_u32_e32 v14, -4, v12
	global_load_dwordx4 v[46:49], v[46:47], off
	s_waitcnt vmcnt(5)
	v_fmac_f64_e32 v[0:1], v[34:35], v[54:55]
	global_load_dwordx2 v[60:61], v[60:61], off
	v_lshl_add_u64 v[34:35], v[14:15], 3, s[8:9]
	v_add_u32_e32 v14, 8, v18
	global_load_dwordx4 v[22:25], v[22:23], off
	v_fmac_f64_e32 v[8:9], v[36:37], v[54:55]
	global_load_dwordx4 v[30:33], v[30:31], off
	v_lshl_add_u64 v[54:55], v[14:15], 3, s[10:11]
	global_load_dwordx2 v[50:51], v[50:51], off
	v_add_u32_e32 v14, -2, v12
	global_load_dwordx2 v[52:53], v[52:53], off
	v_add_u32_e32 v12, 0x160, v12
	global_load_dwordx2 v[54:55], v[54:55], off
	s_nop 0
	global_load_dwordx4 v[34:37], v[34:35], off
	s_waitcnt vmcnt(10)
	v_fmac_f64_e32 v[0:1], v[38:39], v[56:57]
	v_lshl_add_u64 v[38:39], v[14:15], 3, s[8:9]
	v_add_u32_e32 v14, 9, v18
	v_fmac_f64_e32 v[8:9], v[40:41], v[56:57]
	v_lshl_add_u64 v[56:57], v[14:15], 3, s[10:11]
	v_add_u32_e32 v14, 10, v18
	global_load_dwordx2 v[18:19], v[56:57], off
	v_lshl_add_u64 v[56:57], v[14:15], 3, s[10:11]
	global_load_dwordx4 v[38:41], v[38:39], off
	s_waitcnt vmcnt(10)
	v_fmac_f64_e32 v[0:1], v[42:43], v[58:59]
	global_load_dwordx2 v[56:57], v[56:57], off
	v_fmac_f64_e32 v[8:9], v[44:45], v[58:59]
	s_waitcnt vmcnt(9)
	v_fmac_f64_e32 v[0:1], v[46:47], v[60:61]
	v_fmac_f64_e32 v[8:9], v[48:49], v[60:61]
	s_waitcnt vmcnt(6)
	v_fmac_f64_e32 v[0:1], v[22:23], v[50:51]
	;; [unrolled: 3-line block ×6, first 2 shown]
	v_fmac_f64_e32 v[8:9], v[28:29], v[56:57]
	s_andn2_b64 exec, exec, s[16:17]
	s_cbranch_execnz .LBB123_9
; %bb.10:
	s_or_b64 exec, exec, s[16:17]
.LBB123_11:
	s_or_b64 exec, exec, s[14:15]
	s_andn2_b64 vcc, exec, s[4:5]
	s_cbranch_vccz .LBB123_13
	s_branch .LBB123_18
.LBB123_12:
                                        ; implicit-def: $vgpr0_vgpr1
                                        ; implicit-def: $vgpr8_vgpr9
.LBB123_13:
	v_mov_b64_e32 v[0:1], 0
	v_mov_b64_e32 v[8:9], v[0:1]
	s_and_saveexec_b64 s[4:5], s[2:3]
	s_cbranch_execz .LBB123_17
; %bb.14:
	v_mad_u64_u32 v[12:13], s[2:3], v10, 22, 21
	v_mov_b64_e32 v[0:1], 0
	s_mov_b64 s[2:3], 0
	v_mov_b32_e32 v15, 0
	v_mov_b64_e32 v[8:9], v[0:1]
.LBB123_15:                             ; =>This Inner Loop Header: Depth=1
	v_ashrrev_i32_e32 v11, 31, v10
	v_subrev_u32_e32 v14, 21, v12
	v_add_u32_e32 v18, -10, v12
	v_mov_b32_e32 v19, v15
	v_mov_b32_e32 v13, v15
	v_lshl_add_u64 v[26:27], v[10:11], 2, s[6:7]
	v_lshl_add_u64 v[28:29], v[14:15], 3, s[8:9]
	;; [unrolled: 1-line block ×4, first 2 shown]
	global_load_dword v11, v[26:27], off
	global_load_dwordx4 v[22:25], v[28:29], off
	global_load_dwordx2 v[32:33], v[18:19], off
	global_load_dwordx2 v[34:35], v[30:31], off
	v_mov_b32_e32 v17, v15
	v_add_u32_e32 v10, 16, v10
	v_cmp_ge_i32_e32 vcc, v10, v20
	s_or_b64 s[2:3], vcc, s[2:3]
	s_waitcnt vmcnt(3)
	v_subrev_u32_e32 v11, s12, v11
	v_mul_lo_u32 v16, v11, 11
	v_lshl_add_u64 v[18:19], v[16:17], 3, s[10:11]
	global_load_dwordx2 v[18:19], v[18:19], off
	v_add_u32_e32 v14, 1, v16
	v_lshl_add_u64 v[26:27], v[14:15], 3, s[10:11]
	global_load_dwordx2 v[26:27], v[26:27], off
	v_add_u32_e32 v14, -9, v12
	v_lshl_add_u64 v[28:29], v[14:15], 3, s[8:9]
	v_subrev_u32_e32 v14, 19, v12
	global_load_dwordx2 v[28:29], v[28:29], off
	v_lshl_add_u64 v[30:31], v[14:15], 3, s[8:9]
	global_load_dwordx2 v[30:31], v[30:31], off
	v_add_u32_e32 v14, 2, v16
	v_lshl_add_u64 v[36:37], v[14:15], 3, s[10:11]
	v_add_u32_e32 v14, -8, v12
	global_load_dwordx2 v[36:37], v[36:37], off
	v_lshl_add_u64 v[38:39], v[14:15], 3, s[8:9]
	global_load_dwordx2 v[38:39], v[38:39], off
	v_subrev_u32_e32 v14, 18, v12
	v_lshl_add_u64 v[40:41], v[14:15], 3, s[8:9]
	global_load_dwordx2 v[40:41], v[40:41], off
	v_add_u32_e32 v14, 3, v16
	v_lshl_add_u64 v[42:43], v[14:15], 3, s[10:11]
	v_add_u32_e32 v14, -7, v12
	v_lshl_add_u64 v[44:45], v[14:15], 3, s[8:9]
	v_subrev_u32_e32 v14, 17, v12
	v_lshl_add_u64 v[46:47], v[14:15], 3, s[8:9]
	v_add_u32_e32 v14, 4, v16
	global_load_dwordx2 v[42:43], v[42:43], off
	s_nop 0
	global_load_dwordx2 v[48:49], v[44:45], off
	global_load_dwordx2 v[50:51], v[46:47], off
	v_lshl_add_u64 v[44:45], v[14:15], 3, s[10:11]
	v_add_u32_e32 v14, -6, v12
	v_lshl_add_u64 v[46:47], v[14:15], 3, s[8:9]
	v_add_u32_e32 v14, -16, v12
	v_lshl_add_u64 v[52:53], v[14:15], 3, s[8:9]
	v_add_u32_e32 v14, 5, v16
	global_load_dwordx2 v[44:45], v[44:45], off
	s_nop 0
	global_load_dwordx2 v[54:55], v[46:47], off
	global_load_dwordx2 v[56:57], v[52:53], off
	v_lshl_add_u64 v[46:47], v[14:15], 3, s[10:11]
	v_add_u32_e32 v14, -5, v12
	v_lshl_add_u64 v[52:53], v[14:15], 3, s[8:9]
	v_add_u32_e32 v14, -15, v12
	;; [unrolled: 10-line block ×3, first 2 shown]
	v_lshl_add_u64 v[64:65], v[14:15], 3, s[8:9]
	v_add_u32_e32 v14, 7, v16
	global_load_dwordx2 v[52:53], v[52:53], off
	s_nop 0
	global_load_dwordx2 v[66:67], v[58:59], off
	global_load_dwordx2 v[68:69], v[64:65], off
	s_waitcnt vmcnt(18)
	v_fmac_f64_e32 v[8:9], v[32:33], v[18:19]
	v_lshl_add_u64 v[32:33], v[14:15], 3, s[10:11]
	v_add_u32_e32 v14, -3, v12
	v_fmac_f64_e32 v[0:1], v[22:23], v[18:19]
	v_lshl_add_u64 v[18:19], v[14:15], 3, s[8:9]
	v_add_u32_e32 v14, -13, v12
	v_lshl_add_u64 v[22:23], v[14:15], 3, s[8:9]
	v_add_u32_e32 v14, 8, v16
	global_load_dwordx2 v[32:33], v[32:33], off
	s_waitcnt vmcnt(18)
	v_fmac_f64_e32 v[0:1], v[24:25], v[26:27]
	global_load_dwordx2 v[24:25], v[18:19], off
	global_load_dwordx2 v[58:59], v[22:23], off
	v_lshl_add_u64 v[18:19], v[14:15], 3, s[10:11]
	v_add_u32_e32 v14, -2, v12
	v_lshl_add_u64 v[22:23], v[14:15], 3, s[8:9]
	v_add_u32_e32 v14, -12, v12
	s_waitcnt vmcnt(19)
	v_fmac_f64_e32 v[8:9], v[28:29], v[26:27]
	v_lshl_add_u64 v[26:27], v[14:15], 3, s[8:9]
	v_add_u32_e32 v14, 9, v16
	global_load_dwordx2 v[18:19], v[18:19], off
	s_nop 0
	global_load_dwordx2 v[28:29], v[22:23], off
	global_load_dwordx2 v[64:65], v[26:27], off
	v_lshl_add_u64 v[22:23], v[14:15], 3, s[10:11]
	v_add_u32_e32 v14, -1, v12
	v_lshl_add_u64 v[26:27], v[14:15], 3, s[8:9]
	v_add_u32_e32 v14, -11, v12
	s_waitcnt vmcnt(20)
	v_fmac_f64_e32 v[0:1], v[30:31], v[36:37]
	v_lshl_add_u64 v[30:31], v[14:15], 3, s[8:9]
	v_add_u32_e32 v14, 10, v16
	global_load_dwordx2 v[22:23], v[22:23], off
	s_waitcnt vmcnt(20)
	v_fmac_f64_e32 v[8:9], v[38:39], v[36:37]
	global_load_dwordx2 v[16:17], v[26:27], off
	global_load_dwordx2 v[36:37], v[30:31], off
	v_lshl_add_u64 v[26:27], v[14:15], 3, s[10:11]
	global_load_dwordx2 v[26:27], v[26:27], off
	s_waitcnt vmcnt(21)
	v_fmac_f64_e32 v[0:1], v[40:41], v[42:43]
	s_waitcnt vmcnt(20)
	v_fmac_f64_e32 v[8:9], v[48:49], v[42:43]
	;; [unrolled: 2-line block ×4, first 2 shown]
	v_add_u32_e32 v12, 0x160, v12
	s_waitcnt vmcnt(15)
	v_fmac_f64_e32 v[0:1], v[56:57], v[46:47]
	s_waitcnt vmcnt(14)
	v_fmac_f64_e32 v[8:9], v[60:61], v[46:47]
	;; [unrolled: 2-line block ×11, first 2 shown]
	v_fmac_f64_e32 v[8:9], v[34:35], v[26:27]
	s_andn2_b64 exec, exec, s[2:3]
	s_cbranch_execnz .LBB123_15
; %bb.16:
	s_or_b64 exec, exec, s[2:3]
.LBB123_17:
	s_or_b64 exec, exec, s[4:5]
.LBB123_18:
	v_mov_b32_dpp v10, v0 row_shr:1 row_mask:0xf bank_mask:0xf
	v_mov_b32_dpp v11, v1 row_shr:1 row_mask:0xf bank_mask:0xf
	;; [unrolled: 1-line block ×4, first 2 shown]
	v_add_f64 v[0:1], v[0:1], v[10:11]
	v_add_f64 v[8:9], v[8:9], v[12:13]
	v_cmp_eq_u32_e32 vcc, 15, v7
	v_mov_b32_dpp v10, v0 row_shr:2 row_mask:0xf bank_mask:0xf
	v_mov_b32_dpp v11, v1 row_shr:2 row_mask:0xf bank_mask:0xf
	;; [unrolled: 1-line block ×4, first 2 shown]
	v_add_f64 v[0:1], v[0:1], v[10:11]
	v_add_f64 v[8:9], v[8:9], v[12:13]
	s_nop 0
	v_mov_b32_dpp v10, v0 row_shr:4 row_mask:0xf bank_mask:0xe
	v_mov_b32_dpp v11, v1 row_shr:4 row_mask:0xf bank_mask:0xe
	;; [unrolled: 1-line block ×4, first 2 shown]
	v_add_f64 v[0:1], v[0:1], v[10:11]
	v_add_f64 v[12:13], v[8:9], v[12:13]
	s_nop 0
	v_mov_b32_dpp v10, v0 row_shr:8 row_mask:0xf bank_mask:0xc
	v_mov_b32_dpp v11, v1 row_shr:8 row_mask:0xf bank_mask:0xc
	;; [unrolled: 1-line block ×4, first 2 shown]
	s_and_b64 exec, exec, vcc
	s_cbranch_execz .LBB123_23
; %bb.19:
	s_load_dwordx2 s[0:1], s[0:1], 0x38
	v_add_f64 v[8:9], v[0:1], v[10:11]
	v_add_f64 v[0:1], v[12:13], v[14:15]
	v_cmp_eq_f64_e32 vcc, 0, v[4:5]
	s_and_saveexec_b64 s[2:3], vcc
	s_xor_b64 s[2:3], exec, s[2:3]
	s_cbranch_execz .LBB123_21
; %bb.20:
	v_lshlrev_b32_e32 v6, 1, v6
	v_ashrrev_i32_e32 v7, 31, v6
	v_mul_f64 v[4:5], v[2:3], v[8:9]
	s_waitcnt lgkmcnt(0)
	v_lshl_add_u64 v[8:9], v[6:7], 3, s[0:1]
	v_mul_f64 v[6:7], v[2:3], v[0:1]
	global_store_dwordx4 v[8:9], v[4:7], off
                                        ; implicit-def: $vgpr6
                                        ; implicit-def: $vgpr2_vgpr3
                                        ; implicit-def: $vgpr8_vgpr9
                                        ; implicit-def: $vgpr4_vgpr5
                                        ; implicit-def: $vgpr0_vgpr1
.LBB123_21:
	s_andn2_saveexec_b64 s[2:3], s[2:3]
	s_cbranch_execz .LBB123_23
; %bb.22:
	v_lshlrev_b32_e32 v6, 1, v6
	v_ashrrev_i32_e32 v7, 31, v6
	s_waitcnt lgkmcnt(0)
	v_lshl_add_u64 v[14:15], v[6:7], 3, s[0:1]
	global_load_dwordx4 v[10:13], v[14:15], off
	v_mul_f64 v[6:7], v[2:3], v[8:9]
	v_mul_f64 v[8:9], v[2:3], v[0:1]
	s_waitcnt vmcnt(0)
	v_fmac_f64_e32 v[6:7], v[4:5], v[10:11]
	v_fmac_f64_e32 v[8:9], v[4:5], v[12:13]
	global_store_dwordx4 v[14:15], v[6:9], off
.LBB123_23:
	s_endpgm
	.section	.rodata,"a",@progbits
	.p2align	6, 0x0
	.amdhsa_kernel _ZN9rocsparseL19gebsrmvn_2xn_kernelILj128ELj11ELj16EdEEvi20rocsparse_direction_NS_24const_host_device_scalarIT2_EEPKiS6_PKS3_S8_S4_PS3_21rocsparse_index_base_b
		.amdhsa_group_segment_fixed_size 0
		.amdhsa_private_segment_fixed_size 0
		.amdhsa_kernarg_size 72
		.amdhsa_user_sgpr_count 2
		.amdhsa_user_sgpr_dispatch_ptr 0
		.amdhsa_user_sgpr_queue_ptr 0
		.amdhsa_user_sgpr_kernarg_segment_ptr 1
		.amdhsa_user_sgpr_dispatch_id 0
		.amdhsa_user_sgpr_kernarg_preload_length 0
		.amdhsa_user_sgpr_kernarg_preload_offset 0
		.amdhsa_user_sgpr_private_segment_size 0
		.amdhsa_uses_dynamic_stack 0
		.amdhsa_enable_private_segment 0
		.amdhsa_system_sgpr_workgroup_id_x 1
		.amdhsa_system_sgpr_workgroup_id_y 0
		.amdhsa_system_sgpr_workgroup_id_z 0
		.amdhsa_system_sgpr_workgroup_info 0
		.amdhsa_system_vgpr_workitem_id 0
		.amdhsa_next_free_vgpr 70
		.amdhsa_next_free_sgpr 18
		.amdhsa_accum_offset 72
		.amdhsa_reserve_vcc 1
		.amdhsa_float_round_mode_32 0
		.amdhsa_float_round_mode_16_64 0
		.amdhsa_float_denorm_mode_32 3
		.amdhsa_float_denorm_mode_16_64 3
		.amdhsa_dx10_clamp 1
		.amdhsa_ieee_mode 1
		.amdhsa_fp16_overflow 0
		.amdhsa_tg_split 0
		.amdhsa_exception_fp_ieee_invalid_op 0
		.amdhsa_exception_fp_denorm_src 0
		.amdhsa_exception_fp_ieee_div_zero 0
		.amdhsa_exception_fp_ieee_overflow 0
		.amdhsa_exception_fp_ieee_underflow 0
		.amdhsa_exception_fp_ieee_inexact 0
		.amdhsa_exception_int_div_zero 0
	.end_amdhsa_kernel
	.section	.text._ZN9rocsparseL19gebsrmvn_2xn_kernelILj128ELj11ELj16EdEEvi20rocsparse_direction_NS_24const_host_device_scalarIT2_EEPKiS6_PKS3_S8_S4_PS3_21rocsparse_index_base_b,"axG",@progbits,_ZN9rocsparseL19gebsrmvn_2xn_kernelILj128ELj11ELj16EdEEvi20rocsparse_direction_NS_24const_host_device_scalarIT2_EEPKiS6_PKS3_S8_S4_PS3_21rocsparse_index_base_b,comdat
.Lfunc_end123:
	.size	_ZN9rocsparseL19gebsrmvn_2xn_kernelILj128ELj11ELj16EdEEvi20rocsparse_direction_NS_24const_host_device_scalarIT2_EEPKiS6_PKS3_S8_S4_PS3_21rocsparse_index_base_b, .Lfunc_end123-_ZN9rocsparseL19gebsrmvn_2xn_kernelILj128ELj11ELj16EdEEvi20rocsparse_direction_NS_24const_host_device_scalarIT2_EEPKiS6_PKS3_S8_S4_PS3_21rocsparse_index_base_b
                                        ; -- End function
	.section	.AMDGPU.csdata,"",@progbits
; Kernel info:
; codeLenInByte = 2228
; NumSgprs: 24
; NumVgprs: 70
; NumAgprs: 0
; TotalNumVgprs: 70
; ScratchSize: 0
; MemoryBound: 0
; FloatMode: 240
; IeeeMode: 1
; LDSByteSize: 0 bytes/workgroup (compile time only)
; SGPRBlocks: 2
; VGPRBlocks: 8
; NumSGPRsForWavesPerEU: 24
; NumVGPRsForWavesPerEU: 70
; AccumOffset: 72
; Occupancy: 7
; WaveLimiterHint : 1
; COMPUTE_PGM_RSRC2:SCRATCH_EN: 0
; COMPUTE_PGM_RSRC2:USER_SGPR: 2
; COMPUTE_PGM_RSRC2:TRAP_HANDLER: 0
; COMPUTE_PGM_RSRC2:TGID_X_EN: 1
; COMPUTE_PGM_RSRC2:TGID_Y_EN: 0
; COMPUTE_PGM_RSRC2:TGID_Z_EN: 0
; COMPUTE_PGM_RSRC2:TIDIG_COMP_CNT: 0
; COMPUTE_PGM_RSRC3_GFX90A:ACCUM_OFFSET: 17
; COMPUTE_PGM_RSRC3_GFX90A:TG_SPLIT: 0
	.section	.text._ZN9rocsparseL19gebsrmvn_2xn_kernelILj128ELj11ELj32EdEEvi20rocsparse_direction_NS_24const_host_device_scalarIT2_EEPKiS6_PKS3_S8_S4_PS3_21rocsparse_index_base_b,"axG",@progbits,_ZN9rocsparseL19gebsrmvn_2xn_kernelILj128ELj11ELj32EdEEvi20rocsparse_direction_NS_24const_host_device_scalarIT2_EEPKiS6_PKS3_S8_S4_PS3_21rocsparse_index_base_b,comdat
	.globl	_ZN9rocsparseL19gebsrmvn_2xn_kernelILj128ELj11ELj32EdEEvi20rocsparse_direction_NS_24const_host_device_scalarIT2_EEPKiS6_PKS3_S8_S4_PS3_21rocsparse_index_base_b ; -- Begin function _ZN9rocsparseL19gebsrmvn_2xn_kernelILj128ELj11ELj32EdEEvi20rocsparse_direction_NS_24const_host_device_scalarIT2_EEPKiS6_PKS3_S8_S4_PS3_21rocsparse_index_base_b
	.p2align	8
	.type	_ZN9rocsparseL19gebsrmvn_2xn_kernelILj128ELj11ELj32EdEEvi20rocsparse_direction_NS_24const_host_device_scalarIT2_EEPKiS6_PKS3_S8_S4_PS3_21rocsparse_index_base_b,@function
_ZN9rocsparseL19gebsrmvn_2xn_kernelILj128ELj11ELj32EdEEvi20rocsparse_direction_NS_24const_host_device_scalarIT2_EEPKiS6_PKS3_S8_S4_PS3_21rocsparse_index_base_b: ; @_ZN9rocsparseL19gebsrmvn_2xn_kernelILj128ELj11ELj32EdEEvi20rocsparse_direction_NS_24const_host_device_scalarIT2_EEPKiS6_PKS3_S8_S4_PS3_21rocsparse_index_base_b
; %bb.0:
	s_load_dwordx2 s[12:13], s[0:1], 0x40
	s_load_dwordx2 s[8:9], s[0:1], 0x8
	;; [unrolled: 1-line block ×3, first 2 shown]
	s_waitcnt lgkmcnt(0)
	s_bitcmp1_b32 s13, 0
	s_cselect_b64 s[10:11], -1, 0
	s_xor_b64 s[6:7], s[10:11], -1
	s_and_b64 vcc, exec, s[10:11]
	v_mov_b64_e32 v[2:3], s[8:9]
	s_cbranch_vccnz .LBB124_2
; %bb.1:
	v_mov_b64_e32 v[2:3], s[8:9]
	flat_load_dwordx2 v[2:3], v[2:3]
.LBB124_2:
	s_andn2_b64 vcc, exec, s[6:7]
	v_mov_b64_e32 v[4:5], s[4:5]
	s_cbranch_vccnz .LBB124_4
; %bb.3:
	v_mov_b64_e32 v[4:5], s[4:5]
	flat_load_dwordx2 v[4:5], v[4:5]
.LBB124_4:
	s_waitcnt vmcnt(0) lgkmcnt(0)
	v_cmp_neq_f64_e32 vcc, 0, v[2:3]
	v_cmp_neq_f64_e64 s[4:5], 1.0, v[4:5]
	s_or_b64 s[4:5], vcc, s[4:5]
	s_and_saveexec_b64 s[6:7], s[4:5]
	s_cbranch_execz .LBB124_23
; %bb.5:
	s_load_dwordx2 s[14:15], s[0:1], 0x0
	v_lshrrev_b32_e32 v1, 5, v0
	v_lshl_or_b32 v6, s2, 2, v1
	s_waitcnt lgkmcnt(0)
	v_cmp_gt_i32_e32 vcc, s14, v6
	s_and_b64 exec, exec, vcc
	s_cbranch_execz .LBB124_23
; %bb.6:
	s_load_dwordx8 s[4:11], s[0:1], 0x10
	v_ashrrev_i32_e32 v7, 31, v6
	s_cmp_lg_u32 s15, 0
	s_waitcnt lgkmcnt(0)
	v_lshl_add_u64 v[8:9], v[6:7], 2, s[4:5]
	global_load_dwordx2 v[8:9], v[8:9], off
	v_and_b32_e32 v7, 31, v0
	s_waitcnt vmcnt(0)
	v_subrev_u32_e32 v0, s12, v8
	v_subrev_u32_e32 v20, s12, v9
	v_add_u32_e32 v10, v0, v7
	v_cmp_lt_i32_e64 s[2:3], v10, v20
	s_cbranch_scc0 .LBB124_12
; %bb.7:
	v_mov_b64_e32 v[8:9], 0
	s_mov_b64 s[4:5], 0
	v_mov_b64_e32 v[0:1], v[8:9]
	s_and_saveexec_b64 s[14:15], s[2:3]
	s_cbranch_execz .LBB124_11
; %bb.8:
	v_mad_u64_u32 v[12:13], s[16:17], v10, 22, 20
	v_mov_b64_e32 v[8:9], 0
	s_mov_b64 s[16:17], 0
	v_mov_b32_e32 v15, 0
	v_mov_b32_e32 v16, v10
	v_mov_b64_e32 v[0:1], v[8:9]
.LBB124_9:                              ; =>This Inner Loop Header: Depth=1
	v_ashrrev_i32_e32 v17, 31, v16
	v_subrev_u32_e32 v14, 20, v12
	v_lshl_add_u64 v[26:27], v[16:17], 2, s[6:7]
	v_lshl_add_u64 v[28:29], v[14:15], 3, s[8:9]
	global_load_dword v11, v[26:27], off
	global_load_dwordx4 v[22:25], v[28:29], off
	v_mov_b32_e32 v13, v15
	v_mov_b32_e32 v19, v15
	v_subrev_u32_e32 v14, 18, v12
	v_lshl_add_u64 v[34:35], v[12:13], 3, s[8:9]
	v_lshl_add_u64 v[36:37], v[14:15], 3, s[8:9]
	global_load_dwordx4 v[26:29], v[34:35], off
	global_load_dwordx4 v[30:33], v[36:37], off
	v_add_u32_e32 v16, 32, v16
	v_cmp_ge_i32_e32 vcc, v16, v20
	s_or_b64 s[16:17], vcc, s[16:17]
	s_waitcnt vmcnt(3)
	v_subrev_u32_e32 v11, s12, v11
	v_mul_lo_u32 v18, v11, 11
	v_lshl_add_u64 v[34:35], v[18:19], 3, s[10:11]
	v_add_u32_e32 v14, 1, v18
	global_load_dwordx2 v[50:51], v[34:35], off
	v_lshl_add_u64 v[34:35], v[14:15], 3, s[10:11]
	v_add_u32_e32 v14, -16, v12
	global_load_dwordx2 v[52:53], v[34:35], off
	v_lshl_add_u64 v[34:35], v[14:15], 3, s[8:9]
	v_add_u32_e32 v14, 2, v18
	v_lshl_add_u64 v[38:39], v[14:15], 3, s[10:11]
	v_add_u32_e32 v14, -14, v12
	global_load_dwordx4 v[34:37], v[34:35], off
	s_waitcnt vmcnt(2)
	v_fmac_f64_e32 v[8:9], v[22:23], v[50:51]
	global_load_dwordx2 v[54:55], v[38:39], off
	v_lshl_add_u64 v[38:39], v[14:15], 3, s[8:9]
	v_add_u32_e32 v14, 3, v18
	v_lshl_add_u64 v[42:43], v[14:15], 3, s[10:11]
	global_load_dwordx4 v[38:41], v[38:39], off
	v_add_u32_e32 v14, -12, v12
	global_load_dwordx2 v[56:57], v[42:43], off
	v_lshl_add_u64 v[42:43], v[14:15], 3, s[8:9]
	v_add_u32_e32 v14, 4, v18
	v_lshl_add_u64 v[46:47], v[14:15], 3, s[10:11]
	v_add_u32_e32 v14, -10, v12
	global_load_dwordx2 v[58:59], v[46:47], off
	v_lshl_add_u64 v[46:47], v[14:15], 3, s[8:9]
	v_add_u32_e32 v14, 5, v18
	v_lshl_add_u64 v[60:61], v[14:15], 3, s[10:11]
	v_add_u32_e32 v14, -8, v12
	v_lshl_add_u64 v[22:23], v[14:15], 3, s[8:9]
	v_add_u32_e32 v14, 6, v18
	v_fmac_f64_e32 v[0:1], v[24:25], v[50:51]
	v_lshl_add_u64 v[50:51], v[14:15], 3, s[10:11]
	v_add_u32_e32 v14, -6, v12
	s_waitcnt vmcnt(5)
	v_fmac_f64_e32 v[8:9], v[30:31], v[52:53]
	v_lshl_add_u64 v[30:31], v[14:15], 3, s[8:9]
	v_add_u32_e32 v14, 7, v18
	global_load_dwordx4 v[42:45], v[42:43], off
	v_fmac_f64_e32 v[0:1], v[32:33], v[52:53]
	v_lshl_add_u64 v[52:53], v[14:15], 3, s[10:11]
	v_add_u32_e32 v14, -4, v12
	global_load_dwordx4 v[46:49], v[46:47], off
	s_waitcnt vmcnt(5)
	v_fmac_f64_e32 v[8:9], v[34:35], v[54:55]
	global_load_dwordx2 v[60:61], v[60:61], off
	v_lshl_add_u64 v[34:35], v[14:15], 3, s[8:9]
	v_add_u32_e32 v14, 8, v18
	global_load_dwordx4 v[22:25], v[22:23], off
	v_fmac_f64_e32 v[0:1], v[36:37], v[54:55]
	global_load_dwordx4 v[30:33], v[30:31], off
	v_lshl_add_u64 v[54:55], v[14:15], 3, s[10:11]
	global_load_dwordx2 v[50:51], v[50:51], off
	v_add_u32_e32 v14, -2, v12
	global_load_dwordx2 v[52:53], v[52:53], off
	v_add_u32_e32 v12, 0x2c0, v12
	global_load_dwordx2 v[54:55], v[54:55], off
	s_nop 0
	global_load_dwordx4 v[34:37], v[34:35], off
	s_waitcnt vmcnt(10)
	v_fmac_f64_e32 v[8:9], v[38:39], v[56:57]
	v_lshl_add_u64 v[38:39], v[14:15], 3, s[8:9]
	v_add_u32_e32 v14, 9, v18
	v_fmac_f64_e32 v[0:1], v[40:41], v[56:57]
	v_lshl_add_u64 v[56:57], v[14:15], 3, s[10:11]
	v_add_u32_e32 v14, 10, v18
	global_load_dwordx2 v[18:19], v[56:57], off
	v_lshl_add_u64 v[56:57], v[14:15], 3, s[10:11]
	global_load_dwordx4 v[38:41], v[38:39], off
	s_waitcnt vmcnt(10)
	v_fmac_f64_e32 v[8:9], v[42:43], v[58:59]
	global_load_dwordx2 v[56:57], v[56:57], off
	v_fmac_f64_e32 v[0:1], v[44:45], v[58:59]
	s_waitcnt vmcnt(9)
	v_fmac_f64_e32 v[8:9], v[46:47], v[60:61]
	v_fmac_f64_e32 v[0:1], v[48:49], v[60:61]
	s_waitcnt vmcnt(6)
	v_fmac_f64_e32 v[8:9], v[22:23], v[50:51]
	;; [unrolled: 3-line block ×6, first 2 shown]
	v_fmac_f64_e32 v[0:1], v[28:29], v[56:57]
	s_andn2_b64 exec, exec, s[16:17]
	s_cbranch_execnz .LBB124_9
; %bb.10:
	s_or_b64 exec, exec, s[16:17]
.LBB124_11:
	s_or_b64 exec, exec, s[14:15]
	s_andn2_b64 vcc, exec, s[4:5]
	s_cbranch_vccz .LBB124_13
	s_branch .LBB124_18
.LBB124_12:
                                        ; implicit-def: $vgpr8_vgpr9
                                        ; implicit-def: $vgpr0_vgpr1
.LBB124_13:
	v_mov_b64_e32 v[8:9], 0
	v_mov_b64_e32 v[0:1], v[8:9]
	s_and_saveexec_b64 s[4:5], s[2:3]
	s_cbranch_execz .LBB124_17
; %bb.14:
	v_mad_u64_u32 v[12:13], s[2:3], v10, 22, 21
	v_mov_b64_e32 v[8:9], 0
	s_mov_b64 s[2:3], 0
	v_mov_b32_e32 v15, 0
	v_mov_b64_e32 v[0:1], v[8:9]
.LBB124_15:                             ; =>This Inner Loop Header: Depth=1
	v_ashrrev_i32_e32 v11, 31, v10
	v_subrev_u32_e32 v14, 21, v12
	v_add_u32_e32 v18, -10, v12
	v_mov_b32_e32 v19, v15
	v_mov_b32_e32 v13, v15
	v_lshl_add_u64 v[26:27], v[10:11], 2, s[6:7]
	v_lshl_add_u64 v[28:29], v[14:15], 3, s[8:9]
	;; [unrolled: 1-line block ×4, first 2 shown]
	global_load_dword v11, v[26:27], off
	global_load_dwordx4 v[22:25], v[28:29], off
	global_load_dwordx2 v[32:33], v[18:19], off
	global_load_dwordx2 v[34:35], v[30:31], off
	v_mov_b32_e32 v17, v15
	v_add_u32_e32 v10, 32, v10
	v_cmp_ge_i32_e32 vcc, v10, v20
	s_or_b64 s[2:3], vcc, s[2:3]
	s_waitcnt vmcnt(3)
	v_subrev_u32_e32 v11, s12, v11
	v_mul_lo_u32 v16, v11, 11
	v_lshl_add_u64 v[18:19], v[16:17], 3, s[10:11]
	global_load_dwordx2 v[18:19], v[18:19], off
	v_add_u32_e32 v14, 1, v16
	v_lshl_add_u64 v[26:27], v[14:15], 3, s[10:11]
	global_load_dwordx2 v[26:27], v[26:27], off
	v_add_u32_e32 v14, -9, v12
	v_lshl_add_u64 v[28:29], v[14:15], 3, s[8:9]
	v_subrev_u32_e32 v14, 19, v12
	global_load_dwordx2 v[28:29], v[28:29], off
	v_lshl_add_u64 v[30:31], v[14:15], 3, s[8:9]
	global_load_dwordx2 v[30:31], v[30:31], off
	v_add_u32_e32 v14, 2, v16
	v_lshl_add_u64 v[36:37], v[14:15], 3, s[10:11]
	v_add_u32_e32 v14, -8, v12
	global_load_dwordx2 v[36:37], v[36:37], off
	v_lshl_add_u64 v[38:39], v[14:15], 3, s[8:9]
	global_load_dwordx2 v[38:39], v[38:39], off
	v_subrev_u32_e32 v14, 18, v12
	v_lshl_add_u64 v[40:41], v[14:15], 3, s[8:9]
	global_load_dwordx2 v[40:41], v[40:41], off
	v_add_u32_e32 v14, 3, v16
	v_lshl_add_u64 v[42:43], v[14:15], 3, s[10:11]
	v_add_u32_e32 v14, -7, v12
	v_lshl_add_u64 v[44:45], v[14:15], 3, s[8:9]
	v_subrev_u32_e32 v14, 17, v12
	v_lshl_add_u64 v[46:47], v[14:15], 3, s[8:9]
	v_add_u32_e32 v14, 4, v16
	global_load_dwordx2 v[42:43], v[42:43], off
	s_nop 0
	global_load_dwordx2 v[48:49], v[44:45], off
	global_load_dwordx2 v[50:51], v[46:47], off
	v_lshl_add_u64 v[44:45], v[14:15], 3, s[10:11]
	v_add_u32_e32 v14, -6, v12
	v_lshl_add_u64 v[46:47], v[14:15], 3, s[8:9]
	v_add_u32_e32 v14, -16, v12
	v_lshl_add_u64 v[52:53], v[14:15], 3, s[8:9]
	v_add_u32_e32 v14, 5, v16
	global_load_dwordx2 v[44:45], v[44:45], off
	s_nop 0
	global_load_dwordx2 v[54:55], v[46:47], off
	global_load_dwordx2 v[56:57], v[52:53], off
	v_lshl_add_u64 v[46:47], v[14:15], 3, s[10:11]
	v_add_u32_e32 v14, -5, v12
	v_lshl_add_u64 v[52:53], v[14:15], 3, s[8:9]
	v_add_u32_e32 v14, -15, v12
	v_lshl_add_u64 v[58:59], v[14:15], 3, s[8:9]
	v_add_u32_e32 v14, 6, v16
	global_load_dwordx2 v[46:47], v[46:47], off
	s_nop 0
	global_load_dwordx2 v[60:61], v[52:53], off
	global_load_dwordx2 v[62:63], v[58:59], off
	v_lshl_add_u64 v[52:53], v[14:15], 3, s[10:11]
	v_add_u32_e32 v14, -4, v12
	v_lshl_add_u64 v[58:59], v[14:15], 3, s[8:9]
	v_add_u32_e32 v14, -14, v12
	v_lshl_add_u64 v[64:65], v[14:15], 3, s[8:9]
	v_add_u32_e32 v14, 7, v16
	global_load_dwordx2 v[52:53], v[52:53], off
	s_nop 0
	global_load_dwordx2 v[66:67], v[58:59], off
	global_load_dwordx2 v[68:69], v[64:65], off
	s_waitcnt vmcnt(18)
	v_fmac_f64_e32 v[0:1], v[32:33], v[18:19]
	v_lshl_add_u64 v[32:33], v[14:15], 3, s[10:11]
	v_add_u32_e32 v14, -3, v12
	v_fmac_f64_e32 v[8:9], v[22:23], v[18:19]
	v_lshl_add_u64 v[18:19], v[14:15], 3, s[8:9]
	v_add_u32_e32 v14, -13, v12
	v_lshl_add_u64 v[22:23], v[14:15], 3, s[8:9]
	v_add_u32_e32 v14, 8, v16
	global_load_dwordx2 v[32:33], v[32:33], off
	s_waitcnt vmcnt(18)
	v_fmac_f64_e32 v[8:9], v[24:25], v[26:27]
	global_load_dwordx2 v[24:25], v[18:19], off
	global_load_dwordx2 v[58:59], v[22:23], off
	v_lshl_add_u64 v[18:19], v[14:15], 3, s[10:11]
	v_add_u32_e32 v14, -2, v12
	v_lshl_add_u64 v[22:23], v[14:15], 3, s[8:9]
	v_add_u32_e32 v14, -12, v12
	s_waitcnt vmcnt(19)
	v_fmac_f64_e32 v[0:1], v[28:29], v[26:27]
	v_lshl_add_u64 v[26:27], v[14:15], 3, s[8:9]
	v_add_u32_e32 v14, 9, v16
	global_load_dwordx2 v[18:19], v[18:19], off
	s_nop 0
	global_load_dwordx2 v[28:29], v[22:23], off
	global_load_dwordx2 v[64:65], v[26:27], off
	v_lshl_add_u64 v[22:23], v[14:15], 3, s[10:11]
	v_add_u32_e32 v14, -1, v12
	v_lshl_add_u64 v[26:27], v[14:15], 3, s[8:9]
	v_add_u32_e32 v14, -11, v12
	s_waitcnt vmcnt(20)
	v_fmac_f64_e32 v[8:9], v[30:31], v[36:37]
	v_lshl_add_u64 v[30:31], v[14:15], 3, s[8:9]
	v_add_u32_e32 v14, 10, v16
	global_load_dwordx2 v[22:23], v[22:23], off
	s_waitcnt vmcnt(20)
	v_fmac_f64_e32 v[0:1], v[38:39], v[36:37]
	global_load_dwordx2 v[16:17], v[26:27], off
	global_load_dwordx2 v[36:37], v[30:31], off
	v_lshl_add_u64 v[26:27], v[14:15], 3, s[10:11]
	global_load_dwordx2 v[26:27], v[26:27], off
	s_waitcnt vmcnt(21)
	v_fmac_f64_e32 v[8:9], v[40:41], v[42:43]
	s_waitcnt vmcnt(20)
	v_fmac_f64_e32 v[0:1], v[48:49], v[42:43]
	;; [unrolled: 2-line block ×4, first 2 shown]
	v_add_u32_e32 v12, 0x2c0, v12
	s_waitcnt vmcnt(15)
	v_fmac_f64_e32 v[8:9], v[56:57], v[46:47]
	s_waitcnt vmcnt(14)
	v_fmac_f64_e32 v[0:1], v[60:61], v[46:47]
	s_waitcnt vmcnt(12)
	v_fmac_f64_e32 v[8:9], v[62:63], v[52:53]
	s_waitcnt vmcnt(11)
	v_fmac_f64_e32 v[0:1], v[66:67], v[52:53]
	s_waitcnt vmcnt(9)
	v_fmac_f64_e32 v[8:9], v[68:69], v[32:33]
	s_waitcnt vmcnt(8)
	v_fmac_f64_e32 v[0:1], v[24:25], v[32:33]
	s_waitcnt vmcnt(6)
	v_fmac_f64_e32 v[8:9], v[58:59], v[18:19]
	s_waitcnt vmcnt(5)
	v_fmac_f64_e32 v[0:1], v[28:29], v[18:19]
	s_waitcnt vmcnt(3)
	v_fmac_f64_e32 v[8:9], v[64:65], v[22:23]
	s_waitcnt vmcnt(2)
	v_fmac_f64_e32 v[0:1], v[16:17], v[22:23]
	s_waitcnt vmcnt(0)
	v_fmac_f64_e32 v[8:9], v[36:37], v[26:27]
	v_fmac_f64_e32 v[0:1], v[34:35], v[26:27]
	s_andn2_b64 exec, exec, s[2:3]
	s_cbranch_execnz .LBB124_15
; %bb.16:
	s_or_b64 exec, exec, s[2:3]
.LBB124_17:
	s_or_b64 exec, exec, s[4:5]
.LBB124_18:
	v_mov_b32_dpp v10, v8 row_shr:1 row_mask:0xf bank_mask:0xf
	v_mov_b32_dpp v11, v9 row_shr:1 row_mask:0xf bank_mask:0xf
	;; [unrolled: 1-line block ×4, first 2 shown]
	v_add_f64 v[8:9], v[8:9], v[10:11]
	v_add_f64 v[0:1], v[0:1], v[12:13]
	v_cmp_eq_u32_e32 vcc, 31, v7
	v_mov_b32_dpp v10, v8 row_shr:2 row_mask:0xf bank_mask:0xf
	v_mov_b32_dpp v11, v9 row_shr:2 row_mask:0xf bank_mask:0xf
	v_mov_b32_dpp v12, v0 row_shr:2 row_mask:0xf bank_mask:0xf
	v_mov_b32_dpp v13, v1 row_shr:2 row_mask:0xf bank_mask:0xf
	v_add_f64 v[8:9], v[8:9], v[10:11]
	v_add_f64 v[0:1], v[0:1], v[12:13]
	s_nop 0
	v_mov_b32_dpp v10, v8 row_shr:4 row_mask:0xf bank_mask:0xe
	v_mov_b32_dpp v11, v9 row_shr:4 row_mask:0xf bank_mask:0xe
	v_mov_b32_dpp v12, v0 row_shr:4 row_mask:0xf bank_mask:0xe
	v_mov_b32_dpp v13, v1 row_shr:4 row_mask:0xf bank_mask:0xe
	v_add_f64 v[8:9], v[8:9], v[10:11]
	v_add_f64 v[0:1], v[0:1], v[12:13]
	s_nop 0
	v_mov_b32_dpp v10, v8 row_shr:8 row_mask:0xf bank_mask:0xc
	v_mov_b32_dpp v11, v9 row_shr:8 row_mask:0xf bank_mask:0xc
	v_mov_b32_dpp v12, v0 row_shr:8 row_mask:0xf bank_mask:0xc
	v_mov_b32_dpp v13, v1 row_shr:8 row_mask:0xf bank_mask:0xc
	v_add_f64 v[8:9], v[8:9], v[10:11]
	v_add_f64 v[0:1], v[0:1], v[12:13]
	s_nop 0
	v_mov_b32_dpp v10, v8 row_bcast:15 row_mask:0xa bank_mask:0xf
	v_mov_b32_dpp v11, v9 row_bcast:15 row_mask:0xa bank_mask:0xf
	;; [unrolled: 1-line block ×4, first 2 shown]
	s_and_b64 exec, exec, vcc
	s_cbranch_execz .LBB124_23
; %bb.19:
	s_load_dwordx2 s[0:1], s[0:1], 0x38
	v_add_f64 v[8:9], v[8:9], v[10:11]
	v_add_f64 v[0:1], v[0:1], v[12:13]
	v_cmp_eq_f64_e32 vcc, 0, v[4:5]
	s_and_saveexec_b64 s[2:3], vcc
	s_xor_b64 s[2:3], exec, s[2:3]
	s_cbranch_execz .LBB124_21
; %bb.20:
	v_lshlrev_b32_e32 v6, 1, v6
	v_ashrrev_i32_e32 v7, 31, v6
	v_mul_f64 v[4:5], v[2:3], v[8:9]
	s_waitcnt lgkmcnt(0)
	v_lshl_add_u64 v[8:9], v[6:7], 3, s[0:1]
	v_mul_f64 v[6:7], v[2:3], v[0:1]
	global_store_dwordx4 v[8:9], v[4:7], off
                                        ; implicit-def: $vgpr6
                                        ; implicit-def: $vgpr2_vgpr3
                                        ; implicit-def: $vgpr8_vgpr9
                                        ; implicit-def: $vgpr4_vgpr5
                                        ; implicit-def: $vgpr0_vgpr1
.LBB124_21:
	s_andn2_saveexec_b64 s[2:3], s[2:3]
	s_cbranch_execz .LBB124_23
; %bb.22:
	v_lshlrev_b32_e32 v6, 1, v6
	v_ashrrev_i32_e32 v7, 31, v6
	s_waitcnt lgkmcnt(0)
	v_lshl_add_u64 v[14:15], v[6:7], 3, s[0:1]
	global_load_dwordx4 v[10:13], v[14:15], off
	v_mul_f64 v[6:7], v[2:3], v[8:9]
	v_mul_f64 v[8:9], v[2:3], v[0:1]
	s_waitcnt vmcnt(0)
	v_fmac_f64_e32 v[6:7], v[4:5], v[10:11]
	v_fmac_f64_e32 v[8:9], v[4:5], v[12:13]
	global_store_dwordx4 v[14:15], v[6:9], off
.LBB124_23:
	s_endpgm
	.section	.rodata,"a",@progbits
	.p2align	6, 0x0
	.amdhsa_kernel _ZN9rocsparseL19gebsrmvn_2xn_kernelILj128ELj11ELj32EdEEvi20rocsparse_direction_NS_24const_host_device_scalarIT2_EEPKiS6_PKS3_S8_S4_PS3_21rocsparse_index_base_b
		.amdhsa_group_segment_fixed_size 0
		.amdhsa_private_segment_fixed_size 0
		.amdhsa_kernarg_size 72
		.amdhsa_user_sgpr_count 2
		.amdhsa_user_sgpr_dispatch_ptr 0
		.amdhsa_user_sgpr_queue_ptr 0
		.amdhsa_user_sgpr_kernarg_segment_ptr 1
		.amdhsa_user_sgpr_dispatch_id 0
		.amdhsa_user_sgpr_kernarg_preload_length 0
		.amdhsa_user_sgpr_kernarg_preload_offset 0
		.amdhsa_user_sgpr_private_segment_size 0
		.amdhsa_uses_dynamic_stack 0
		.amdhsa_enable_private_segment 0
		.amdhsa_system_sgpr_workgroup_id_x 1
		.amdhsa_system_sgpr_workgroup_id_y 0
		.amdhsa_system_sgpr_workgroup_id_z 0
		.amdhsa_system_sgpr_workgroup_info 0
		.amdhsa_system_vgpr_workitem_id 0
		.amdhsa_next_free_vgpr 70
		.amdhsa_next_free_sgpr 18
		.amdhsa_accum_offset 72
		.amdhsa_reserve_vcc 1
		.amdhsa_float_round_mode_32 0
		.amdhsa_float_round_mode_16_64 0
		.amdhsa_float_denorm_mode_32 3
		.amdhsa_float_denorm_mode_16_64 3
		.amdhsa_dx10_clamp 1
		.amdhsa_ieee_mode 1
		.amdhsa_fp16_overflow 0
		.amdhsa_tg_split 0
		.amdhsa_exception_fp_ieee_invalid_op 0
		.amdhsa_exception_fp_denorm_src 0
		.amdhsa_exception_fp_ieee_div_zero 0
		.amdhsa_exception_fp_ieee_overflow 0
		.amdhsa_exception_fp_ieee_underflow 0
		.amdhsa_exception_fp_ieee_inexact 0
		.amdhsa_exception_int_div_zero 0
	.end_amdhsa_kernel
	.section	.text._ZN9rocsparseL19gebsrmvn_2xn_kernelILj128ELj11ELj32EdEEvi20rocsparse_direction_NS_24const_host_device_scalarIT2_EEPKiS6_PKS3_S8_S4_PS3_21rocsparse_index_base_b,"axG",@progbits,_ZN9rocsparseL19gebsrmvn_2xn_kernelILj128ELj11ELj32EdEEvi20rocsparse_direction_NS_24const_host_device_scalarIT2_EEPKiS6_PKS3_S8_S4_PS3_21rocsparse_index_base_b,comdat
.Lfunc_end124:
	.size	_ZN9rocsparseL19gebsrmvn_2xn_kernelILj128ELj11ELj32EdEEvi20rocsparse_direction_NS_24const_host_device_scalarIT2_EEPKiS6_PKS3_S8_S4_PS3_21rocsparse_index_base_b, .Lfunc_end124-_ZN9rocsparseL19gebsrmvn_2xn_kernelILj128ELj11ELj32EdEEvi20rocsparse_direction_NS_24const_host_device_scalarIT2_EEPKiS6_PKS3_S8_S4_PS3_21rocsparse_index_base_b
                                        ; -- End function
	.section	.AMDGPU.csdata,"",@progbits
; Kernel info:
; codeLenInByte = 2280
; NumSgprs: 24
; NumVgprs: 70
; NumAgprs: 0
; TotalNumVgprs: 70
; ScratchSize: 0
; MemoryBound: 0
; FloatMode: 240
; IeeeMode: 1
; LDSByteSize: 0 bytes/workgroup (compile time only)
; SGPRBlocks: 2
; VGPRBlocks: 8
; NumSGPRsForWavesPerEU: 24
; NumVGPRsForWavesPerEU: 70
; AccumOffset: 72
; Occupancy: 7
; WaveLimiterHint : 1
; COMPUTE_PGM_RSRC2:SCRATCH_EN: 0
; COMPUTE_PGM_RSRC2:USER_SGPR: 2
; COMPUTE_PGM_RSRC2:TRAP_HANDLER: 0
; COMPUTE_PGM_RSRC2:TGID_X_EN: 1
; COMPUTE_PGM_RSRC2:TGID_Y_EN: 0
; COMPUTE_PGM_RSRC2:TGID_Z_EN: 0
; COMPUTE_PGM_RSRC2:TIDIG_COMP_CNT: 0
; COMPUTE_PGM_RSRC3_GFX90A:ACCUM_OFFSET: 17
; COMPUTE_PGM_RSRC3_GFX90A:TG_SPLIT: 0
	.section	.text._ZN9rocsparseL19gebsrmvn_2xn_kernelILj128ELj11ELj64EdEEvi20rocsparse_direction_NS_24const_host_device_scalarIT2_EEPKiS6_PKS3_S8_S4_PS3_21rocsparse_index_base_b,"axG",@progbits,_ZN9rocsparseL19gebsrmvn_2xn_kernelILj128ELj11ELj64EdEEvi20rocsparse_direction_NS_24const_host_device_scalarIT2_EEPKiS6_PKS3_S8_S4_PS3_21rocsparse_index_base_b,comdat
	.globl	_ZN9rocsparseL19gebsrmvn_2xn_kernelILj128ELj11ELj64EdEEvi20rocsparse_direction_NS_24const_host_device_scalarIT2_EEPKiS6_PKS3_S8_S4_PS3_21rocsparse_index_base_b ; -- Begin function _ZN9rocsparseL19gebsrmvn_2xn_kernelILj128ELj11ELj64EdEEvi20rocsparse_direction_NS_24const_host_device_scalarIT2_EEPKiS6_PKS3_S8_S4_PS3_21rocsparse_index_base_b
	.p2align	8
	.type	_ZN9rocsparseL19gebsrmvn_2xn_kernelILj128ELj11ELj64EdEEvi20rocsparse_direction_NS_24const_host_device_scalarIT2_EEPKiS6_PKS3_S8_S4_PS3_21rocsparse_index_base_b,@function
_ZN9rocsparseL19gebsrmvn_2xn_kernelILj128ELj11ELj64EdEEvi20rocsparse_direction_NS_24const_host_device_scalarIT2_EEPKiS6_PKS3_S8_S4_PS3_21rocsparse_index_base_b: ; @_ZN9rocsparseL19gebsrmvn_2xn_kernelILj128ELj11ELj64EdEEvi20rocsparse_direction_NS_24const_host_device_scalarIT2_EEPKiS6_PKS3_S8_S4_PS3_21rocsparse_index_base_b
; %bb.0:
	s_load_dwordx2 s[12:13], s[0:1], 0x40
	s_load_dwordx2 s[8:9], s[0:1], 0x8
	;; [unrolled: 1-line block ×3, first 2 shown]
	s_waitcnt lgkmcnt(0)
	s_bitcmp1_b32 s13, 0
	s_cselect_b64 s[10:11], -1, 0
	s_xor_b64 s[6:7], s[10:11], -1
	s_and_b64 vcc, exec, s[10:11]
	v_mov_b64_e32 v[2:3], s[8:9]
	s_cbranch_vccnz .LBB125_2
; %bb.1:
	v_mov_b64_e32 v[2:3], s[8:9]
	flat_load_dwordx2 v[2:3], v[2:3]
.LBB125_2:
	s_andn2_b64 vcc, exec, s[6:7]
	v_mov_b64_e32 v[4:5], s[4:5]
	s_cbranch_vccnz .LBB125_4
; %bb.3:
	v_mov_b64_e32 v[4:5], s[4:5]
	flat_load_dwordx2 v[4:5], v[4:5]
.LBB125_4:
	s_waitcnt vmcnt(0) lgkmcnt(0)
	v_cmp_neq_f64_e32 vcc, 0, v[2:3]
	v_cmp_neq_f64_e64 s[4:5], 1.0, v[4:5]
	s_or_b64 s[4:5], vcc, s[4:5]
	s_and_saveexec_b64 s[6:7], s[4:5]
	s_cbranch_execz .LBB125_23
; %bb.5:
	s_load_dwordx2 s[14:15], s[0:1], 0x0
	v_lshrrev_b32_e32 v1, 6, v0
	v_lshl_or_b32 v6, s2, 1, v1
	s_waitcnt lgkmcnt(0)
	v_cmp_gt_i32_e32 vcc, s14, v6
	s_and_b64 exec, exec, vcc
	s_cbranch_execz .LBB125_23
; %bb.6:
	s_load_dwordx8 s[4:11], s[0:1], 0x10
	v_ashrrev_i32_e32 v7, 31, v6
	s_cmp_lg_u32 s15, 0
	s_waitcnt lgkmcnt(0)
	v_lshl_add_u64 v[8:9], v[6:7], 2, s[4:5]
	global_load_dwordx2 v[8:9], v[8:9], off
	v_and_b32_e32 v7, 63, v0
	s_waitcnt vmcnt(0)
	v_subrev_u32_e32 v0, s12, v8
	v_subrev_u32_e32 v20, s12, v9
	v_add_u32_e32 v10, v0, v7
	v_cmp_lt_i32_e64 s[2:3], v10, v20
	s_cbranch_scc0 .LBB125_12
; %bb.7:
	v_mov_b64_e32 v[8:9], 0
	s_mov_b64 s[4:5], 0
	v_mov_b64_e32 v[0:1], v[8:9]
	s_and_saveexec_b64 s[14:15], s[2:3]
	s_cbranch_execz .LBB125_11
; %bb.8:
	v_mad_u64_u32 v[12:13], s[16:17], v10, 22, 20
	v_mov_b64_e32 v[8:9], 0
	s_mov_b64 s[16:17], 0
	v_mov_b32_e32 v15, 0
	v_mov_b32_e32 v16, v10
	v_mov_b64_e32 v[0:1], v[8:9]
.LBB125_9:                              ; =>This Inner Loop Header: Depth=1
	v_ashrrev_i32_e32 v17, 31, v16
	v_subrev_u32_e32 v14, 20, v12
	v_lshl_add_u64 v[26:27], v[16:17], 2, s[6:7]
	v_lshl_add_u64 v[28:29], v[14:15], 3, s[8:9]
	global_load_dword v11, v[26:27], off
	global_load_dwordx4 v[22:25], v[28:29], off
	v_mov_b32_e32 v13, v15
	v_mov_b32_e32 v19, v15
	v_subrev_u32_e32 v14, 18, v12
	v_lshl_add_u64 v[34:35], v[12:13], 3, s[8:9]
	v_lshl_add_u64 v[36:37], v[14:15], 3, s[8:9]
	global_load_dwordx4 v[26:29], v[34:35], off
	global_load_dwordx4 v[30:33], v[36:37], off
	v_add_u32_e32 v16, 64, v16
	v_cmp_ge_i32_e32 vcc, v16, v20
	s_or_b64 s[16:17], vcc, s[16:17]
	s_waitcnt vmcnt(3)
	v_subrev_u32_e32 v11, s12, v11
	v_mul_lo_u32 v18, v11, 11
	v_lshl_add_u64 v[34:35], v[18:19], 3, s[10:11]
	v_add_u32_e32 v14, 1, v18
	global_load_dwordx2 v[50:51], v[34:35], off
	v_lshl_add_u64 v[34:35], v[14:15], 3, s[10:11]
	v_add_u32_e32 v14, -16, v12
	global_load_dwordx2 v[52:53], v[34:35], off
	v_lshl_add_u64 v[34:35], v[14:15], 3, s[8:9]
	v_add_u32_e32 v14, 2, v18
	v_lshl_add_u64 v[38:39], v[14:15], 3, s[10:11]
	v_add_u32_e32 v14, -14, v12
	global_load_dwordx4 v[34:37], v[34:35], off
	s_waitcnt vmcnt(2)
	v_fmac_f64_e32 v[8:9], v[22:23], v[50:51]
	global_load_dwordx2 v[54:55], v[38:39], off
	v_lshl_add_u64 v[38:39], v[14:15], 3, s[8:9]
	v_add_u32_e32 v14, 3, v18
	v_lshl_add_u64 v[42:43], v[14:15], 3, s[10:11]
	global_load_dwordx4 v[38:41], v[38:39], off
	v_add_u32_e32 v14, -12, v12
	global_load_dwordx2 v[56:57], v[42:43], off
	v_lshl_add_u64 v[42:43], v[14:15], 3, s[8:9]
	v_add_u32_e32 v14, 4, v18
	v_lshl_add_u64 v[46:47], v[14:15], 3, s[10:11]
	v_add_u32_e32 v14, -10, v12
	global_load_dwordx2 v[58:59], v[46:47], off
	v_lshl_add_u64 v[46:47], v[14:15], 3, s[8:9]
	v_add_u32_e32 v14, 5, v18
	v_lshl_add_u64 v[60:61], v[14:15], 3, s[10:11]
	v_add_u32_e32 v14, -8, v12
	v_lshl_add_u64 v[22:23], v[14:15], 3, s[8:9]
	v_add_u32_e32 v14, 6, v18
	v_fmac_f64_e32 v[0:1], v[24:25], v[50:51]
	v_lshl_add_u64 v[50:51], v[14:15], 3, s[10:11]
	v_add_u32_e32 v14, -6, v12
	s_waitcnt vmcnt(5)
	v_fmac_f64_e32 v[8:9], v[30:31], v[52:53]
	v_lshl_add_u64 v[30:31], v[14:15], 3, s[8:9]
	v_add_u32_e32 v14, 7, v18
	global_load_dwordx4 v[42:45], v[42:43], off
	v_fmac_f64_e32 v[0:1], v[32:33], v[52:53]
	v_lshl_add_u64 v[52:53], v[14:15], 3, s[10:11]
	v_add_u32_e32 v14, -4, v12
	global_load_dwordx4 v[46:49], v[46:47], off
	s_waitcnt vmcnt(5)
	v_fmac_f64_e32 v[8:9], v[34:35], v[54:55]
	global_load_dwordx2 v[60:61], v[60:61], off
	v_lshl_add_u64 v[34:35], v[14:15], 3, s[8:9]
	v_add_u32_e32 v14, 8, v18
	global_load_dwordx4 v[22:25], v[22:23], off
	v_fmac_f64_e32 v[0:1], v[36:37], v[54:55]
	global_load_dwordx4 v[30:33], v[30:31], off
	v_lshl_add_u64 v[54:55], v[14:15], 3, s[10:11]
	global_load_dwordx2 v[50:51], v[50:51], off
	v_add_u32_e32 v14, -2, v12
	global_load_dwordx2 v[52:53], v[52:53], off
	v_add_u32_e32 v12, 0x580, v12
	global_load_dwordx2 v[54:55], v[54:55], off
	s_nop 0
	global_load_dwordx4 v[34:37], v[34:35], off
	s_waitcnt vmcnt(10)
	v_fmac_f64_e32 v[8:9], v[38:39], v[56:57]
	v_lshl_add_u64 v[38:39], v[14:15], 3, s[8:9]
	v_add_u32_e32 v14, 9, v18
	v_fmac_f64_e32 v[0:1], v[40:41], v[56:57]
	v_lshl_add_u64 v[56:57], v[14:15], 3, s[10:11]
	v_add_u32_e32 v14, 10, v18
	global_load_dwordx2 v[18:19], v[56:57], off
	v_lshl_add_u64 v[56:57], v[14:15], 3, s[10:11]
	global_load_dwordx4 v[38:41], v[38:39], off
	s_waitcnt vmcnt(10)
	v_fmac_f64_e32 v[8:9], v[42:43], v[58:59]
	global_load_dwordx2 v[56:57], v[56:57], off
	v_fmac_f64_e32 v[0:1], v[44:45], v[58:59]
	s_waitcnt vmcnt(9)
	v_fmac_f64_e32 v[8:9], v[46:47], v[60:61]
	v_fmac_f64_e32 v[0:1], v[48:49], v[60:61]
	s_waitcnt vmcnt(6)
	v_fmac_f64_e32 v[8:9], v[22:23], v[50:51]
	;; [unrolled: 3-line block ×6, first 2 shown]
	v_fmac_f64_e32 v[0:1], v[28:29], v[56:57]
	s_andn2_b64 exec, exec, s[16:17]
	s_cbranch_execnz .LBB125_9
; %bb.10:
	s_or_b64 exec, exec, s[16:17]
.LBB125_11:
	s_or_b64 exec, exec, s[14:15]
	s_andn2_b64 vcc, exec, s[4:5]
	s_cbranch_vccz .LBB125_13
	s_branch .LBB125_18
.LBB125_12:
                                        ; implicit-def: $vgpr8_vgpr9
                                        ; implicit-def: $vgpr0_vgpr1
.LBB125_13:
	v_mov_b64_e32 v[8:9], 0
	v_mov_b64_e32 v[0:1], v[8:9]
	s_and_saveexec_b64 s[4:5], s[2:3]
	s_cbranch_execz .LBB125_17
; %bb.14:
	v_mad_u64_u32 v[12:13], s[2:3], v10, 22, 21
	v_mov_b64_e32 v[8:9], 0
	s_mov_b64 s[2:3], 0
	v_mov_b32_e32 v15, 0
	v_mov_b64_e32 v[0:1], v[8:9]
.LBB125_15:                             ; =>This Inner Loop Header: Depth=1
	v_ashrrev_i32_e32 v11, 31, v10
	v_subrev_u32_e32 v14, 21, v12
	v_add_u32_e32 v18, -10, v12
	v_mov_b32_e32 v19, v15
	v_mov_b32_e32 v13, v15
	v_lshl_add_u64 v[26:27], v[10:11], 2, s[6:7]
	v_lshl_add_u64 v[28:29], v[14:15], 3, s[8:9]
	;; [unrolled: 1-line block ×4, first 2 shown]
	global_load_dword v11, v[26:27], off
	global_load_dwordx4 v[22:25], v[28:29], off
	global_load_dwordx2 v[32:33], v[18:19], off
	global_load_dwordx2 v[34:35], v[30:31], off
	v_mov_b32_e32 v17, v15
	v_add_u32_e32 v10, 64, v10
	v_cmp_ge_i32_e32 vcc, v10, v20
	s_or_b64 s[2:3], vcc, s[2:3]
	s_waitcnt vmcnt(3)
	v_subrev_u32_e32 v11, s12, v11
	v_mul_lo_u32 v16, v11, 11
	v_lshl_add_u64 v[18:19], v[16:17], 3, s[10:11]
	global_load_dwordx2 v[18:19], v[18:19], off
	v_add_u32_e32 v14, 1, v16
	v_lshl_add_u64 v[26:27], v[14:15], 3, s[10:11]
	global_load_dwordx2 v[26:27], v[26:27], off
	v_add_u32_e32 v14, -9, v12
	v_lshl_add_u64 v[28:29], v[14:15], 3, s[8:9]
	v_subrev_u32_e32 v14, 19, v12
	global_load_dwordx2 v[28:29], v[28:29], off
	v_lshl_add_u64 v[30:31], v[14:15], 3, s[8:9]
	global_load_dwordx2 v[30:31], v[30:31], off
	v_add_u32_e32 v14, 2, v16
	v_lshl_add_u64 v[36:37], v[14:15], 3, s[10:11]
	v_add_u32_e32 v14, -8, v12
	global_load_dwordx2 v[36:37], v[36:37], off
	v_lshl_add_u64 v[38:39], v[14:15], 3, s[8:9]
	global_load_dwordx2 v[38:39], v[38:39], off
	v_subrev_u32_e32 v14, 18, v12
	v_lshl_add_u64 v[40:41], v[14:15], 3, s[8:9]
	global_load_dwordx2 v[40:41], v[40:41], off
	v_add_u32_e32 v14, 3, v16
	v_lshl_add_u64 v[42:43], v[14:15], 3, s[10:11]
	v_add_u32_e32 v14, -7, v12
	v_lshl_add_u64 v[44:45], v[14:15], 3, s[8:9]
	v_subrev_u32_e32 v14, 17, v12
	v_lshl_add_u64 v[46:47], v[14:15], 3, s[8:9]
	v_add_u32_e32 v14, 4, v16
	global_load_dwordx2 v[42:43], v[42:43], off
	s_nop 0
	global_load_dwordx2 v[48:49], v[44:45], off
	global_load_dwordx2 v[50:51], v[46:47], off
	v_lshl_add_u64 v[44:45], v[14:15], 3, s[10:11]
	v_add_u32_e32 v14, -6, v12
	v_lshl_add_u64 v[46:47], v[14:15], 3, s[8:9]
	v_add_u32_e32 v14, -16, v12
	v_lshl_add_u64 v[52:53], v[14:15], 3, s[8:9]
	v_add_u32_e32 v14, 5, v16
	global_load_dwordx2 v[44:45], v[44:45], off
	s_nop 0
	global_load_dwordx2 v[54:55], v[46:47], off
	global_load_dwordx2 v[56:57], v[52:53], off
	v_lshl_add_u64 v[46:47], v[14:15], 3, s[10:11]
	v_add_u32_e32 v14, -5, v12
	v_lshl_add_u64 v[52:53], v[14:15], 3, s[8:9]
	v_add_u32_e32 v14, -15, v12
	;; [unrolled: 10-line block ×3, first 2 shown]
	v_lshl_add_u64 v[64:65], v[14:15], 3, s[8:9]
	v_add_u32_e32 v14, 7, v16
	global_load_dwordx2 v[52:53], v[52:53], off
	s_nop 0
	global_load_dwordx2 v[66:67], v[58:59], off
	global_load_dwordx2 v[68:69], v[64:65], off
	s_waitcnt vmcnt(18)
	v_fmac_f64_e32 v[0:1], v[32:33], v[18:19]
	v_lshl_add_u64 v[32:33], v[14:15], 3, s[10:11]
	v_add_u32_e32 v14, -3, v12
	v_fmac_f64_e32 v[8:9], v[22:23], v[18:19]
	v_lshl_add_u64 v[18:19], v[14:15], 3, s[8:9]
	v_add_u32_e32 v14, -13, v12
	v_lshl_add_u64 v[22:23], v[14:15], 3, s[8:9]
	v_add_u32_e32 v14, 8, v16
	global_load_dwordx2 v[32:33], v[32:33], off
	s_waitcnt vmcnt(18)
	v_fmac_f64_e32 v[8:9], v[24:25], v[26:27]
	global_load_dwordx2 v[24:25], v[18:19], off
	global_load_dwordx2 v[58:59], v[22:23], off
	v_lshl_add_u64 v[18:19], v[14:15], 3, s[10:11]
	v_add_u32_e32 v14, -2, v12
	v_lshl_add_u64 v[22:23], v[14:15], 3, s[8:9]
	v_add_u32_e32 v14, -12, v12
	s_waitcnt vmcnt(19)
	v_fmac_f64_e32 v[0:1], v[28:29], v[26:27]
	v_lshl_add_u64 v[26:27], v[14:15], 3, s[8:9]
	v_add_u32_e32 v14, 9, v16
	global_load_dwordx2 v[18:19], v[18:19], off
	s_nop 0
	global_load_dwordx2 v[28:29], v[22:23], off
	global_load_dwordx2 v[64:65], v[26:27], off
	v_lshl_add_u64 v[22:23], v[14:15], 3, s[10:11]
	v_add_u32_e32 v14, -1, v12
	v_lshl_add_u64 v[26:27], v[14:15], 3, s[8:9]
	v_add_u32_e32 v14, -11, v12
	s_waitcnt vmcnt(20)
	v_fmac_f64_e32 v[8:9], v[30:31], v[36:37]
	v_lshl_add_u64 v[30:31], v[14:15], 3, s[8:9]
	v_add_u32_e32 v14, 10, v16
	global_load_dwordx2 v[22:23], v[22:23], off
	s_waitcnt vmcnt(20)
	v_fmac_f64_e32 v[0:1], v[38:39], v[36:37]
	global_load_dwordx2 v[16:17], v[26:27], off
	global_load_dwordx2 v[36:37], v[30:31], off
	v_lshl_add_u64 v[26:27], v[14:15], 3, s[10:11]
	global_load_dwordx2 v[26:27], v[26:27], off
	s_waitcnt vmcnt(21)
	v_fmac_f64_e32 v[8:9], v[40:41], v[42:43]
	s_waitcnt vmcnt(20)
	v_fmac_f64_e32 v[0:1], v[48:49], v[42:43]
	;; [unrolled: 2-line block ×4, first 2 shown]
	v_add_u32_e32 v12, 0x580, v12
	s_waitcnt vmcnt(15)
	v_fmac_f64_e32 v[8:9], v[56:57], v[46:47]
	s_waitcnt vmcnt(14)
	v_fmac_f64_e32 v[0:1], v[60:61], v[46:47]
	;; [unrolled: 2-line block ×11, first 2 shown]
	v_fmac_f64_e32 v[0:1], v[34:35], v[26:27]
	s_andn2_b64 exec, exec, s[2:3]
	s_cbranch_execnz .LBB125_15
; %bb.16:
	s_or_b64 exec, exec, s[2:3]
.LBB125_17:
	s_or_b64 exec, exec, s[4:5]
.LBB125_18:
	v_mov_b32_dpp v10, v8 row_shr:1 row_mask:0xf bank_mask:0xf
	v_mov_b32_dpp v11, v9 row_shr:1 row_mask:0xf bank_mask:0xf
	;; [unrolled: 1-line block ×4, first 2 shown]
	v_add_f64 v[8:9], v[8:9], v[10:11]
	v_add_f64 v[0:1], v[0:1], v[12:13]
	v_cmp_eq_u32_e32 vcc, 63, v7
	v_mov_b32_dpp v10, v8 row_shr:2 row_mask:0xf bank_mask:0xf
	v_mov_b32_dpp v11, v9 row_shr:2 row_mask:0xf bank_mask:0xf
	v_mov_b32_dpp v12, v0 row_shr:2 row_mask:0xf bank_mask:0xf
	v_mov_b32_dpp v13, v1 row_shr:2 row_mask:0xf bank_mask:0xf
	v_add_f64 v[8:9], v[8:9], v[10:11]
	v_add_f64 v[0:1], v[0:1], v[12:13]
	s_nop 0
	v_mov_b32_dpp v10, v8 row_shr:4 row_mask:0xf bank_mask:0xe
	v_mov_b32_dpp v11, v9 row_shr:4 row_mask:0xf bank_mask:0xe
	v_mov_b32_dpp v12, v0 row_shr:4 row_mask:0xf bank_mask:0xe
	v_mov_b32_dpp v13, v1 row_shr:4 row_mask:0xf bank_mask:0xe
	v_add_f64 v[8:9], v[8:9], v[10:11]
	v_add_f64 v[0:1], v[0:1], v[12:13]
	s_nop 0
	;; [unrolled: 7-line block ×3, first 2 shown]
	v_mov_b32_dpp v10, v8 row_bcast:15 row_mask:0xa bank_mask:0xf
	v_mov_b32_dpp v11, v9 row_bcast:15 row_mask:0xa bank_mask:0xf
	;; [unrolled: 1-line block ×4, first 2 shown]
	v_add_f64 v[8:9], v[8:9], v[10:11]
	v_add_f64 v[0:1], v[0:1], v[12:13]
	s_nop 0
	v_mov_b32_dpp v10, v8 row_bcast:31 row_mask:0xc bank_mask:0xf
	v_mov_b32_dpp v11, v9 row_bcast:31 row_mask:0xc bank_mask:0xf
	;; [unrolled: 1-line block ×4, first 2 shown]
	s_and_b64 exec, exec, vcc
	s_cbranch_execz .LBB125_23
; %bb.19:
	s_load_dwordx2 s[0:1], s[0:1], 0x38
	v_add_f64 v[8:9], v[8:9], v[10:11]
	v_add_f64 v[0:1], v[0:1], v[12:13]
	v_cmp_eq_f64_e32 vcc, 0, v[4:5]
	s_and_saveexec_b64 s[2:3], vcc
	s_xor_b64 s[2:3], exec, s[2:3]
	s_cbranch_execz .LBB125_21
; %bb.20:
	v_lshlrev_b32_e32 v6, 1, v6
	v_ashrrev_i32_e32 v7, 31, v6
	v_mul_f64 v[4:5], v[2:3], v[8:9]
	s_waitcnt lgkmcnt(0)
	v_lshl_add_u64 v[8:9], v[6:7], 3, s[0:1]
	v_mul_f64 v[6:7], v[2:3], v[0:1]
	global_store_dwordx4 v[8:9], v[4:7], off
                                        ; implicit-def: $vgpr6
                                        ; implicit-def: $vgpr2_vgpr3
                                        ; implicit-def: $vgpr8_vgpr9
                                        ; implicit-def: $vgpr4_vgpr5
                                        ; implicit-def: $vgpr0_vgpr1
.LBB125_21:
	s_andn2_saveexec_b64 s[2:3], s[2:3]
	s_cbranch_execz .LBB125_23
; %bb.22:
	v_lshlrev_b32_e32 v6, 1, v6
	v_ashrrev_i32_e32 v7, 31, v6
	s_waitcnt lgkmcnt(0)
	v_lshl_add_u64 v[14:15], v[6:7], 3, s[0:1]
	global_load_dwordx4 v[10:13], v[14:15], off
	v_mul_f64 v[6:7], v[2:3], v[8:9]
	v_mul_f64 v[8:9], v[2:3], v[0:1]
	s_waitcnt vmcnt(0)
	v_fmac_f64_e32 v[6:7], v[4:5], v[10:11]
	v_fmac_f64_e32 v[8:9], v[4:5], v[12:13]
	global_store_dwordx4 v[14:15], v[6:9], off
.LBB125_23:
	s_endpgm
	.section	.rodata,"a",@progbits
	.p2align	6, 0x0
	.amdhsa_kernel _ZN9rocsparseL19gebsrmvn_2xn_kernelILj128ELj11ELj64EdEEvi20rocsparse_direction_NS_24const_host_device_scalarIT2_EEPKiS6_PKS3_S8_S4_PS3_21rocsparse_index_base_b
		.amdhsa_group_segment_fixed_size 0
		.amdhsa_private_segment_fixed_size 0
		.amdhsa_kernarg_size 72
		.amdhsa_user_sgpr_count 2
		.amdhsa_user_sgpr_dispatch_ptr 0
		.amdhsa_user_sgpr_queue_ptr 0
		.amdhsa_user_sgpr_kernarg_segment_ptr 1
		.amdhsa_user_sgpr_dispatch_id 0
		.amdhsa_user_sgpr_kernarg_preload_length 0
		.amdhsa_user_sgpr_kernarg_preload_offset 0
		.amdhsa_user_sgpr_private_segment_size 0
		.amdhsa_uses_dynamic_stack 0
		.amdhsa_enable_private_segment 0
		.amdhsa_system_sgpr_workgroup_id_x 1
		.amdhsa_system_sgpr_workgroup_id_y 0
		.amdhsa_system_sgpr_workgroup_id_z 0
		.amdhsa_system_sgpr_workgroup_info 0
		.amdhsa_system_vgpr_workitem_id 0
		.amdhsa_next_free_vgpr 70
		.amdhsa_next_free_sgpr 18
		.amdhsa_accum_offset 72
		.amdhsa_reserve_vcc 1
		.amdhsa_float_round_mode_32 0
		.amdhsa_float_round_mode_16_64 0
		.amdhsa_float_denorm_mode_32 3
		.amdhsa_float_denorm_mode_16_64 3
		.amdhsa_dx10_clamp 1
		.amdhsa_ieee_mode 1
		.amdhsa_fp16_overflow 0
		.amdhsa_tg_split 0
		.amdhsa_exception_fp_ieee_invalid_op 0
		.amdhsa_exception_fp_denorm_src 0
		.amdhsa_exception_fp_ieee_div_zero 0
		.amdhsa_exception_fp_ieee_overflow 0
		.amdhsa_exception_fp_ieee_underflow 0
		.amdhsa_exception_fp_ieee_inexact 0
		.amdhsa_exception_int_div_zero 0
	.end_amdhsa_kernel
	.section	.text._ZN9rocsparseL19gebsrmvn_2xn_kernelILj128ELj11ELj64EdEEvi20rocsparse_direction_NS_24const_host_device_scalarIT2_EEPKiS6_PKS3_S8_S4_PS3_21rocsparse_index_base_b,"axG",@progbits,_ZN9rocsparseL19gebsrmvn_2xn_kernelILj128ELj11ELj64EdEEvi20rocsparse_direction_NS_24const_host_device_scalarIT2_EEPKiS6_PKS3_S8_S4_PS3_21rocsparse_index_base_b,comdat
.Lfunc_end125:
	.size	_ZN9rocsparseL19gebsrmvn_2xn_kernelILj128ELj11ELj64EdEEvi20rocsparse_direction_NS_24const_host_device_scalarIT2_EEPKiS6_PKS3_S8_S4_PS3_21rocsparse_index_base_b, .Lfunc_end125-_ZN9rocsparseL19gebsrmvn_2xn_kernelILj128ELj11ELj64EdEEvi20rocsparse_direction_NS_24const_host_device_scalarIT2_EEPKiS6_PKS3_S8_S4_PS3_21rocsparse_index_base_b
                                        ; -- End function
	.section	.AMDGPU.csdata,"",@progbits
; Kernel info:
; codeLenInByte = 2332
; NumSgprs: 24
; NumVgprs: 70
; NumAgprs: 0
; TotalNumVgprs: 70
; ScratchSize: 0
; MemoryBound: 0
; FloatMode: 240
; IeeeMode: 1
; LDSByteSize: 0 bytes/workgroup (compile time only)
; SGPRBlocks: 2
; VGPRBlocks: 8
; NumSGPRsForWavesPerEU: 24
; NumVGPRsForWavesPerEU: 70
; AccumOffset: 72
; Occupancy: 7
; WaveLimiterHint : 1
; COMPUTE_PGM_RSRC2:SCRATCH_EN: 0
; COMPUTE_PGM_RSRC2:USER_SGPR: 2
; COMPUTE_PGM_RSRC2:TRAP_HANDLER: 0
; COMPUTE_PGM_RSRC2:TGID_X_EN: 1
; COMPUTE_PGM_RSRC2:TGID_Y_EN: 0
; COMPUTE_PGM_RSRC2:TGID_Z_EN: 0
; COMPUTE_PGM_RSRC2:TIDIG_COMP_CNT: 0
; COMPUTE_PGM_RSRC3_GFX90A:ACCUM_OFFSET: 17
; COMPUTE_PGM_RSRC3_GFX90A:TG_SPLIT: 0
	.section	.text._ZN9rocsparseL19gebsrmvn_2xn_kernelILj128ELj12ELj4EdEEvi20rocsparse_direction_NS_24const_host_device_scalarIT2_EEPKiS6_PKS3_S8_S4_PS3_21rocsparse_index_base_b,"axG",@progbits,_ZN9rocsparseL19gebsrmvn_2xn_kernelILj128ELj12ELj4EdEEvi20rocsparse_direction_NS_24const_host_device_scalarIT2_EEPKiS6_PKS3_S8_S4_PS3_21rocsparse_index_base_b,comdat
	.globl	_ZN9rocsparseL19gebsrmvn_2xn_kernelILj128ELj12ELj4EdEEvi20rocsparse_direction_NS_24const_host_device_scalarIT2_EEPKiS6_PKS3_S8_S4_PS3_21rocsparse_index_base_b ; -- Begin function _ZN9rocsparseL19gebsrmvn_2xn_kernelILj128ELj12ELj4EdEEvi20rocsparse_direction_NS_24const_host_device_scalarIT2_EEPKiS6_PKS3_S8_S4_PS3_21rocsparse_index_base_b
	.p2align	8
	.type	_ZN9rocsparseL19gebsrmvn_2xn_kernelILj128ELj12ELj4EdEEvi20rocsparse_direction_NS_24const_host_device_scalarIT2_EEPKiS6_PKS3_S8_S4_PS3_21rocsparse_index_base_b,@function
_ZN9rocsparseL19gebsrmvn_2xn_kernelILj128ELj12ELj4EdEEvi20rocsparse_direction_NS_24const_host_device_scalarIT2_EEPKiS6_PKS3_S8_S4_PS3_21rocsparse_index_base_b: ; @_ZN9rocsparseL19gebsrmvn_2xn_kernelILj128ELj12ELj4EdEEvi20rocsparse_direction_NS_24const_host_device_scalarIT2_EEPKiS6_PKS3_S8_S4_PS3_21rocsparse_index_base_b
; %bb.0:
	s_load_dwordx2 s[12:13], s[0:1], 0x40
	s_load_dwordx2 s[8:9], s[0:1], 0x8
	;; [unrolled: 1-line block ×3, first 2 shown]
	s_waitcnt lgkmcnt(0)
	s_bitcmp1_b32 s13, 0
	s_cselect_b64 s[10:11], -1, 0
	s_xor_b64 s[6:7], s[10:11], -1
	s_and_b64 vcc, exec, s[10:11]
	v_mov_b64_e32 v[2:3], s[8:9]
	s_cbranch_vccnz .LBB126_2
; %bb.1:
	v_mov_b64_e32 v[2:3], s[8:9]
	flat_load_dwordx2 v[2:3], v[2:3]
.LBB126_2:
	s_andn2_b64 vcc, exec, s[6:7]
	v_mov_b64_e32 v[4:5], s[4:5]
	s_cbranch_vccnz .LBB126_4
; %bb.3:
	v_mov_b64_e32 v[4:5], s[4:5]
	flat_load_dwordx2 v[4:5], v[4:5]
.LBB126_4:
	s_waitcnt vmcnt(0) lgkmcnt(0)
	v_cmp_neq_f64_e32 vcc, 0, v[2:3]
	v_cmp_neq_f64_e64 s[4:5], 1.0, v[4:5]
	s_or_b64 s[4:5], vcc, s[4:5]
	s_and_saveexec_b64 s[6:7], s[4:5]
	s_cbranch_execz .LBB126_23
; %bb.5:
	s_load_dwordx2 s[14:15], s[0:1], 0x0
	v_lshrrev_b32_e32 v1, 2, v0
	v_lshl_or_b32 v6, s2, 5, v1
	s_waitcnt lgkmcnt(0)
	v_cmp_gt_i32_e32 vcc, s14, v6
	s_and_b64 exec, exec, vcc
	s_cbranch_execz .LBB126_23
; %bb.6:
	s_load_dwordx8 s[4:11], s[0:1], 0x10
	v_ashrrev_i32_e32 v7, 31, v6
	s_cmp_lg_u32 s15, 0
	s_waitcnt lgkmcnt(0)
	v_lshl_add_u64 v[8:9], v[6:7], 2, s[4:5]
	global_load_dwordx2 v[8:9], v[8:9], off
	v_and_b32_e32 v7, 3, v0
	s_waitcnt vmcnt(0)
	v_subrev_u32_e32 v0, s12, v8
	v_subrev_u32_e32 v18, s12, v9
	v_add_u32_e32 v8, v0, v7
	v_cmp_lt_i32_e64 s[2:3], v8, v18
	s_cbranch_scc0 .LBB126_12
; %bb.7:
	v_mov_b64_e32 v[0:1], 0
	s_mov_b64 s[4:5], 0
	v_mov_b64_e32 v[10:11], v[0:1]
	s_and_saveexec_b64 s[14:15], s[2:3]
	s_cbranch_execz .LBB126_11
; %bb.8:
	v_mad_u64_u32 v[12:13], s[16:17], v8, 24, 22
	v_mov_b64_e32 v[0:1], 0
	s_mov_b64 s[16:17], 0
	v_mov_b32_e32 v15, 0
	v_mov_b32_e32 v16, v8
	v_mov_b64_e32 v[10:11], v[0:1]
.LBB126_9:                              ; =>This Inner Loop Header: Depth=1
	v_ashrrev_i32_e32 v17, 31, v16
	v_subrev_u32_e32 v14, 22, v12
	v_lshl_add_u64 v[36:37], v[16:17], 2, s[6:7]
	v_lshl_add_u64 v[38:39], v[14:15], 3, s[8:9]
	global_load_dword v9, v[36:37], off
	global_load_dwordx4 v[20:23], v[38:39], off offset:48
	global_load_dwordx4 v[24:27], v[38:39], off offset:32
	global_load_dwordx4 v[28:31], v[38:39], off offset:16
	global_load_dwordx4 v[32:35], v[38:39], off
	v_mov_b32_e32 v65, v15
	v_add_u32_e32 v14, -14, v12
	v_lshl_add_u64 v[36:37], v[14:15], 3, s[8:9]
	global_load_dwordx4 v[36:39], v[36:37], off
	v_mov_b32_e32 v13, v15
	v_lshl_add_u64 v[80:81], v[12:13], 3, s[8:9]
	v_add_u32_e32 v16, 4, v16
	v_cmp_ge_i32_e32 vcc, v16, v18
	s_or_b64 s[16:17], vcc, s[16:17]
	s_waitcnt vmcnt(5)
	v_subrev_u32_e32 v9, s12, v9
	v_mul_lo_u32 v64, v9, 12
	v_lshl_add_u64 v[48:49], v[64:65], 3, s[10:11]
	global_load_dwordx4 v[40:43], v[48:49], off
	global_load_dwordx4 v[44:47], v[48:49], off offset:16
	v_add_u32_e32 v14, 4, v64
	v_lshl_add_u64 v[56:57], v[14:15], 3, s[10:11]
	v_add_u32_e32 v14, -12, v12
	global_load_dwordx4 v[48:51], v[56:57], off offset:16
	global_load_dwordx4 v[52:55], v[56:57], off
	v_lshl_add_u64 v[56:57], v[14:15], 3, s[8:9]
	v_add_u32_e32 v14, -10, v12
	v_lshl_add_u64 v[60:61], v[14:15], 3, s[8:9]
	v_add_u32_e32 v14, -8, v12
	global_load_dwordx4 v[56:59], v[56:57], off
	v_lshl_add_u64 v[72:73], v[14:15], 3, s[8:9]
	global_load_dwordx4 v[60:63], v[60:61], off
	v_add_u32_e32 v14, -6, v12
	v_lshl_add_u64 v[74:75], v[14:15], 3, s[8:9]
	v_add_u32_e32 v14, 8, v64
	v_lshl_add_u64 v[82:83], v[14:15], 3, s[10:11]
	v_add_u32_e32 v14, -4, v12
	global_load_dwordx4 v[64:67], v[72:73], off
	global_load_dwordx4 v[68:71], v[74:75], off
	s_nop 0
	global_load_dwordx4 v[72:75], v[82:83], off offset:16
	global_load_dwordx4 v[76:79], v[82:83], off
	v_lshl_add_u64 v[82:83], v[14:15], 3, s[8:9]
	v_add_u32_e32 v14, -2, v12
	v_lshl_add_u64 v[84:85], v[14:15], 3, s[8:9]
	v_add_u32_e32 v12, 0x60, v12
	s_waitcnt vmcnt(9)
	v_fmac_f64_e32 v[0:1], v[32:33], v[40:41]
	v_fmac_f64_e32 v[10:11], v[34:35], v[40:41]
	global_load_dwordx4 v[32:35], v[82:83], off
	v_fmac_f64_e32 v[0:1], v[28:29], v[42:43]
	v_fmac_f64_e32 v[10:11], v[30:31], v[42:43]
	global_load_dwordx4 v[28:31], v[84:85], off
	global_load_dwordx4 v[40:43], v[80:81], off
	s_waitcnt vmcnt(11)
	v_fmac_f64_e32 v[0:1], v[24:25], v[44:45]
	v_fmac_f64_e32 v[10:11], v[26:27], v[44:45]
	;; [unrolled: 1-line block ×4, first 2 shown]
	s_waitcnt vmcnt(9)
	v_fmac_f64_e32 v[0:1], v[36:37], v[52:53]
	v_fmac_f64_e32 v[10:11], v[38:39], v[52:53]
	s_waitcnt vmcnt(8)
	v_fmac_f64_e32 v[0:1], v[56:57], v[54:55]
	v_fmac_f64_e32 v[10:11], v[58:59], v[54:55]
	;; [unrolled: 3-line block ×8, first 2 shown]
	s_andn2_b64 exec, exec, s[16:17]
	s_cbranch_execnz .LBB126_9
; %bb.10:
	s_or_b64 exec, exec, s[16:17]
.LBB126_11:
	s_or_b64 exec, exec, s[14:15]
	s_andn2_b64 vcc, exec, s[4:5]
	s_cbranch_vccz .LBB126_13
	s_branch .LBB126_18
.LBB126_12:
                                        ; implicit-def: $vgpr0_vgpr1
                                        ; implicit-def: $vgpr10_vgpr11
.LBB126_13:
	v_mov_b64_e32 v[0:1], 0
	v_mov_b64_e32 v[10:11], v[0:1]
	s_and_saveexec_b64 s[4:5], s[2:3]
	s_cbranch_execz .LBB126_17
; %bb.14:
	v_mad_u64_u32 v[12:13], s[2:3], v8, 24, 23
	v_mov_b64_e32 v[0:1], 0
	s_mov_b64 s[2:3], 0
	v_mov_b32_e32 v15, 0
	v_mov_b64_e32 v[10:11], v[0:1]
.LBB126_15:                             ; =>This Inner Loop Header: Depth=1
	v_ashrrev_i32_e32 v9, 31, v8
	v_subrev_u32_e32 v14, 23, v12
	v_lshl_add_u64 v[36:37], v[8:9], 2, s[6:7]
	v_lshl_add_u64 v[38:39], v[14:15], 3, s[8:9]
	global_load_dword v9, v[36:37], off
	global_load_dwordx4 v[20:23], v[38:39], off offset:48
	global_load_dwordx4 v[24:27], v[38:39], off offset:32
	;; [unrolled: 1-line block ×3, first 2 shown]
	global_load_dwordx4 v[32:35], v[38:39], off
	v_add_u32_e32 v14, -10, v12
	v_add_u32_e32 v16, -11, v12
	v_mov_b32_e32 v17, v15
	v_lshl_add_u64 v[36:37], v[14:15], 3, s[8:9]
	v_add_u32_e32 v14, -9, v12
	v_mov_b32_e32 v53, v15
	v_lshl_add_u64 v[16:17], v[16:17], 3, s[8:9]
	v_lshl_add_u64 v[38:39], v[14:15], 3, s[8:9]
	v_add_u32_e32 v14, -8, v12
	global_load_dwordx2 v[16:17], v[16:17], off
	v_mov_b32_e32 v13, v15
	global_load_dwordx2 v[58:59], v[36:37], off
	v_lshl_add_u64 v[36:37], v[14:15], 3, s[8:9]
	global_load_dwordx2 v[60:61], v[38:39], off
	global_load_dwordx2 v[62:63], v[36:37], off
	v_lshl_add_u64 v[56:57], v[12:13], 3, s[8:9]
	v_add_u32_e32 v8, 4, v8
	v_cmp_ge_i32_e32 vcc, v8, v18
	s_or_b64 s[2:3], vcc, s[2:3]
	s_waitcnt vmcnt(8)
	v_subrev_u32_e32 v9, s12, v9
	v_mul_lo_u32 v52, v9, 12
	v_lshl_add_u64 v[44:45], v[52:53], 3, s[10:11]
	global_load_dwordx4 v[36:39], v[44:45], off
	global_load_dwordx4 v[40:43], v[44:45], off offset:16
	v_add_u32_e32 v14, 4, v52
	v_lshl_add_u64 v[54:55], v[14:15], 3, s[10:11]
	v_add_u32_e32 v14, -7, v12
	v_lshl_add_u64 v[64:65], v[14:15], 3, s[8:9]
	v_add_u32_e32 v14, -6, v12
	global_load_dwordx4 v[44:47], v[54:55], off offset:16
	global_load_dwordx4 v[48:51], v[54:55], off
	v_lshl_add_u64 v[54:55], v[14:15], 3, s[8:9]
	v_add_u32_e32 v14, -5, v12
	v_lshl_add_u64 v[66:67], v[14:15], 3, s[8:9]
	v_add_u32_e32 v14, -4, v12
	global_load_dwordx2 v[64:65], v[64:65], off
	s_waitcnt vmcnt(4)
	v_fmac_f64_e32 v[10:11], v[16:17], v[36:37]
	global_load_dwordx2 v[66:67], v[66:67], off
	v_fmac_f64_e32 v[0:1], v[32:33], v[36:37]
	global_load_dwordx2 v[68:69], v[54:55], off
	v_lshl_add_u64 v[54:55], v[14:15], 3, s[8:9]
	v_add_u32_e32 v14, -15, v12
	v_lshl_add_u64 v[70:71], v[14:15], 3, s[8:9]
	v_add_u32_e32 v14, 8, v52
	global_load_dwordx2 v[72:73], v[54:55], off
	global_load_dwordx2 v[74:75], v[70:71], off
	v_lshl_add_u64 v[70:71], v[14:15], 3, s[10:11]
	v_add_u32_e32 v14, -3, v12
	v_lshl_add_u64 v[16:17], v[14:15], 3, s[8:9]
	v_add_u32_e32 v14, -14, v12
	;; [unrolled: 2-line block ×3, first 2 shown]
	v_fmac_f64_e32 v[0:1], v[34:35], v[38:39]
	global_load_dwordx4 v[32:35], v[70:71], off offset:16
	global_load_dwordx4 v[52:55], v[70:71], off
	v_fmac_f64_e32 v[10:11], v[58:59], v[38:39]
	global_load_dwordx2 v[16:17], v[16:17], off
	v_lshl_add_u64 v[38:39], v[14:15], 3, s[8:9]
	global_load_dwordx2 v[36:37], v[36:37], off
	v_add_u32_e32 v14, -13, v12
	v_lshl_add_u64 v[58:59], v[14:15], 3, s[8:9]
	v_add_u32_e32 v14, -1, v12
	global_load_dwordx2 v[70:71], v[38:39], off
	global_load_dwordx2 v[76:77], v[58:59], off
	s_waitcnt vmcnt(13)
	v_fmac_f64_e32 v[0:1], v[28:29], v[40:41]
	v_lshl_add_u64 v[28:29], v[14:15], 3, s[8:9]
	v_add_u32_e32 v14, -12, v12
	v_fmac_f64_e32 v[0:1], v[30:31], v[42:43]
	v_lshl_add_u64 v[30:31], v[14:15], 3, s[8:9]
	global_load_dwordx2 v[38:39], v[28:29], off
	global_load_dwordx2 v[58:59], v[30:31], off
	;; [unrolled: 1-line block ×3, first 2 shown]
	v_fmac_f64_e32 v[10:11], v[60:61], v[40:41]
	v_fmac_f64_e32 v[10:11], v[62:63], v[42:43]
	s_waitcnt vmcnt(14)
	v_fmac_f64_e32 v[0:1], v[24:25], v[48:49]
	s_waitcnt vmcnt(13)
	v_fmac_f64_e32 v[10:11], v[64:65], v[48:49]
	v_fmac_f64_e32 v[0:1], v[26:27], v[50:51]
	;; [unrolled: 1-line block ×4, first 2 shown]
	v_add_u32_e32 v12, 0x60, v12
	s_waitcnt vmcnt(11)
	v_fmac_f64_e32 v[10:11], v[68:69], v[50:51]
	v_fmac_f64_e32 v[10:11], v[66:67], v[44:45]
	s_waitcnt vmcnt(10)
	v_fmac_f64_e32 v[10:11], v[72:73], v[46:47]
	s_waitcnt vmcnt(7)
	;; [unrolled: 2-line block ×9, first 2 shown]
	v_fmac_f64_e32 v[10:11], v[78:79], v[34:35]
	s_andn2_b64 exec, exec, s[2:3]
	s_cbranch_execnz .LBB126_15
; %bb.16:
	s_or_b64 exec, exec, s[2:3]
.LBB126_17:
	s_or_b64 exec, exec, s[4:5]
.LBB126_18:
	v_mov_b32_dpp v8, v0 row_shr:1 row_mask:0xf bank_mask:0xf
	v_mov_b32_dpp v9, v1 row_shr:1 row_mask:0xf bank_mask:0xf
	;; [unrolled: 1-line block ×4, first 2 shown]
	v_add_f64 v[0:1], v[0:1], v[8:9]
	v_add_f64 v[10:11], v[10:11], v[12:13]
	v_cmp_eq_u32_e32 vcc, 3, v7
	v_mov_b32_dpp v8, v0 row_shr:2 row_mask:0xf bank_mask:0xf
	v_mov_b32_dpp v9, v1 row_shr:2 row_mask:0xf bank_mask:0xf
	;; [unrolled: 1-line block ×4, first 2 shown]
	s_and_b64 exec, exec, vcc
	s_cbranch_execz .LBB126_23
; %bb.19:
	s_load_dwordx2 s[0:1], s[0:1], 0x38
	v_add_f64 v[8:9], v[0:1], v[8:9]
	v_add_f64 v[0:1], v[10:11], v[12:13]
	v_cmp_eq_f64_e32 vcc, 0, v[4:5]
	s_and_saveexec_b64 s[2:3], vcc
	s_xor_b64 s[2:3], exec, s[2:3]
	s_cbranch_execz .LBB126_21
; %bb.20:
	v_lshlrev_b32_e32 v6, 1, v6
	v_ashrrev_i32_e32 v7, 31, v6
	v_mul_f64 v[4:5], v[2:3], v[8:9]
	s_waitcnt lgkmcnt(0)
	v_lshl_add_u64 v[8:9], v[6:7], 3, s[0:1]
	v_mul_f64 v[6:7], v[2:3], v[0:1]
	global_store_dwordx4 v[8:9], v[4:7], off
                                        ; implicit-def: $vgpr6
                                        ; implicit-def: $vgpr2_vgpr3
                                        ; implicit-def: $vgpr8_vgpr9
                                        ; implicit-def: $vgpr4_vgpr5
                                        ; implicit-def: $vgpr0_vgpr1
.LBB126_21:
	s_andn2_saveexec_b64 s[2:3], s[2:3]
	s_cbranch_execz .LBB126_23
; %bb.22:
	v_lshlrev_b32_e32 v6, 1, v6
	v_ashrrev_i32_e32 v7, 31, v6
	s_waitcnt lgkmcnt(0)
	v_lshl_add_u64 v[14:15], v[6:7], 3, s[0:1]
	global_load_dwordx4 v[10:13], v[14:15], off
	v_mul_f64 v[6:7], v[2:3], v[8:9]
	v_mul_f64 v[8:9], v[2:3], v[0:1]
	s_waitcnt vmcnt(0)
	v_fmac_f64_e32 v[6:7], v[4:5], v[10:11]
	v_fmac_f64_e32 v[8:9], v[4:5], v[12:13]
	global_store_dwordx4 v[14:15], v[6:9], off
.LBB126_23:
	s_endpgm
	.section	.rodata,"a",@progbits
	.p2align	6, 0x0
	.amdhsa_kernel _ZN9rocsparseL19gebsrmvn_2xn_kernelILj128ELj12ELj4EdEEvi20rocsparse_direction_NS_24const_host_device_scalarIT2_EEPKiS6_PKS3_S8_S4_PS3_21rocsparse_index_base_b
		.amdhsa_group_segment_fixed_size 0
		.amdhsa_private_segment_fixed_size 0
		.amdhsa_kernarg_size 72
		.amdhsa_user_sgpr_count 2
		.amdhsa_user_sgpr_dispatch_ptr 0
		.amdhsa_user_sgpr_queue_ptr 0
		.amdhsa_user_sgpr_kernarg_segment_ptr 1
		.amdhsa_user_sgpr_dispatch_id 0
		.amdhsa_user_sgpr_kernarg_preload_length 0
		.amdhsa_user_sgpr_kernarg_preload_offset 0
		.amdhsa_user_sgpr_private_segment_size 0
		.amdhsa_uses_dynamic_stack 0
		.amdhsa_enable_private_segment 0
		.amdhsa_system_sgpr_workgroup_id_x 1
		.amdhsa_system_sgpr_workgroup_id_y 0
		.amdhsa_system_sgpr_workgroup_id_z 0
		.amdhsa_system_sgpr_workgroup_info 0
		.amdhsa_system_vgpr_workitem_id 0
		.amdhsa_next_free_vgpr 86
		.amdhsa_next_free_sgpr 18
		.amdhsa_accum_offset 88
		.amdhsa_reserve_vcc 1
		.amdhsa_float_round_mode_32 0
		.amdhsa_float_round_mode_16_64 0
		.amdhsa_float_denorm_mode_32 3
		.amdhsa_float_denorm_mode_16_64 3
		.amdhsa_dx10_clamp 1
		.amdhsa_ieee_mode 1
		.amdhsa_fp16_overflow 0
		.amdhsa_tg_split 0
		.amdhsa_exception_fp_ieee_invalid_op 0
		.amdhsa_exception_fp_denorm_src 0
		.amdhsa_exception_fp_ieee_div_zero 0
		.amdhsa_exception_fp_ieee_overflow 0
		.amdhsa_exception_fp_ieee_underflow 0
		.amdhsa_exception_fp_ieee_inexact 0
		.amdhsa_exception_int_div_zero 0
	.end_amdhsa_kernel
	.section	.text._ZN9rocsparseL19gebsrmvn_2xn_kernelILj128ELj12ELj4EdEEvi20rocsparse_direction_NS_24const_host_device_scalarIT2_EEPKiS6_PKS3_S8_S4_PS3_21rocsparse_index_base_b,"axG",@progbits,_ZN9rocsparseL19gebsrmvn_2xn_kernelILj128ELj12ELj4EdEEvi20rocsparse_direction_NS_24const_host_device_scalarIT2_EEPKiS6_PKS3_S8_S4_PS3_21rocsparse_index_base_b,comdat
.Lfunc_end126:
	.size	_ZN9rocsparseL19gebsrmvn_2xn_kernelILj128ELj12ELj4EdEEvi20rocsparse_direction_NS_24const_host_device_scalarIT2_EEPKiS6_PKS3_S8_S4_PS3_21rocsparse_index_base_b, .Lfunc_end126-_ZN9rocsparseL19gebsrmvn_2xn_kernelILj128ELj12ELj4EdEEvi20rocsparse_direction_NS_24const_host_device_scalarIT2_EEPKiS6_PKS3_S8_S4_PS3_21rocsparse_index_base_b
                                        ; -- End function
	.section	.AMDGPU.csdata,"",@progbits
; Kernel info:
; codeLenInByte = 1748
; NumSgprs: 24
; NumVgprs: 86
; NumAgprs: 0
; TotalNumVgprs: 86
; ScratchSize: 0
; MemoryBound: 1
; FloatMode: 240
; IeeeMode: 1
; LDSByteSize: 0 bytes/workgroup (compile time only)
; SGPRBlocks: 2
; VGPRBlocks: 10
; NumSGPRsForWavesPerEU: 24
; NumVGPRsForWavesPerEU: 86
; AccumOffset: 88
; Occupancy: 5
; WaveLimiterHint : 1
; COMPUTE_PGM_RSRC2:SCRATCH_EN: 0
; COMPUTE_PGM_RSRC2:USER_SGPR: 2
; COMPUTE_PGM_RSRC2:TRAP_HANDLER: 0
; COMPUTE_PGM_RSRC2:TGID_X_EN: 1
; COMPUTE_PGM_RSRC2:TGID_Y_EN: 0
; COMPUTE_PGM_RSRC2:TGID_Z_EN: 0
; COMPUTE_PGM_RSRC2:TIDIG_COMP_CNT: 0
; COMPUTE_PGM_RSRC3_GFX90A:ACCUM_OFFSET: 21
; COMPUTE_PGM_RSRC3_GFX90A:TG_SPLIT: 0
	.section	.text._ZN9rocsparseL19gebsrmvn_2xn_kernelILj128ELj12ELj8EdEEvi20rocsparse_direction_NS_24const_host_device_scalarIT2_EEPKiS6_PKS3_S8_S4_PS3_21rocsparse_index_base_b,"axG",@progbits,_ZN9rocsparseL19gebsrmvn_2xn_kernelILj128ELj12ELj8EdEEvi20rocsparse_direction_NS_24const_host_device_scalarIT2_EEPKiS6_PKS3_S8_S4_PS3_21rocsparse_index_base_b,comdat
	.globl	_ZN9rocsparseL19gebsrmvn_2xn_kernelILj128ELj12ELj8EdEEvi20rocsparse_direction_NS_24const_host_device_scalarIT2_EEPKiS6_PKS3_S8_S4_PS3_21rocsparse_index_base_b ; -- Begin function _ZN9rocsparseL19gebsrmvn_2xn_kernelILj128ELj12ELj8EdEEvi20rocsparse_direction_NS_24const_host_device_scalarIT2_EEPKiS6_PKS3_S8_S4_PS3_21rocsparse_index_base_b
	.p2align	8
	.type	_ZN9rocsparseL19gebsrmvn_2xn_kernelILj128ELj12ELj8EdEEvi20rocsparse_direction_NS_24const_host_device_scalarIT2_EEPKiS6_PKS3_S8_S4_PS3_21rocsparse_index_base_b,@function
_ZN9rocsparseL19gebsrmvn_2xn_kernelILj128ELj12ELj8EdEEvi20rocsparse_direction_NS_24const_host_device_scalarIT2_EEPKiS6_PKS3_S8_S4_PS3_21rocsparse_index_base_b: ; @_ZN9rocsparseL19gebsrmvn_2xn_kernelILj128ELj12ELj8EdEEvi20rocsparse_direction_NS_24const_host_device_scalarIT2_EEPKiS6_PKS3_S8_S4_PS3_21rocsparse_index_base_b
; %bb.0:
	s_load_dwordx2 s[12:13], s[0:1], 0x40
	s_load_dwordx2 s[8:9], s[0:1], 0x8
	;; [unrolled: 1-line block ×3, first 2 shown]
	s_waitcnt lgkmcnt(0)
	s_bitcmp1_b32 s13, 0
	s_cselect_b64 s[10:11], -1, 0
	s_xor_b64 s[6:7], s[10:11], -1
	s_and_b64 vcc, exec, s[10:11]
	v_mov_b64_e32 v[2:3], s[8:9]
	s_cbranch_vccnz .LBB127_2
; %bb.1:
	v_mov_b64_e32 v[2:3], s[8:9]
	flat_load_dwordx2 v[2:3], v[2:3]
.LBB127_2:
	s_andn2_b64 vcc, exec, s[6:7]
	v_mov_b64_e32 v[4:5], s[4:5]
	s_cbranch_vccnz .LBB127_4
; %bb.3:
	v_mov_b64_e32 v[4:5], s[4:5]
	flat_load_dwordx2 v[4:5], v[4:5]
.LBB127_4:
	s_waitcnt vmcnt(0) lgkmcnt(0)
	v_cmp_neq_f64_e32 vcc, 0, v[2:3]
	v_cmp_neq_f64_e64 s[4:5], 1.0, v[4:5]
	s_or_b64 s[4:5], vcc, s[4:5]
	s_and_saveexec_b64 s[6:7], s[4:5]
	s_cbranch_execz .LBB127_23
; %bb.5:
	s_load_dwordx2 s[14:15], s[0:1], 0x0
	v_lshrrev_b32_e32 v1, 3, v0
	v_lshl_or_b32 v6, s2, 4, v1
	s_waitcnt lgkmcnt(0)
	v_cmp_gt_i32_e32 vcc, s14, v6
	s_and_b64 exec, exec, vcc
	s_cbranch_execz .LBB127_23
; %bb.6:
	s_load_dwordx8 s[4:11], s[0:1], 0x10
	v_ashrrev_i32_e32 v7, 31, v6
	s_cmp_lg_u32 s15, 0
	s_waitcnt lgkmcnt(0)
	v_lshl_add_u64 v[8:9], v[6:7], 2, s[4:5]
	global_load_dwordx2 v[8:9], v[8:9], off
	v_and_b32_e32 v7, 7, v0
	s_waitcnt vmcnt(0)
	v_subrev_u32_e32 v0, s12, v8
	v_subrev_u32_e32 v18, s12, v9
	v_add_u32_e32 v8, v0, v7
	v_cmp_lt_i32_e64 s[2:3], v8, v18
	s_cbranch_scc0 .LBB127_12
; %bb.7:
	v_mov_b64_e32 v[0:1], 0
	s_mov_b64 s[4:5], 0
	v_mov_b64_e32 v[10:11], v[0:1]
	s_and_saveexec_b64 s[14:15], s[2:3]
	s_cbranch_execz .LBB127_11
; %bb.8:
	v_mad_u64_u32 v[12:13], s[16:17], v8, 24, 22
	v_mov_b64_e32 v[0:1], 0
	s_mov_b64 s[16:17], 0
	v_mov_b32_e32 v15, 0
	v_mov_b32_e32 v16, v8
	v_mov_b64_e32 v[10:11], v[0:1]
.LBB127_9:                              ; =>This Inner Loop Header: Depth=1
	v_ashrrev_i32_e32 v17, 31, v16
	v_subrev_u32_e32 v14, 22, v12
	v_lshl_add_u64 v[36:37], v[16:17], 2, s[6:7]
	v_lshl_add_u64 v[38:39], v[14:15], 3, s[8:9]
	global_load_dword v9, v[36:37], off
	global_load_dwordx4 v[20:23], v[38:39], off offset:48
	global_load_dwordx4 v[24:27], v[38:39], off offset:32
	;; [unrolled: 1-line block ×3, first 2 shown]
	global_load_dwordx4 v[32:35], v[38:39], off
	v_mov_b32_e32 v65, v15
	v_add_u32_e32 v14, -14, v12
	v_lshl_add_u64 v[36:37], v[14:15], 3, s[8:9]
	global_load_dwordx4 v[36:39], v[36:37], off
	v_mov_b32_e32 v13, v15
	v_lshl_add_u64 v[80:81], v[12:13], 3, s[8:9]
	v_add_u32_e32 v16, 8, v16
	v_cmp_ge_i32_e32 vcc, v16, v18
	s_or_b64 s[16:17], vcc, s[16:17]
	s_waitcnt vmcnt(5)
	v_subrev_u32_e32 v9, s12, v9
	v_mul_lo_u32 v64, v9, 12
	v_lshl_add_u64 v[48:49], v[64:65], 3, s[10:11]
	global_load_dwordx4 v[40:43], v[48:49], off
	global_load_dwordx4 v[44:47], v[48:49], off offset:16
	v_add_u32_e32 v14, 4, v64
	v_lshl_add_u64 v[56:57], v[14:15], 3, s[10:11]
	v_add_u32_e32 v14, -12, v12
	global_load_dwordx4 v[48:51], v[56:57], off offset:16
	global_load_dwordx4 v[52:55], v[56:57], off
	v_lshl_add_u64 v[56:57], v[14:15], 3, s[8:9]
	v_add_u32_e32 v14, -10, v12
	v_lshl_add_u64 v[60:61], v[14:15], 3, s[8:9]
	v_add_u32_e32 v14, -8, v12
	global_load_dwordx4 v[56:59], v[56:57], off
	v_lshl_add_u64 v[72:73], v[14:15], 3, s[8:9]
	global_load_dwordx4 v[60:63], v[60:61], off
	v_add_u32_e32 v14, -6, v12
	v_lshl_add_u64 v[74:75], v[14:15], 3, s[8:9]
	v_add_u32_e32 v14, 8, v64
	v_lshl_add_u64 v[82:83], v[14:15], 3, s[10:11]
	v_add_u32_e32 v14, -4, v12
	global_load_dwordx4 v[64:67], v[72:73], off
	global_load_dwordx4 v[68:71], v[74:75], off
	s_nop 0
	global_load_dwordx4 v[72:75], v[82:83], off offset:16
	global_load_dwordx4 v[76:79], v[82:83], off
	v_lshl_add_u64 v[82:83], v[14:15], 3, s[8:9]
	v_add_u32_e32 v14, -2, v12
	v_lshl_add_u64 v[84:85], v[14:15], 3, s[8:9]
	v_add_u32_e32 v12, 0xc0, v12
	s_waitcnt vmcnt(9)
	v_fmac_f64_e32 v[0:1], v[32:33], v[40:41]
	v_fmac_f64_e32 v[10:11], v[34:35], v[40:41]
	global_load_dwordx4 v[32:35], v[82:83], off
	v_fmac_f64_e32 v[0:1], v[28:29], v[42:43]
	v_fmac_f64_e32 v[10:11], v[30:31], v[42:43]
	global_load_dwordx4 v[28:31], v[84:85], off
	global_load_dwordx4 v[40:43], v[80:81], off
	s_waitcnt vmcnt(11)
	v_fmac_f64_e32 v[0:1], v[24:25], v[44:45]
	v_fmac_f64_e32 v[10:11], v[26:27], v[44:45]
	;; [unrolled: 1-line block ×4, first 2 shown]
	s_waitcnt vmcnt(9)
	v_fmac_f64_e32 v[0:1], v[36:37], v[52:53]
	v_fmac_f64_e32 v[10:11], v[38:39], v[52:53]
	s_waitcnt vmcnt(8)
	v_fmac_f64_e32 v[0:1], v[56:57], v[54:55]
	v_fmac_f64_e32 v[10:11], v[58:59], v[54:55]
	;; [unrolled: 3-line block ×8, first 2 shown]
	s_andn2_b64 exec, exec, s[16:17]
	s_cbranch_execnz .LBB127_9
; %bb.10:
	s_or_b64 exec, exec, s[16:17]
.LBB127_11:
	s_or_b64 exec, exec, s[14:15]
	s_andn2_b64 vcc, exec, s[4:5]
	s_cbranch_vccz .LBB127_13
	s_branch .LBB127_18
.LBB127_12:
                                        ; implicit-def: $vgpr0_vgpr1
                                        ; implicit-def: $vgpr10_vgpr11
.LBB127_13:
	v_mov_b64_e32 v[0:1], 0
	v_mov_b64_e32 v[10:11], v[0:1]
	s_and_saveexec_b64 s[4:5], s[2:3]
	s_cbranch_execz .LBB127_17
; %bb.14:
	v_mad_u64_u32 v[12:13], s[2:3], v8, 24, 23
	v_mov_b64_e32 v[0:1], 0
	s_mov_b64 s[2:3], 0
	v_mov_b32_e32 v15, 0
	v_mov_b64_e32 v[10:11], v[0:1]
.LBB127_15:                             ; =>This Inner Loop Header: Depth=1
	v_ashrrev_i32_e32 v9, 31, v8
	v_subrev_u32_e32 v14, 23, v12
	v_lshl_add_u64 v[36:37], v[8:9], 2, s[6:7]
	v_lshl_add_u64 v[38:39], v[14:15], 3, s[8:9]
	global_load_dword v9, v[36:37], off
	global_load_dwordx4 v[20:23], v[38:39], off offset:48
	global_load_dwordx4 v[24:27], v[38:39], off offset:32
	;; [unrolled: 1-line block ×3, first 2 shown]
	global_load_dwordx4 v[32:35], v[38:39], off
	v_add_u32_e32 v14, -10, v12
	v_add_u32_e32 v16, -11, v12
	v_mov_b32_e32 v17, v15
	v_lshl_add_u64 v[36:37], v[14:15], 3, s[8:9]
	v_add_u32_e32 v14, -9, v12
	v_mov_b32_e32 v53, v15
	v_lshl_add_u64 v[16:17], v[16:17], 3, s[8:9]
	v_lshl_add_u64 v[38:39], v[14:15], 3, s[8:9]
	v_add_u32_e32 v14, -8, v12
	global_load_dwordx2 v[16:17], v[16:17], off
	v_mov_b32_e32 v13, v15
	global_load_dwordx2 v[58:59], v[36:37], off
	v_lshl_add_u64 v[36:37], v[14:15], 3, s[8:9]
	global_load_dwordx2 v[60:61], v[38:39], off
	global_load_dwordx2 v[62:63], v[36:37], off
	v_lshl_add_u64 v[56:57], v[12:13], 3, s[8:9]
	v_add_u32_e32 v8, 8, v8
	v_cmp_ge_i32_e32 vcc, v8, v18
	s_or_b64 s[2:3], vcc, s[2:3]
	s_waitcnt vmcnt(8)
	v_subrev_u32_e32 v9, s12, v9
	v_mul_lo_u32 v52, v9, 12
	v_lshl_add_u64 v[44:45], v[52:53], 3, s[10:11]
	global_load_dwordx4 v[36:39], v[44:45], off
	global_load_dwordx4 v[40:43], v[44:45], off offset:16
	v_add_u32_e32 v14, 4, v52
	v_lshl_add_u64 v[54:55], v[14:15], 3, s[10:11]
	v_add_u32_e32 v14, -7, v12
	v_lshl_add_u64 v[64:65], v[14:15], 3, s[8:9]
	v_add_u32_e32 v14, -6, v12
	global_load_dwordx4 v[44:47], v[54:55], off offset:16
	global_load_dwordx4 v[48:51], v[54:55], off
	v_lshl_add_u64 v[54:55], v[14:15], 3, s[8:9]
	v_add_u32_e32 v14, -5, v12
	v_lshl_add_u64 v[66:67], v[14:15], 3, s[8:9]
	v_add_u32_e32 v14, -4, v12
	global_load_dwordx2 v[64:65], v[64:65], off
	s_waitcnt vmcnt(4)
	v_fmac_f64_e32 v[10:11], v[16:17], v[36:37]
	global_load_dwordx2 v[66:67], v[66:67], off
	v_fmac_f64_e32 v[0:1], v[32:33], v[36:37]
	global_load_dwordx2 v[68:69], v[54:55], off
	v_lshl_add_u64 v[54:55], v[14:15], 3, s[8:9]
	v_add_u32_e32 v14, -15, v12
	v_lshl_add_u64 v[70:71], v[14:15], 3, s[8:9]
	v_add_u32_e32 v14, 8, v52
	global_load_dwordx2 v[72:73], v[54:55], off
	global_load_dwordx2 v[74:75], v[70:71], off
	v_lshl_add_u64 v[70:71], v[14:15], 3, s[10:11]
	v_add_u32_e32 v14, -3, v12
	v_lshl_add_u64 v[16:17], v[14:15], 3, s[8:9]
	v_add_u32_e32 v14, -14, v12
	;; [unrolled: 2-line block ×3, first 2 shown]
	v_fmac_f64_e32 v[0:1], v[34:35], v[38:39]
	global_load_dwordx4 v[32:35], v[70:71], off offset:16
	global_load_dwordx4 v[52:55], v[70:71], off
	v_fmac_f64_e32 v[10:11], v[58:59], v[38:39]
	global_load_dwordx2 v[16:17], v[16:17], off
	v_lshl_add_u64 v[38:39], v[14:15], 3, s[8:9]
	global_load_dwordx2 v[36:37], v[36:37], off
	v_add_u32_e32 v14, -13, v12
	v_lshl_add_u64 v[58:59], v[14:15], 3, s[8:9]
	v_add_u32_e32 v14, -1, v12
	global_load_dwordx2 v[70:71], v[38:39], off
	global_load_dwordx2 v[76:77], v[58:59], off
	s_waitcnt vmcnt(13)
	v_fmac_f64_e32 v[0:1], v[28:29], v[40:41]
	v_lshl_add_u64 v[28:29], v[14:15], 3, s[8:9]
	v_add_u32_e32 v14, -12, v12
	v_fmac_f64_e32 v[0:1], v[30:31], v[42:43]
	v_lshl_add_u64 v[30:31], v[14:15], 3, s[8:9]
	global_load_dwordx2 v[38:39], v[28:29], off
	global_load_dwordx2 v[58:59], v[30:31], off
	;; [unrolled: 1-line block ×3, first 2 shown]
	v_fmac_f64_e32 v[10:11], v[60:61], v[40:41]
	v_fmac_f64_e32 v[10:11], v[62:63], v[42:43]
	s_waitcnt vmcnt(14)
	v_fmac_f64_e32 v[0:1], v[24:25], v[48:49]
	s_waitcnt vmcnt(13)
	v_fmac_f64_e32 v[10:11], v[64:65], v[48:49]
	v_fmac_f64_e32 v[0:1], v[26:27], v[50:51]
	;; [unrolled: 1-line block ×4, first 2 shown]
	v_add_u32_e32 v12, 0xc0, v12
	s_waitcnt vmcnt(11)
	v_fmac_f64_e32 v[10:11], v[68:69], v[50:51]
	v_fmac_f64_e32 v[10:11], v[66:67], v[44:45]
	s_waitcnt vmcnt(10)
	v_fmac_f64_e32 v[10:11], v[72:73], v[46:47]
	s_waitcnt vmcnt(7)
	;; [unrolled: 2-line block ×9, first 2 shown]
	v_fmac_f64_e32 v[10:11], v[78:79], v[34:35]
	s_andn2_b64 exec, exec, s[2:3]
	s_cbranch_execnz .LBB127_15
; %bb.16:
	s_or_b64 exec, exec, s[2:3]
.LBB127_17:
	s_or_b64 exec, exec, s[4:5]
.LBB127_18:
	v_mov_b32_dpp v8, v0 row_shr:1 row_mask:0xf bank_mask:0xf
	v_mov_b32_dpp v9, v1 row_shr:1 row_mask:0xf bank_mask:0xf
	;; [unrolled: 1-line block ×4, first 2 shown]
	v_add_f64 v[0:1], v[0:1], v[8:9]
	v_add_f64 v[10:11], v[10:11], v[12:13]
	v_cmp_eq_u32_e32 vcc, 7, v7
	v_mov_b32_dpp v8, v0 row_shr:2 row_mask:0xf bank_mask:0xf
	v_mov_b32_dpp v9, v1 row_shr:2 row_mask:0xf bank_mask:0xf
	;; [unrolled: 1-line block ×4, first 2 shown]
	v_add_f64 v[0:1], v[0:1], v[8:9]
	v_add_f64 v[10:11], v[10:11], v[12:13]
	s_nop 0
	v_mov_b32_dpp v8, v0 row_shr:4 row_mask:0xf bank_mask:0xe
	v_mov_b32_dpp v9, v1 row_shr:4 row_mask:0xf bank_mask:0xe
	;; [unrolled: 1-line block ×4, first 2 shown]
	s_and_b64 exec, exec, vcc
	s_cbranch_execz .LBB127_23
; %bb.19:
	s_load_dwordx2 s[0:1], s[0:1], 0x38
	v_add_f64 v[8:9], v[0:1], v[8:9]
	v_add_f64 v[0:1], v[10:11], v[12:13]
	v_cmp_eq_f64_e32 vcc, 0, v[4:5]
	s_and_saveexec_b64 s[2:3], vcc
	s_xor_b64 s[2:3], exec, s[2:3]
	s_cbranch_execz .LBB127_21
; %bb.20:
	v_lshlrev_b32_e32 v6, 1, v6
	v_ashrrev_i32_e32 v7, 31, v6
	v_mul_f64 v[4:5], v[2:3], v[8:9]
	s_waitcnt lgkmcnt(0)
	v_lshl_add_u64 v[8:9], v[6:7], 3, s[0:1]
	v_mul_f64 v[6:7], v[2:3], v[0:1]
	global_store_dwordx4 v[8:9], v[4:7], off
                                        ; implicit-def: $vgpr6
                                        ; implicit-def: $vgpr2_vgpr3
                                        ; implicit-def: $vgpr8_vgpr9
                                        ; implicit-def: $vgpr4_vgpr5
                                        ; implicit-def: $vgpr0_vgpr1
.LBB127_21:
	s_andn2_saveexec_b64 s[2:3], s[2:3]
	s_cbranch_execz .LBB127_23
; %bb.22:
	v_lshlrev_b32_e32 v6, 1, v6
	v_ashrrev_i32_e32 v7, 31, v6
	s_waitcnt lgkmcnt(0)
	v_lshl_add_u64 v[14:15], v[6:7], 3, s[0:1]
	global_load_dwordx4 v[10:13], v[14:15], off
	v_mul_f64 v[6:7], v[2:3], v[8:9]
	v_mul_f64 v[8:9], v[2:3], v[0:1]
	s_waitcnt vmcnt(0)
	v_fmac_f64_e32 v[6:7], v[4:5], v[10:11]
	v_fmac_f64_e32 v[8:9], v[4:5], v[12:13]
	global_store_dwordx4 v[14:15], v[6:9], off
.LBB127_23:
	s_endpgm
	.section	.rodata,"a",@progbits
	.p2align	6, 0x0
	.amdhsa_kernel _ZN9rocsparseL19gebsrmvn_2xn_kernelILj128ELj12ELj8EdEEvi20rocsparse_direction_NS_24const_host_device_scalarIT2_EEPKiS6_PKS3_S8_S4_PS3_21rocsparse_index_base_b
		.amdhsa_group_segment_fixed_size 0
		.amdhsa_private_segment_fixed_size 0
		.amdhsa_kernarg_size 72
		.amdhsa_user_sgpr_count 2
		.amdhsa_user_sgpr_dispatch_ptr 0
		.amdhsa_user_sgpr_queue_ptr 0
		.amdhsa_user_sgpr_kernarg_segment_ptr 1
		.amdhsa_user_sgpr_dispatch_id 0
		.amdhsa_user_sgpr_kernarg_preload_length 0
		.amdhsa_user_sgpr_kernarg_preload_offset 0
		.amdhsa_user_sgpr_private_segment_size 0
		.amdhsa_uses_dynamic_stack 0
		.amdhsa_enable_private_segment 0
		.amdhsa_system_sgpr_workgroup_id_x 1
		.amdhsa_system_sgpr_workgroup_id_y 0
		.amdhsa_system_sgpr_workgroup_id_z 0
		.amdhsa_system_sgpr_workgroup_info 0
		.amdhsa_system_vgpr_workitem_id 0
		.amdhsa_next_free_vgpr 86
		.amdhsa_next_free_sgpr 18
		.amdhsa_accum_offset 88
		.amdhsa_reserve_vcc 1
		.amdhsa_float_round_mode_32 0
		.amdhsa_float_round_mode_16_64 0
		.amdhsa_float_denorm_mode_32 3
		.amdhsa_float_denorm_mode_16_64 3
		.amdhsa_dx10_clamp 1
		.amdhsa_ieee_mode 1
		.amdhsa_fp16_overflow 0
		.amdhsa_tg_split 0
		.amdhsa_exception_fp_ieee_invalid_op 0
		.amdhsa_exception_fp_denorm_src 0
		.amdhsa_exception_fp_ieee_div_zero 0
		.amdhsa_exception_fp_ieee_overflow 0
		.amdhsa_exception_fp_ieee_underflow 0
		.amdhsa_exception_fp_ieee_inexact 0
		.amdhsa_exception_int_div_zero 0
	.end_amdhsa_kernel
	.section	.text._ZN9rocsparseL19gebsrmvn_2xn_kernelILj128ELj12ELj8EdEEvi20rocsparse_direction_NS_24const_host_device_scalarIT2_EEPKiS6_PKS3_S8_S4_PS3_21rocsparse_index_base_b,"axG",@progbits,_ZN9rocsparseL19gebsrmvn_2xn_kernelILj128ELj12ELj8EdEEvi20rocsparse_direction_NS_24const_host_device_scalarIT2_EEPKiS6_PKS3_S8_S4_PS3_21rocsparse_index_base_b,comdat
.Lfunc_end127:
	.size	_ZN9rocsparseL19gebsrmvn_2xn_kernelILj128ELj12ELj8EdEEvi20rocsparse_direction_NS_24const_host_device_scalarIT2_EEPKiS6_PKS3_S8_S4_PS3_21rocsparse_index_base_b, .Lfunc_end127-_ZN9rocsparseL19gebsrmvn_2xn_kernelILj128ELj12ELj8EdEEvi20rocsparse_direction_NS_24const_host_device_scalarIT2_EEPKiS6_PKS3_S8_S4_PS3_21rocsparse_index_base_b
                                        ; -- End function
	.section	.AMDGPU.csdata,"",@progbits
; Kernel info:
; codeLenInByte = 1800
; NumSgprs: 24
; NumVgprs: 86
; NumAgprs: 0
; TotalNumVgprs: 86
; ScratchSize: 0
; MemoryBound: 1
; FloatMode: 240
; IeeeMode: 1
; LDSByteSize: 0 bytes/workgroup (compile time only)
; SGPRBlocks: 2
; VGPRBlocks: 10
; NumSGPRsForWavesPerEU: 24
; NumVGPRsForWavesPerEU: 86
; AccumOffset: 88
; Occupancy: 5
; WaveLimiterHint : 1
; COMPUTE_PGM_RSRC2:SCRATCH_EN: 0
; COMPUTE_PGM_RSRC2:USER_SGPR: 2
; COMPUTE_PGM_RSRC2:TRAP_HANDLER: 0
; COMPUTE_PGM_RSRC2:TGID_X_EN: 1
; COMPUTE_PGM_RSRC2:TGID_Y_EN: 0
; COMPUTE_PGM_RSRC2:TGID_Z_EN: 0
; COMPUTE_PGM_RSRC2:TIDIG_COMP_CNT: 0
; COMPUTE_PGM_RSRC3_GFX90A:ACCUM_OFFSET: 21
; COMPUTE_PGM_RSRC3_GFX90A:TG_SPLIT: 0
	.section	.text._ZN9rocsparseL19gebsrmvn_2xn_kernelILj128ELj12ELj16EdEEvi20rocsparse_direction_NS_24const_host_device_scalarIT2_EEPKiS6_PKS3_S8_S4_PS3_21rocsparse_index_base_b,"axG",@progbits,_ZN9rocsparseL19gebsrmvn_2xn_kernelILj128ELj12ELj16EdEEvi20rocsparse_direction_NS_24const_host_device_scalarIT2_EEPKiS6_PKS3_S8_S4_PS3_21rocsparse_index_base_b,comdat
	.globl	_ZN9rocsparseL19gebsrmvn_2xn_kernelILj128ELj12ELj16EdEEvi20rocsparse_direction_NS_24const_host_device_scalarIT2_EEPKiS6_PKS3_S8_S4_PS3_21rocsparse_index_base_b ; -- Begin function _ZN9rocsparseL19gebsrmvn_2xn_kernelILj128ELj12ELj16EdEEvi20rocsparse_direction_NS_24const_host_device_scalarIT2_EEPKiS6_PKS3_S8_S4_PS3_21rocsparse_index_base_b
	.p2align	8
	.type	_ZN9rocsparseL19gebsrmvn_2xn_kernelILj128ELj12ELj16EdEEvi20rocsparse_direction_NS_24const_host_device_scalarIT2_EEPKiS6_PKS3_S8_S4_PS3_21rocsparse_index_base_b,@function
_ZN9rocsparseL19gebsrmvn_2xn_kernelILj128ELj12ELj16EdEEvi20rocsparse_direction_NS_24const_host_device_scalarIT2_EEPKiS6_PKS3_S8_S4_PS3_21rocsparse_index_base_b: ; @_ZN9rocsparseL19gebsrmvn_2xn_kernelILj128ELj12ELj16EdEEvi20rocsparse_direction_NS_24const_host_device_scalarIT2_EEPKiS6_PKS3_S8_S4_PS3_21rocsparse_index_base_b
; %bb.0:
	s_load_dwordx2 s[12:13], s[0:1], 0x40
	s_load_dwordx2 s[8:9], s[0:1], 0x8
	;; [unrolled: 1-line block ×3, first 2 shown]
	s_waitcnt lgkmcnt(0)
	s_bitcmp1_b32 s13, 0
	s_cselect_b64 s[10:11], -1, 0
	s_xor_b64 s[6:7], s[10:11], -1
	s_and_b64 vcc, exec, s[10:11]
	v_mov_b64_e32 v[2:3], s[8:9]
	s_cbranch_vccnz .LBB128_2
; %bb.1:
	v_mov_b64_e32 v[2:3], s[8:9]
	flat_load_dwordx2 v[2:3], v[2:3]
.LBB128_2:
	s_andn2_b64 vcc, exec, s[6:7]
	v_mov_b64_e32 v[4:5], s[4:5]
	s_cbranch_vccnz .LBB128_4
; %bb.3:
	v_mov_b64_e32 v[4:5], s[4:5]
	flat_load_dwordx2 v[4:5], v[4:5]
.LBB128_4:
	s_waitcnt vmcnt(0) lgkmcnt(0)
	v_cmp_neq_f64_e32 vcc, 0, v[2:3]
	v_cmp_neq_f64_e64 s[4:5], 1.0, v[4:5]
	s_or_b64 s[4:5], vcc, s[4:5]
	s_and_saveexec_b64 s[6:7], s[4:5]
	s_cbranch_execz .LBB128_23
; %bb.5:
	s_load_dwordx2 s[14:15], s[0:1], 0x0
	v_lshrrev_b32_e32 v1, 4, v0
	v_lshl_or_b32 v6, s2, 3, v1
	s_waitcnt lgkmcnt(0)
	v_cmp_gt_i32_e32 vcc, s14, v6
	s_and_b64 exec, exec, vcc
	s_cbranch_execz .LBB128_23
; %bb.6:
	s_load_dwordx8 s[4:11], s[0:1], 0x10
	v_ashrrev_i32_e32 v7, 31, v6
	s_cmp_lg_u32 s15, 0
	s_waitcnt lgkmcnt(0)
	v_lshl_add_u64 v[8:9], v[6:7], 2, s[4:5]
	global_load_dwordx2 v[8:9], v[8:9], off
	v_and_b32_e32 v7, 15, v0
	s_waitcnt vmcnt(0)
	v_subrev_u32_e32 v0, s12, v8
	v_subrev_u32_e32 v18, s12, v9
	v_add_u32_e32 v10, v0, v7
	v_cmp_lt_i32_e64 s[2:3], v10, v18
	s_cbranch_scc0 .LBB128_12
; %bb.7:
	v_mov_b64_e32 v[0:1], 0
	s_mov_b64 s[4:5], 0
	v_mov_b64_e32 v[8:9], v[0:1]
	s_and_saveexec_b64 s[14:15], s[2:3]
	s_cbranch_execz .LBB128_11
; %bb.8:
	v_mad_u64_u32 v[12:13], s[16:17], v10, 24, 22
	v_mov_b64_e32 v[0:1], 0
	s_mov_b64 s[16:17], 0
	v_mov_b32_e32 v15, 0
	v_mov_b32_e32 v16, v10
	v_mov_b64_e32 v[8:9], v[0:1]
.LBB128_9:                              ; =>This Inner Loop Header: Depth=1
	v_ashrrev_i32_e32 v17, 31, v16
	v_subrev_u32_e32 v14, 22, v12
	v_lshl_add_u64 v[36:37], v[16:17], 2, s[6:7]
	v_lshl_add_u64 v[38:39], v[14:15], 3, s[8:9]
	global_load_dword v11, v[36:37], off
	global_load_dwordx4 v[20:23], v[38:39], off offset:48
	global_load_dwordx4 v[24:27], v[38:39], off offset:32
	global_load_dwordx4 v[28:31], v[38:39], off offset:16
	global_load_dwordx4 v[32:35], v[38:39], off
	v_mov_b32_e32 v65, v15
	v_add_u32_e32 v14, -14, v12
	v_lshl_add_u64 v[36:37], v[14:15], 3, s[8:9]
	global_load_dwordx4 v[36:39], v[36:37], off
	v_mov_b32_e32 v13, v15
	v_lshl_add_u64 v[80:81], v[12:13], 3, s[8:9]
	v_add_u32_e32 v16, 16, v16
	v_cmp_ge_i32_e32 vcc, v16, v18
	s_or_b64 s[16:17], vcc, s[16:17]
	s_waitcnt vmcnt(5)
	v_subrev_u32_e32 v11, s12, v11
	v_mul_lo_u32 v64, v11, 12
	v_lshl_add_u64 v[48:49], v[64:65], 3, s[10:11]
	global_load_dwordx4 v[40:43], v[48:49], off
	global_load_dwordx4 v[44:47], v[48:49], off offset:16
	v_add_u32_e32 v14, 4, v64
	v_lshl_add_u64 v[56:57], v[14:15], 3, s[10:11]
	v_add_u32_e32 v14, -12, v12
	global_load_dwordx4 v[48:51], v[56:57], off offset:16
	global_load_dwordx4 v[52:55], v[56:57], off
	v_lshl_add_u64 v[56:57], v[14:15], 3, s[8:9]
	v_add_u32_e32 v14, -10, v12
	v_lshl_add_u64 v[60:61], v[14:15], 3, s[8:9]
	v_add_u32_e32 v14, -8, v12
	global_load_dwordx4 v[56:59], v[56:57], off
	v_lshl_add_u64 v[72:73], v[14:15], 3, s[8:9]
	global_load_dwordx4 v[60:63], v[60:61], off
	v_add_u32_e32 v14, -6, v12
	v_lshl_add_u64 v[74:75], v[14:15], 3, s[8:9]
	v_add_u32_e32 v14, 8, v64
	v_lshl_add_u64 v[82:83], v[14:15], 3, s[10:11]
	v_add_u32_e32 v14, -4, v12
	global_load_dwordx4 v[64:67], v[72:73], off
	global_load_dwordx4 v[68:71], v[74:75], off
	s_nop 0
	global_load_dwordx4 v[72:75], v[82:83], off offset:16
	global_load_dwordx4 v[76:79], v[82:83], off
	v_lshl_add_u64 v[82:83], v[14:15], 3, s[8:9]
	v_add_u32_e32 v14, -2, v12
	v_lshl_add_u64 v[84:85], v[14:15], 3, s[8:9]
	v_add_u32_e32 v12, 0x180, v12
	s_waitcnt vmcnt(9)
	v_fmac_f64_e32 v[0:1], v[32:33], v[40:41]
	v_fmac_f64_e32 v[8:9], v[34:35], v[40:41]
	global_load_dwordx4 v[32:35], v[82:83], off
	v_fmac_f64_e32 v[0:1], v[28:29], v[42:43]
	v_fmac_f64_e32 v[8:9], v[30:31], v[42:43]
	global_load_dwordx4 v[28:31], v[84:85], off
	global_load_dwordx4 v[40:43], v[80:81], off
	s_waitcnt vmcnt(11)
	v_fmac_f64_e32 v[0:1], v[24:25], v[44:45]
	v_fmac_f64_e32 v[8:9], v[26:27], v[44:45]
	v_fmac_f64_e32 v[0:1], v[20:21], v[46:47]
	v_fmac_f64_e32 v[8:9], v[22:23], v[46:47]
	s_waitcnt vmcnt(9)
	v_fmac_f64_e32 v[0:1], v[36:37], v[52:53]
	v_fmac_f64_e32 v[8:9], v[38:39], v[52:53]
	s_waitcnt vmcnt(8)
	v_fmac_f64_e32 v[0:1], v[56:57], v[54:55]
	v_fmac_f64_e32 v[8:9], v[58:59], v[54:55]
	;; [unrolled: 3-line block ×8, first 2 shown]
	s_andn2_b64 exec, exec, s[16:17]
	s_cbranch_execnz .LBB128_9
; %bb.10:
	s_or_b64 exec, exec, s[16:17]
.LBB128_11:
	s_or_b64 exec, exec, s[14:15]
	s_andn2_b64 vcc, exec, s[4:5]
	s_cbranch_vccz .LBB128_13
	s_branch .LBB128_18
.LBB128_12:
                                        ; implicit-def: $vgpr0_vgpr1
                                        ; implicit-def: $vgpr8_vgpr9
.LBB128_13:
	v_mov_b64_e32 v[0:1], 0
	v_mov_b64_e32 v[8:9], v[0:1]
	s_and_saveexec_b64 s[4:5], s[2:3]
	s_cbranch_execz .LBB128_17
; %bb.14:
	v_mad_u64_u32 v[12:13], s[2:3], v10, 24, 23
	v_mov_b64_e32 v[0:1], 0
	s_mov_b64 s[2:3], 0
	v_mov_b32_e32 v15, 0
	v_mov_b64_e32 v[8:9], v[0:1]
.LBB128_15:                             ; =>This Inner Loop Header: Depth=1
	v_ashrrev_i32_e32 v11, 31, v10
	v_subrev_u32_e32 v14, 23, v12
	v_lshl_add_u64 v[36:37], v[10:11], 2, s[6:7]
	v_lshl_add_u64 v[38:39], v[14:15], 3, s[8:9]
	global_load_dword v11, v[36:37], off
	global_load_dwordx4 v[20:23], v[38:39], off offset:48
	global_load_dwordx4 v[24:27], v[38:39], off offset:32
	global_load_dwordx4 v[28:31], v[38:39], off offset:16
	global_load_dwordx4 v[32:35], v[38:39], off
	v_add_u32_e32 v14, -10, v12
	v_add_u32_e32 v16, -11, v12
	v_mov_b32_e32 v17, v15
	v_lshl_add_u64 v[36:37], v[14:15], 3, s[8:9]
	v_add_u32_e32 v14, -9, v12
	v_mov_b32_e32 v53, v15
	v_lshl_add_u64 v[16:17], v[16:17], 3, s[8:9]
	v_lshl_add_u64 v[38:39], v[14:15], 3, s[8:9]
	v_add_u32_e32 v14, -8, v12
	global_load_dwordx2 v[16:17], v[16:17], off
	v_mov_b32_e32 v13, v15
	global_load_dwordx2 v[58:59], v[36:37], off
	v_lshl_add_u64 v[36:37], v[14:15], 3, s[8:9]
	global_load_dwordx2 v[60:61], v[38:39], off
	global_load_dwordx2 v[62:63], v[36:37], off
	v_lshl_add_u64 v[56:57], v[12:13], 3, s[8:9]
	v_add_u32_e32 v10, 16, v10
	v_cmp_ge_i32_e32 vcc, v10, v18
	s_or_b64 s[2:3], vcc, s[2:3]
	s_waitcnt vmcnt(8)
	v_subrev_u32_e32 v11, s12, v11
	v_mul_lo_u32 v52, v11, 12
	v_lshl_add_u64 v[44:45], v[52:53], 3, s[10:11]
	global_load_dwordx4 v[36:39], v[44:45], off
	global_load_dwordx4 v[40:43], v[44:45], off offset:16
	v_add_u32_e32 v14, 4, v52
	v_lshl_add_u64 v[54:55], v[14:15], 3, s[10:11]
	v_add_u32_e32 v14, -7, v12
	v_lshl_add_u64 v[64:65], v[14:15], 3, s[8:9]
	v_add_u32_e32 v14, -6, v12
	global_load_dwordx4 v[44:47], v[54:55], off offset:16
	global_load_dwordx4 v[48:51], v[54:55], off
	v_lshl_add_u64 v[54:55], v[14:15], 3, s[8:9]
	v_add_u32_e32 v14, -5, v12
	v_lshl_add_u64 v[66:67], v[14:15], 3, s[8:9]
	v_add_u32_e32 v14, -4, v12
	global_load_dwordx2 v[64:65], v[64:65], off
	s_waitcnt vmcnt(4)
	v_fmac_f64_e32 v[8:9], v[16:17], v[36:37]
	global_load_dwordx2 v[66:67], v[66:67], off
	v_fmac_f64_e32 v[0:1], v[32:33], v[36:37]
	global_load_dwordx2 v[68:69], v[54:55], off
	v_lshl_add_u64 v[54:55], v[14:15], 3, s[8:9]
	v_add_u32_e32 v14, -15, v12
	v_lshl_add_u64 v[70:71], v[14:15], 3, s[8:9]
	v_add_u32_e32 v14, 8, v52
	global_load_dwordx2 v[72:73], v[54:55], off
	global_load_dwordx2 v[74:75], v[70:71], off
	v_lshl_add_u64 v[70:71], v[14:15], 3, s[10:11]
	v_add_u32_e32 v14, -3, v12
	v_lshl_add_u64 v[16:17], v[14:15], 3, s[8:9]
	v_add_u32_e32 v14, -14, v12
	;; [unrolled: 2-line block ×3, first 2 shown]
	v_fmac_f64_e32 v[0:1], v[34:35], v[38:39]
	global_load_dwordx4 v[32:35], v[70:71], off offset:16
	global_load_dwordx4 v[52:55], v[70:71], off
	v_fmac_f64_e32 v[8:9], v[58:59], v[38:39]
	global_load_dwordx2 v[16:17], v[16:17], off
	v_lshl_add_u64 v[38:39], v[14:15], 3, s[8:9]
	global_load_dwordx2 v[36:37], v[36:37], off
	v_add_u32_e32 v14, -13, v12
	v_lshl_add_u64 v[58:59], v[14:15], 3, s[8:9]
	v_add_u32_e32 v14, -1, v12
	global_load_dwordx2 v[70:71], v[38:39], off
	global_load_dwordx2 v[76:77], v[58:59], off
	s_waitcnt vmcnt(13)
	v_fmac_f64_e32 v[0:1], v[28:29], v[40:41]
	v_lshl_add_u64 v[28:29], v[14:15], 3, s[8:9]
	v_add_u32_e32 v14, -12, v12
	v_fmac_f64_e32 v[0:1], v[30:31], v[42:43]
	v_lshl_add_u64 v[30:31], v[14:15], 3, s[8:9]
	global_load_dwordx2 v[38:39], v[28:29], off
	global_load_dwordx2 v[58:59], v[30:31], off
	;; [unrolled: 1-line block ×3, first 2 shown]
	v_fmac_f64_e32 v[8:9], v[60:61], v[40:41]
	v_fmac_f64_e32 v[8:9], v[62:63], v[42:43]
	s_waitcnt vmcnt(14)
	v_fmac_f64_e32 v[0:1], v[24:25], v[48:49]
	s_waitcnt vmcnt(13)
	v_fmac_f64_e32 v[8:9], v[64:65], v[48:49]
	v_fmac_f64_e32 v[0:1], v[26:27], v[50:51]
	;; [unrolled: 1-line block ×4, first 2 shown]
	v_add_u32_e32 v12, 0x180, v12
	s_waitcnt vmcnt(11)
	v_fmac_f64_e32 v[8:9], v[68:69], v[50:51]
	v_fmac_f64_e32 v[8:9], v[66:67], v[44:45]
	s_waitcnt vmcnt(10)
	v_fmac_f64_e32 v[8:9], v[72:73], v[46:47]
	s_waitcnt vmcnt(7)
	;; [unrolled: 2-line block ×9, first 2 shown]
	v_fmac_f64_e32 v[8:9], v[78:79], v[34:35]
	s_andn2_b64 exec, exec, s[2:3]
	s_cbranch_execnz .LBB128_15
; %bb.16:
	s_or_b64 exec, exec, s[2:3]
.LBB128_17:
	s_or_b64 exec, exec, s[4:5]
.LBB128_18:
	v_mov_b32_dpp v10, v0 row_shr:1 row_mask:0xf bank_mask:0xf
	v_mov_b32_dpp v11, v1 row_shr:1 row_mask:0xf bank_mask:0xf
	;; [unrolled: 1-line block ×4, first 2 shown]
	v_add_f64 v[0:1], v[0:1], v[10:11]
	v_add_f64 v[8:9], v[8:9], v[12:13]
	v_cmp_eq_u32_e32 vcc, 15, v7
	v_mov_b32_dpp v10, v0 row_shr:2 row_mask:0xf bank_mask:0xf
	v_mov_b32_dpp v11, v1 row_shr:2 row_mask:0xf bank_mask:0xf
	;; [unrolled: 1-line block ×4, first 2 shown]
	v_add_f64 v[0:1], v[0:1], v[10:11]
	v_add_f64 v[8:9], v[8:9], v[12:13]
	s_nop 0
	v_mov_b32_dpp v10, v0 row_shr:4 row_mask:0xf bank_mask:0xe
	v_mov_b32_dpp v11, v1 row_shr:4 row_mask:0xf bank_mask:0xe
	;; [unrolled: 1-line block ×4, first 2 shown]
	v_add_f64 v[0:1], v[0:1], v[10:11]
	v_add_f64 v[12:13], v[8:9], v[12:13]
	s_nop 0
	v_mov_b32_dpp v10, v0 row_shr:8 row_mask:0xf bank_mask:0xc
	v_mov_b32_dpp v11, v1 row_shr:8 row_mask:0xf bank_mask:0xc
	;; [unrolled: 1-line block ×4, first 2 shown]
	s_and_b64 exec, exec, vcc
	s_cbranch_execz .LBB128_23
; %bb.19:
	s_load_dwordx2 s[0:1], s[0:1], 0x38
	v_add_f64 v[8:9], v[0:1], v[10:11]
	v_add_f64 v[0:1], v[12:13], v[14:15]
	v_cmp_eq_f64_e32 vcc, 0, v[4:5]
	s_and_saveexec_b64 s[2:3], vcc
	s_xor_b64 s[2:3], exec, s[2:3]
	s_cbranch_execz .LBB128_21
; %bb.20:
	v_lshlrev_b32_e32 v6, 1, v6
	v_ashrrev_i32_e32 v7, 31, v6
	v_mul_f64 v[4:5], v[2:3], v[8:9]
	s_waitcnt lgkmcnt(0)
	v_lshl_add_u64 v[8:9], v[6:7], 3, s[0:1]
	v_mul_f64 v[6:7], v[2:3], v[0:1]
	global_store_dwordx4 v[8:9], v[4:7], off
                                        ; implicit-def: $vgpr6
                                        ; implicit-def: $vgpr2_vgpr3
                                        ; implicit-def: $vgpr8_vgpr9
                                        ; implicit-def: $vgpr4_vgpr5
                                        ; implicit-def: $vgpr0_vgpr1
.LBB128_21:
	s_andn2_saveexec_b64 s[2:3], s[2:3]
	s_cbranch_execz .LBB128_23
; %bb.22:
	v_lshlrev_b32_e32 v6, 1, v6
	v_ashrrev_i32_e32 v7, 31, v6
	s_waitcnt lgkmcnt(0)
	v_lshl_add_u64 v[14:15], v[6:7], 3, s[0:1]
	global_load_dwordx4 v[10:13], v[14:15], off
	v_mul_f64 v[6:7], v[2:3], v[8:9]
	v_mul_f64 v[8:9], v[2:3], v[0:1]
	s_waitcnt vmcnt(0)
	v_fmac_f64_e32 v[6:7], v[4:5], v[10:11]
	v_fmac_f64_e32 v[8:9], v[4:5], v[12:13]
	global_store_dwordx4 v[14:15], v[6:9], off
.LBB128_23:
	s_endpgm
	.section	.rodata,"a",@progbits
	.p2align	6, 0x0
	.amdhsa_kernel _ZN9rocsparseL19gebsrmvn_2xn_kernelILj128ELj12ELj16EdEEvi20rocsparse_direction_NS_24const_host_device_scalarIT2_EEPKiS6_PKS3_S8_S4_PS3_21rocsparse_index_base_b
		.amdhsa_group_segment_fixed_size 0
		.amdhsa_private_segment_fixed_size 0
		.amdhsa_kernarg_size 72
		.amdhsa_user_sgpr_count 2
		.amdhsa_user_sgpr_dispatch_ptr 0
		.amdhsa_user_sgpr_queue_ptr 0
		.amdhsa_user_sgpr_kernarg_segment_ptr 1
		.amdhsa_user_sgpr_dispatch_id 0
		.amdhsa_user_sgpr_kernarg_preload_length 0
		.amdhsa_user_sgpr_kernarg_preload_offset 0
		.amdhsa_user_sgpr_private_segment_size 0
		.amdhsa_uses_dynamic_stack 0
		.amdhsa_enable_private_segment 0
		.amdhsa_system_sgpr_workgroup_id_x 1
		.amdhsa_system_sgpr_workgroup_id_y 0
		.amdhsa_system_sgpr_workgroup_id_z 0
		.amdhsa_system_sgpr_workgroup_info 0
		.amdhsa_system_vgpr_workitem_id 0
		.amdhsa_next_free_vgpr 86
		.amdhsa_next_free_sgpr 18
		.amdhsa_accum_offset 88
		.amdhsa_reserve_vcc 1
		.amdhsa_float_round_mode_32 0
		.amdhsa_float_round_mode_16_64 0
		.amdhsa_float_denorm_mode_32 3
		.amdhsa_float_denorm_mode_16_64 3
		.amdhsa_dx10_clamp 1
		.amdhsa_ieee_mode 1
		.amdhsa_fp16_overflow 0
		.amdhsa_tg_split 0
		.amdhsa_exception_fp_ieee_invalid_op 0
		.amdhsa_exception_fp_denorm_src 0
		.amdhsa_exception_fp_ieee_div_zero 0
		.amdhsa_exception_fp_ieee_overflow 0
		.amdhsa_exception_fp_ieee_underflow 0
		.amdhsa_exception_fp_ieee_inexact 0
		.amdhsa_exception_int_div_zero 0
	.end_amdhsa_kernel
	.section	.text._ZN9rocsparseL19gebsrmvn_2xn_kernelILj128ELj12ELj16EdEEvi20rocsparse_direction_NS_24const_host_device_scalarIT2_EEPKiS6_PKS3_S8_S4_PS3_21rocsparse_index_base_b,"axG",@progbits,_ZN9rocsparseL19gebsrmvn_2xn_kernelILj128ELj12ELj16EdEEvi20rocsparse_direction_NS_24const_host_device_scalarIT2_EEPKiS6_PKS3_S8_S4_PS3_21rocsparse_index_base_b,comdat
.Lfunc_end128:
	.size	_ZN9rocsparseL19gebsrmvn_2xn_kernelILj128ELj12ELj16EdEEvi20rocsparse_direction_NS_24const_host_device_scalarIT2_EEPKiS6_PKS3_S8_S4_PS3_21rocsparse_index_base_b, .Lfunc_end128-_ZN9rocsparseL19gebsrmvn_2xn_kernelILj128ELj12ELj16EdEEvi20rocsparse_direction_NS_24const_host_device_scalarIT2_EEPKiS6_PKS3_S8_S4_PS3_21rocsparse_index_base_b
                                        ; -- End function
	.section	.AMDGPU.csdata,"",@progbits
; Kernel info:
; codeLenInByte = 1852
; NumSgprs: 24
; NumVgprs: 86
; NumAgprs: 0
; TotalNumVgprs: 86
; ScratchSize: 0
; MemoryBound: 1
; FloatMode: 240
; IeeeMode: 1
; LDSByteSize: 0 bytes/workgroup (compile time only)
; SGPRBlocks: 2
; VGPRBlocks: 10
; NumSGPRsForWavesPerEU: 24
; NumVGPRsForWavesPerEU: 86
; AccumOffset: 88
; Occupancy: 5
; WaveLimiterHint : 1
; COMPUTE_PGM_RSRC2:SCRATCH_EN: 0
; COMPUTE_PGM_RSRC2:USER_SGPR: 2
; COMPUTE_PGM_RSRC2:TRAP_HANDLER: 0
; COMPUTE_PGM_RSRC2:TGID_X_EN: 1
; COMPUTE_PGM_RSRC2:TGID_Y_EN: 0
; COMPUTE_PGM_RSRC2:TGID_Z_EN: 0
; COMPUTE_PGM_RSRC2:TIDIG_COMP_CNT: 0
; COMPUTE_PGM_RSRC3_GFX90A:ACCUM_OFFSET: 21
; COMPUTE_PGM_RSRC3_GFX90A:TG_SPLIT: 0
	.section	.text._ZN9rocsparseL19gebsrmvn_2xn_kernelILj128ELj12ELj32EdEEvi20rocsparse_direction_NS_24const_host_device_scalarIT2_EEPKiS6_PKS3_S8_S4_PS3_21rocsparse_index_base_b,"axG",@progbits,_ZN9rocsparseL19gebsrmvn_2xn_kernelILj128ELj12ELj32EdEEvi20rocsparse_direction_NS_24const_host_device_scalarIT2_EEPKiS6_PKS3_S8_S4_PS3_21rocsparse_index_base_b,comdat
	.globl	_ZN9rocsparseL19gebsrmvn_2xn_kernelILj128ELj12ELj32EdEEvi20rocsparse_direction_NS_24const_host_device_scalarIT2_EEPKiS6_PKS3_S8_S4_PS3_21rocsparse_index_base_b ; -- Begin function _ZN9rocsparseL19gebsrmvn_2xn_kernelILj128ELj12ELj32EdEEvi20rocsparse_direction_NS_24const_host_device_scalarIT2_EEPKiS6_PKS3_S8_S4_PS3_21rocsparse_index_base_b
	.p2align	8
	.type	_ZN9rocsparseL19gebsrmvn_2xn_kernelILj128ELj12ELj32EdEEvi20rocsparse_direction_NS_24const_host_device_scalarIT2_EEPKiS6_PKS3_S8_S4_PS3_21rocsparse_index_base_b,@function
_ZN9rocsparseL19gebsrmvn_2xn_kernelILj128ELj12ELj32EdEEvi20rocsparse_direction_NS_24const_host_device_scalarIT2_EEPKiS6_PKS3_S8_S4_PS3_21rocsparse_index_base_b: ; @_ZN9rocsparseL19gebsrmvn_2xn_kernelILj128ELj12ELj32EdEEvi20rocsparse_direction_NS_24const_host_device_scalarIT2_EEPKiS6_PKS3_S8_S4_PS3_21rocsparse_index_base_b
; %bb.0:
	s_load_dwordx2 s[12:13], s[0:1], 0x40
	s_load_dwordx2 s[8:9], s[0:1], 0x8
	;; [unrolled: 1-line block ×3, first 2 shown]
	s_waitcnt lgkmcnt(0)
	s_bitcmp1_b32 s13, 0
	s_cselect_b64 s[10:11], -1, 0
	s_xor_b64 s[6:7], s[10:11], -1
	s_and_b64 vcc, exec, s[10:11]
	v_mov_b64_e32 v[2:3], s[8:9]
	s_cbranch_vccnz .LBB129_2
; %bb.1:
	v_mov_b64_e32 v[2:3], s[8:9]
	flat_load_dwordx2 v[2:3], v[2:3]
.LBB129_2:
	s_andn2_b64 vcc, exec, s[6:7]
	v_mov_b64_e32 v[4:5], s[4:5]
	s_cbranch_vccnz .LBB129_4
; %bb.3:
	v_mov_b64_e32 v[4:5], s[4:5]
	flat_load_dwordx2 v[4:5], v[4:5]
.LBB129_4:
	s_waitcnt vmcnt(0) lgkmcnt(0)
	v_cmp_neq_f64_e32 vcc, 0, v[2:3]
	v_cmp_neq_f64_e64 s[4:5], 1.0, v[4:5]
	s_or_b64 s[4:5], vcc, s[4:5]
	s_and_saveexec_b64 s[6:7], s[4:5]
	s_cbranch_execz .LBB129_23
; %bb.5:
	s_load_dwordx2 s[14:15], s[0:1], 0x0
	v_lshrrev_b32_e32 v1, 5, v0
	v_lshl_or_b32 v6, s2, 2, v1
	s_waitcnt lgkmcnt(0)
	v_cmp_gt_i32_e32 vcc, s14, v6
	s_and_b64 exec, exec, vcc
	s_cbranch_execz .LBB129_23
; %bb.6:
	s_load_dwordx8 s[4:11], s[0:1], 0x10
	v_ashrrev_i32_e32 v7, 31, v6
	s_cmp_lg_u32 s15, 0
	s_waitcnt lgkmcnt(0)
	v_lshl_add_u64 v[8:9], v[6:7], 2, s[4:5]
	global_load_dwordx2 v[8:9], v[8:9], off
	v_and_b32_e32 v7, 31, v0
	s_waitcnt vmcnt(0)
	v_subrev_u32_e32 v0, s12, v8
	v_subrev_u32_e32 v18, s12, v9
	v_add_u32_e32 v10, v0, v7
	v_cmp_lt_i32_e64 s[2:3], v10, v18
	s_cbranch_scc0 .LBB129_12
; %bb.7:
	v_mov_b64_e32 v[8:9], 0
	s_mov_b64 s[4:5], 0
	v_mov_b64_e32 v[0:1], v[8:9]
	s_and_saveexec_b64 s[14:15], s[2:3]
	s_cbranch_execz .LBB129_11
; %bb.8:
	v_mad_u64_u32 v[12:13], s[16:17], v10, 24, 22
	v_mov_b64_e32 v[8:9], 0
	s_mov_b64 s[16:17], 0
	v_mov_b32_e32 v15, 0
	v_mov_b32_e32 v16, v10
	v_mov_b64_e32 v[0:1], v[8:9]
.LBB129_9:                              ; =>This Inner Loop Header: Depth=1
	v_ashrrev_i32_e32 v17, 31, v16
	v_subrev_u32_e32 v14, 22, v12
	v_lshl_add_u64 v[36:37], v[16:17], 2, s[6:7]
	v_lshl_add_u64 v[38:39], v[14:15], 3, s[8:9]
	global_load_dword v11, v[36:37], off
	global_load_dwordx4 v[20:23], v[38:39], off offset:48
	global_load_dwordx4 v[24:27], v[38:39], off offset:32
	;; [unrolled: 1-line block ×3, first 2 shown]
	global_load_dwordx4 v[32:35], v[38:39], off
	v_mov_b32_e32 v65, v15
	v_add_u32_e32 v14, -14, v12
	v_lshl_add_u64 v[36:37], v[14:15], 3, s[8:9]
	global_load_dwordx4 v[36:39], v[36:37], off
	v_mov_b32_e32 v13, v15
	v_lshl_add_u64 v[80:81], v[12:13], 3, s[8:9]
	v_add_u32_e32 v16, 32, v16
	v_cmp_ge_i32_e32 vcc, v16, v18
	s_or_b64 s[16:17], vcc, s[16:17]
	s_waitcnt vmcnt(5)
	v_subrev_u32_e32 v11, s12, v11
	v_mul_lo_u32 v64, v11, 12
	v_lshl_add_u64 v[48:49], v[64:65], 3, s[10:11]
	global_load_dwordx4 v[40:43], v[48:49], off
	global_load_dwordx4 v[44:47], v[48:49], off offset:16
	v_add_u32_e32 v14, 4, v64
	v_lshl_add_u64 v[56:57], v[14:15], 3, s[10:11]
	v_add_u32_e32 v14, -12, v12
	global_load_dwordx4 v[48:51], v[56:57], off offset:16
	global_load_dwordx4 v[52:55], v[56:57], off
	v_lshl_add_u64 v[56:57], v[14:15], 3, s[8:9]
	v_add_u32_e32 v14, -10, v12
	v_lshl_add_u64 v[60:61], v[14:15], 3, s[8:9]
	v_add_u32_e32 v14, -8, v12
	global_load_dwordx4 v[56:59], v[56:57], off
	v_lshl_add_u64 v[72:73], v[14:15], 3, s[8:9]
	global_load_dwordx4 v[60:63], v[60:61], off
	v_add_u32_e32 v14, -6, v12
	v_lshl_add_u64 v[74:75], v[14:15], 3, s[8:9]
	v_add_u32_e32 v14, 8, v64
	v_lshl_add_u64 v[82:83], v[14:15], 3, s[10:11]
	v_add_u32_e32 v14, -4, v12
	global_load_dwordx4 v[64:67], v[72:73], off
	global_load_dwordx4 v[68:71], v[74:75], off
	s_nop 0
	global_load_dwordx4 v[72:75], v[82:83], off offset:16
	global_load_dwordx4 v[76:79], v[82:83], off
	v_lshl_add_u64 v[82:83], v[14:15], 3, s[8:9]
	v_add_u32_e32 v14, -2, v12
	v_lshl_add_u64 v[84:85], v[14:15], 3, s[8:9]
	v_add_u32_e32 v12, 0x300, v12
	s_waitcnt vmcnt(9)
	v_fmac_f64_e32 v[8:9], v[32:33], v[40:41]
	v_fmac_f64_e32 v[0:1], v[34:35], v[40:41]
	global_load_dwordx4 v[32:35], v[82:83], off
	v_fmac_f64_e32 v[8:9], v[28:29], v[42:43]
	v_fmac_f64_e32 v[0:1], v[30:31], v[42:43]
	global_load_dwordx4 v[28:31], v[84:85], off
	global_load_dwordx4 v[40:43], v[80:81], off
	s_waitcnt vmcnt(11)
	v_fmac_f64_e32 v[8:9], v[24:25], v[44:45]
	v_fmac_f64_e32 v[0:1], v[26:27], v[44:45]
	;; [unrolled: 1-line block ×4, first 2 shown]
	s_waitcnt vmcnt(9)
	v_fmac_f64_e32 v[8:9], v[36:37], v[52:53]
	v_fmac_f64_e32 v[0:1], v[38:39], v[52:53]
	s_waitcnt vmcnt(8)
	v_fmac_f64_e32 v[8:9], v[56:57], v[54:55]
	v_fmac_f64_e32 v[0:1], v[58:59], v[54:55]
	;; [unrolled: 3-line block ×8, first 2 shown]
	s_andn2_b64 exec, exec, s[16:17]
	s_cbranch_execnz .LBB129_9
; %bb.10:
	s_or_b64 exec, exec, s[16:17]
.LBB129_11:
	s_or_b64 exec, exec, s[14:15]
	s_andn2_b64 vcc, exec, s[4:5]
	s_cbranch_vccz .LBB129_13
	s_branch .LBB129_18
.LBB129_12:
                                        ; implicit-def: $vgpr8_vgpr9
                                        ; implicit-def: $vgpr0_vgpr1
.LBB129_13:
	v_mov_b64_e32 v[8:9], 0
	v_mov_b64_e32 v[0:1], v[8:9]
	s_and_saveexec_b64 s[4:5], s[2:3]
	s_cbranch_execz .LBB129_17
; %bb.14:
	v_mad_u64_u32 v[12:13], s[2:3], v10, 24, 23
	v_mov_b64_e32 v[8:9], 0
	s_mov_b64 s[2:3], 0
	v_mov_b32_e32 v15, 0
	v_mov_b64_e32 v[0:1], v[8:9]
.LBB129_15:                             ; =>This Inner Loop Header: Depth=1
	v_ashrrev_i32_e32 v11, 31, v10
	v_subrev_u32_e32 v14, 23, v12
	v_lshl_add_u64 v[36:37], v[10:11], 2, s[6:7]
	v_lshl_add_u64 v[38:39], v[14:15], 3, s[8:9]
	global_load_dword v11, v[36:37], off
	global_load_dwordx4 v[20:23], v[38:39], off offset:48
	global_load_dwordx4 v[24:27], v[38:39], off offset:32
	;; [unrolled: 1-line block ×3, first 2 shown]
	global_load_dwordx4 v[32:35], v[38:39], off
	v_add_u32_e32 v14, -10, v12
	v_add_u32_e32 v16, -11, v12
	v_mov_b32_e32 v17, v15
	v_lshl_add_u64 v[36:37], v[14:15], 3, s[8:9]
	v_add_u32_e32 v14, -9, v12
	v_mov_b32_e32 v53, v15
	v_lshl_add_u64 v[16:17], v[16:17], 3, s[8:9]
	v_lshl_add_u64 v[38:39], v[14:15], 3, s[8:9]
	v_add_u32_e32 v14, -8, v12
	global_load_dwordx2 v[16:17], v[16:17], off
	v_mov_b32_e32 v13, v15
	global_load_dwordx2 v[58:59], v[36:37], off
	v_lshl_add_u64 v[36:37], v[14:15], 3, s[8:9]
	global_load_dwordx2 v[60:61], v[38:39], off
	global_load_dwordx2 v[62:63], v[36:37], off
	v_lshl_add_u64 v[56:57], v[12:13], 3, s[8:9]
	v_add_u32_e32 v10, 32, v10
	v_cmp_ge_i32_e32 vcc, v10, v18
	s_or_b64 s[2:3], vcc, s[2:3]
	s_waitcnt vmcnt(8)
	v_subrev_u32_e32 v11, s12, v11
	v_mul_lo_u32 v52, v11, 12
	v_lshl_add_u64 v[44:45], v[52:53], 3, s[10:11]
	global_load_dwordx4 v[36:39], v[44:45], off
	global_load_dwordx4 v[40:43], v[44:45], off offset:16
	v_add_u32_e32 v14, 4, v52
	v_lshl_add_u64 v[54:55], v[14:15], 3, s[10:11]
	v_add_u32_e32 v14, -7, v12
	v_lshl_add_u64 v[64:65], v[14:15], 3, s[8:9]
	v_add_u32_e32 v14, -6, v12
	global_load_dwordx4 v[44:47], v[54:55], off offset:16
	global_load_dwordx4 v[48:51], v[54:55], off
	v_lshl_add_u64 v[54:55], v[14:15], 3, s[8:9]
	v_add_u32_e32 v14, -5, v12
	v_lshl_add_u64 v[66:67], v[14:15], 3, s[8:9]
	v_add_u32_e32 v14, -4, v12
	global_load_dwordx2 v[64:65], v[64:65], off
	s_waitcnt vmcnt(4)
	v_fmac_f64_e32 v[0:1], v[16:17], v[36:37]
	global_load_dwordx2 v[66:67], v[66:67], off
	v_fmac_f64_e32 v[8:9], v[32:33], v[36:37]
	global_load_dwordx2 v[68:69], v[54:55], off
	v_lshl_add_u64 v[54:55], v[14:15], 3, s[8:9]
	v_add_u32_e32 v14, -15, v12
	v_lshl_add_u64 v[70:71], v[14:15], 3, s[8:9]
	v_add_u32_e32 v14, 8, v52
	global_load_dwordx2 v[72:73], v[54:55], off
	global_load_dwordx2 v[74:75], v[70:71], off
	v_lshl_add_u64 v[70:71], v[14:15], 3, s[10:11]
	v_add_u32_e32 v14, -3, v12
	v_lshl_add_u64 v[16:17], v[14:15], 3, s[8:9]
	v_add_u32_e32 v14, -14, v12
	;; [unrolled: 2-line block ×3, first 2 shown]
	v_fmac_f64_e32 v[8:9], v[34:35], v[38:39]
	global_load_dwordx4 v[32:35], v[70:71], off offset:16
	global_load_dwordx4 v[52:55], v[70:71], off
	v_fmac_f64_e32 v[0:1], v[58:59], v[38:39]
	global_load_dwordx2 v[16:17], v[16:17], off
	v_lshl_add_u64 v[38:39], v[14:15], 3, s[8:9]
	global_load_dwordx2 v[36:37], v[36:37], off
	v_add_u32_e32 v14, -13, v12
	v_lshl_add_u64 v[58:59], v[14:15], 3, s[8:9]
	v_add_u32_e32 v14, -1, v12
	global_load_dwordx2 v[70:71], v[38:39], off
	global_load_dwordx2 v[76:77], v[58:59], off
	s_waitcnt vmcnt(13)
	v_fmac_f64_e32 v[8:9], v[28:29], v[40:41]
	v_lshl_add_u64 v[28:29], v[14:15], 3, s[8:9]
	v_add_u32_e32 v14, -12, v12
	v_fmac_f64_e32 v[8:9], v[30:31], v[42:43]
	v_lshl_add_u64 v[30:31], v[14:15], 3, s[8:9]
	global_load_dwordx2 v[38:39], v[28:29], off
	global_load_dwordx2 v[58:59], v[30:31], off
	;; [unrolled: 1-line block ×3, first 2 shown]
	v_fmac_f64_e32 v[0:1], v[60:61], v[40:41]
	v_fmac_f64_e32 v[0:1], v[62:63], v[42:43]
	s_waitcnt vmcnt(14)
	v_fmac_f64_e32 v[8:9], v[24:25], v[48:49]
	s_waitcnt vmcnt(13)
	v_fmac_f64_e32 v[0:1], v[64:65], v[48:49]
	v_fmac_f64_e32 v[8:9], v[26:27], v[50:51]
	;; [unrolled: 1-line block ×4, first 2 shown]
	v_add_u32_e32 v12, 0x300, v12
	s_waitcnt vmcnt(11)
	v_fmac_f64_e32 v[0:1], v[68:69], v[50:51]
	v_fmac_f64_e32 v[0:1], v[66:67], v[44:45]
	s_waitcnt vmcnt(10)
	v_fmac_f64_e32 v[0:1], v[72:73], v[46:47]
	s_waitcnt vmcnt(7)
	;; [unrolled: 2-line block ×9, first 2 shown]
	v_fmac_f64_e32 v[0:1], v[78:79], v[34:35]
	s_andn2_b64 exec, exec, s[2:3]
	s_cbranch_execnz .LBB129_15
; %bb.16:
	s_or_b64 exec, exec, s[2:3]
.LBB129_17:
	s_or_b64 exec, exec, s[4:5]
.LBB129_18:
	v_mov_b32_dpp v10, v8 row_shr:1 row_mask:0xf bank_mask:0xf
	v_mov_b32_dpp v11, v9 row_shr:1 row_mask:0xf bank_mask:0xf
	;; [unrolled: 1-line block ×4, first 2 shown]
	v_add_f64 v[8:9], v[8:9], v[10:11]
	v_add_f64 v[0:1], v[0:1], v[12:13]
	v_cmp_eq_u32_e32 vcc, 31, v7
	v_mov_b32_dpp v10, v8 row_shr:2 row_mask:0xf bank_mask:0xf
	v_mov_b32_dpp v11, v9 row_shr:2 row_mask:0xf bank_mask:0xf
	v_mov_b32_dpp v12, v0 row_shr:2 row_mask:0xf bank_mask:0xf
	v_mov_b32_dpp v13, v1 row_shr:2 row_mask:0xf bank_mask:0xf
	v_add_f64 v[8:9], v[8:9], v[10:11]
	v_add_f64 v[0:1], v[0:1], v[12:13]
	s_nop 0
	v_mov_b32_dpp v10, v8 row_shr:4 row_mask:0xf bank_mask:0xe
	v_mov_b32_dpp v11, v9 row_shr:4 row_mask:0xf bank_mask:0xe
	v_mov_b32_dpp v12, v0 row_shr:4 row_mask:0xf bank_mask:0xe
	v_mov_b32_dpp v13, v1 row_shr:4 row_mask:0xf bank_mask:0xe
	v_add_f64 v[8:9], v[8:9], v[10:11]
	v_add_f64 v[0:1], v[0:1], v[12:13]
	s_nop 0
	;; [unrolled: 7-line block ×3, first 2 shown]
	v_mov_b32_dpp v10, v8 row_bcast:15 row_mask:0xa bank_mask:0xf
	v_mov_b32_dpp v11, v9 row_bcast:15 row_mask:0xa bank_mask:0xf
	;; [unrolled: 1-line block ×4, first 2 shown]
	s_and_b64 exec, exec, vcc
	s_cbranch_execz .LBB129_23
; %bb.19:
	s_load_dwordx2 s[0:1], s[0:1], 0x38
	v_add_f64 v[8:9], v[8:9], v[10:11]
	v_add_f64 v[0:1], v[0:1], v[12:13]
	v_cmp_eq_f64_e32 vcc, 0, v[4:5]
	s_and_saveexec_b64 s[2:3], vcc
	s_xor_b64 s[2:3], exec, s[2:3]
	s_cbranch_execz .LBB129_21
; %bb.20:
	v_lshlrev_b32_e32 v6, 1, v6
	v_ashrrev_i32_e32 v7, 31, v6
	v_mul_f64 v[4:5], v[2:3], v[8:9]
	s_waitcnt lgkmcnt(0)
	v_lshl_add_u64 v[8:9], v[6:7], 3, s[0:1]
	v_mul_f64 v[6:7], v[2:3], v[0:1]
	global_store_dwordx4 v[8:9], v[4:7], off
                                        ; implicit-def: $vgpr6
                                        ; implicit-def: $vgpr2_vgpr3
                                        ; implicit-def: $vgpr8_vgpr9
                                        ; implicit-def: $vgpr4_vgpr5
                                        ; implicit-def: $vgpr0_vgpr1
.LBB129_21:
	s_andn2_saveexec_b64 s[2:3], s[2:3]
	s_cbranch_execz .LBB129_23
; %bb.22:
	v_lshlrev_b32_e32 v6, 1, v6
	v_ashrrev_i32_e32 v7, 31, v6
	s_waitcnt lgkmcnt(0)
	v_lshl_add_u64 v[14:15], v[6:7], 3, s[0:1]
	global_load_dwordx4 v[10:13], v[14:15], off
	v_mul_f64 v[6:7], v[2:3], v[8:9]
	v_mul_f64 v[8:9], v[2:3], v[0:1]
	s_waitcnt vmcnt(0)
	v_fmac_f64_e32 v[6:7], v[4:5], v[10:11]
	v_fmac_f64_e32 v[8:9], v[4:5], v[12:13]
	global_store_dwordx4 v[14:15], v[6:9], off
.LBB129_23:
	s_endpgm
	.section	.rodata,"a",@progbits
	.p2align	6, 0x0
	.amdhsa_kernel _ZN9rocsparseL19gebsrmvn_2xn_kernelILj128ELj12ELj32EdEEvi20rocsparse_direction_NS_24const_host_device_scalarIT2_EEPKiS6_PKS3_S8_S4_PS3_21rocsparse_index_base_b
		.amdhsa_group_segment_fixed_size 0
		.amdhsa_private_segment_fixed_size 0
		.amdhsa_kernarg_size 72
		.amdhsa_user_sgpr_count 2
		.amdhsa_user_sgpr_dispatch_ptr 0
		.amdhsa_user_sgpr_queue_ptr 0
		.amdhsa_user_sgpr_kernarg_segment_ptr 1
		.amdhsa_user_sgpr_dispatch_id 0
		.amdhsa_user_sgpr_kernarg_preload_length 0
		.amdhsa_user_sgpr_kernarg_preload_offset 0
		.amdhsa_user_sgpr_private_segment_size 0
		.amdhsa_uses_dynamic_stack 0
		.amdhsa_enable_private_segment 0
		.amdhsa_system_sgpr_workgroup_id_x 1
		.amdhsa_system_sgpr_workgroup_id_y 0
		.amdhsa_system_sgpr_workgroup_id_z 0
		.amdhsa_system_sgpr_workgroup_info 0
		.amdhsa_system_vgpr_workitem_id 0
		.amdhsa_next_free_vgpr 86
		.amdhsa_next_free_sgpr 18
		.amdhsa_accum_offset 88
		.amdhsa_reserve_vcc 1
		.amdhsa_float_round_mode_32 0
		.amdhsa_float_round_mode_16_64 0
		.amdhsa_float_denorm_mode_32 3
		.amdhsa_float_denorm_mode_16_64 3
		.amdhsa_dx10_clamp 1
		.amdhsa_ieee_mode 1
		.amdhsa_fp16_overflow 0
		.amdhsa_tg_split 0
		.amdhsa_exception_fp_ieee_invalid_op 0
		.amdhsa_exception_fp_denorm_src 0
		.amdhsa_exception_fp_ieee_div_zero 0
		.amdhsa_exception_fp_ieee_overflow 0
		.amdhsa_exception_fp_ieee_underflow 0
		.amdhsa_exception_fp_ieee_inexact 0
		.amdhsa_exception_int_div_zero 0
	.end_amdhsa_kernel
	.section	.text._ZN9rocsparseL19gebsrmvn_2xn_kernelILj128ELj12ELj32EdEEvi20rocsparse_direction_NS_24const_host_device_scalarIT2_EEPKiS6_PKS3_S8_S4_PS3_21rocsparse_index_base_b,"axG",@progbits,_ZN9rocsparseL19gebsrmvn_2xn_kernelILj128ELj12ELj32EdEEvi20rocsparse_direction_NS_24const_host_device_scalarIT2_EEPKiS6_PKS3_S8_S4_PS3_21rocsparse_index_base_b,comdat
.Lfunc_end129:
	.size	_ZN9rocsparseL19gebsrmvn_2xn_kernelILj128ELj12ELj32EdEEvi20rocsparse_direction_NS_24const_host_device_scalarIT2_EEPKiS6_PKS3_S8_S4_PS3_21rocsparse_index_base_b, .Lfunc_end129-_ZN9rocsparseL19gebsrmvn_2xn_kernelILj128ELj12ELj32EdEEvi20rocsparse_direction_NS_24const_host_device_scalarIT2_EEPKiS6_PKS3_S8_S4_PS3_21rocsparse_index_base_b
                                        ; -- End function
	.section	.AMDGPU.csdata,"",@progbits
; Kernel info:
; codeLenInByte = 1904
; NumSgprs: 24
; NumVgprs: 86
; NumAgprs: 0
; TotalNumVgprs: 86
; ScratchSize: 0
; MemoryBound: 1
; FloatMode: 240
; IeeeMode: 1
; LDSByteSize: 0 bytes/workgroup (compile time only)
; SGPRBlocks: 2
; VGPRBlocks: 10
; NumSGPRsForWavesPerEU: 24
; NumVGPRsForWavesPerEU: 86
; AccumOffset: 88
; Occupancy: 5
; WaveLimiterHint : 1
; COMPUTE_PGM_RSRC2:SCRATCH_EN: 0
; COMPUTE_PGM_RSRC2:USER_SGPR: 2
; COMPUTE_PGM_RSRC2:TRAP_HANDLER: 0
; COMPUTE_PGM_RSRC2:TGID_X_EN: 1
; COMPUTE_PGM_RSRC2:TGID_Y_EN: 0
; COMPUTE_PGM_RSRC2:TGID_Z_EN: 0
; COMPUTE_PGM_RSRC2:TIDIG_COMP_CNT: 0
; COMPUTE_PGM_RSRC3_GFX90A:ACCUM_OFFSET: 21
; COMPUTE_PGM_RSRC3_GFX90A:TG_SPLIT: 0
	.section	.text._ZN9rocsparseL19gebsrmvn_2xn_kernelILj128ELj12ELj64EdEEvi20rocsparse_direction_NS_24const_host_device_scalarIT2_EEPKiS6_PKS3_S8_S4_PS3_21rocsparse_index_base_b,"axG",@progbits,_ZN9rocsparseL19gebsrmvn_2xn_kernelILj128ELj12ELj64EdEEvi20rocsparse_direction_NS_24const_host_device_scalarIT2_EEPKiS6_PKS3_S8_S4_PS3_21rocsparse_index_base_b,comdat
	.globl	_ZN9rocsparseL19gebsrmvn_2xn_kernelILj128ELj12ELj64EdEEvi20rocsparse_direction_NS_24const_host_device_scalarIT2_EEPKiS6_PKS3_S8_S4_PS3_21rocsparse_index_base_b ; -- Begin function _ZN9rocsparseL19gebsrmvn_2xn_kernelILj128ELj12ELj64EdEEvi20rocsparse_direction_NS_24const_host_device_scalarIT2_EEPKiS6_PKS3_S8_S4_PS3_21rocsparse_index_base_b
	.p2align	8
	.type	_ZN9rocsparseL19gebsrmvn_2xn_kernelILj128ELj12ELj64EdEEvi20rocsparse_direction_NS_24const_host_device_scalarIT2_EEPKiS6_PKS3_S8_S4_PS3_21rocsparse_index_base_b,@function
_ZN9rocsparseL19gebsrmvn_2xn_kernelILj128ELj12ELj64EdEEvi20rocsparse_direction_NS_24const_host_device_scalarIT2_EEPKiS6_PKS3_S8_S4_PS3_21rocsparse_index_base_b: ; @_ZN9rocsparseL19gebsrmvn_2xn_kernelILj128ELj12ELj64EdEEvi20rocsparse_direction_NS_24const_host_device_scalarIT2_EEPKiS6_PKS3_S8_S4_PS3_21rocsparse_index_base_b
; %bb.0:
	s_load_dwordx2 s[12:13], s[0:1], 0x40
	s_load_dwordx2 s[8:9], s[0:1], 0x8
	;; [unrolled: 1-line block ×3, first 2 shown]
	s_waitcnt lgkmcnt(0)
	s_bitcmp1_b32 s13, 0
	s_cselect_b64 s[10:11], -1, 0
	s_xor_b64 s[6:7], s[10:11], -1
	s_and_b64 vcc, exec, s[10:11]
	v_mov_b64_e32 v[2:3], s[8:9]
	s_cbranch_vccnz .LBB130_2
; %bb.1:
	v_mov_b64_e32 v[2:3], s[8:9]
	flat_load_dwordx2 v[2:3], v[2:3]
.LBB130_2:
	s_andn2_b64 vcc, exec, s[6:7]
	v_mov_b64_e32 v[4:5], s[4:5]
	s_cbranch_vccnz .LBB130_4
; %bb.3:
	v_mov_b64_e32 v[4:5], s[4:5]
	flat_load_dwordx2 v[4:5], v[4:5]
.LBB130_4:
	s_waitcnt vmcnt(0) lgkmcnt(0)
	v_cmp_neq_f64_e32 vcc, 0, v[2:3]
	v_cmp_neq_f64_e64 s[4:5], 1.0, v[4:5]
	s_or_b64 s[4:5], vcc, s[4:5]
	s_and_saveexec_b64 s[6:7], s[4:5]
	s_cbranch_execz .LBB130_23
; %bb.5:
	s_load_dwordx2 s[14:15], s[0:1], 0x0
	v_lshrrev_b32_e32 v1, 6, v0
	v_lshl_or_b32 v6, s2, 1, v1
	s_waitcnt lgkmcnt(0)
	v_cmp_gt_i32_e32 vcc, s14, v6
	s_and_b64 exec, exec, vcc
	s_cbranch_execz .LBB130_23
; %bb.6:
	s_load_dwordx8 s[4:11], s[0:1], 0x10
	v_ashrrev_i32_e32 v7, 31, v6
	s_cmp_lg_u32 s15, 0
	s_waitcnt lgkmcnt(0)
	v_lshl_add_u64 v[8:9], v[6:7], 2, s[4:5]
	global_load_dwordx2 v[8:9], v[8:9], off
	v_and_b32_e32 v7, 63, v0
	s_waitcnt vmcnt(0)
	v_subrev_u32_e32 v0, s12, v8
	v_subrev_u32_e32 v18, s12, v9
	v_add_u32_e32 v10, v0, v7
	v_cmp_lt_i32_e64 s[2:3], v10, v18
	s_cbranch_scc0 .LBB130_12
; %bb.7:
	v_mov_b64_e32 v[8:9], 0
	s_mov_b64 s[4:5], 0
	v_mov_b64_e32 v[0:1], v[8:9]
	s_and_saveexec_b64 s[14:15], s[2:3]
	s_cbranch_execz .LBB130_11
; %bb.8:
	v_mad_u64_u32 v[12:13], s[16:17], v10, 24, 22
	v_mov_b64_e32 v[8:9], 0
	s_mov_b64 s[16:17], 0
	v_mov_b32_e32 v15, 0
	v_mov_b32_e32 v16, v10
	v_mov_b64_e32 v[0:1], v[8:9]
.LBB130_9:                              ; =>This Inner Loop Header: Depth=1
	v_ashrrev_i32_e32 v17, 31, v16
	v_subrev_u32_e32 v14, 22, v12
	v_lshl_add_u64 v[36:37], v[16:17], 2, s[6:7]
	v_lshl_add_u64 v[38:39], v[14:15], 3, s[8:9]
	global_load_dword v11, v[36:37], off
	global_load_dwordx4 v[20:23], v[38:39], off offset:48
	global_load_dwordx4 v[24:27], v[38:39], off offset:32
	global_load_dwordx4 v[28:31], v[38:39], off offset:16
	global_load_dwordx4 v[32:35], v[38:39], off
	v_mov_b32_e32 v65, v15
	v_add_u32_e32 v14, -14, v12
	v_lshl_add_u64 v[36:37], v[14:15], 3, s[8:9]
	global_load_dwordx4 v[36:39], v[36:37], off
	v_mov_b32_e32 v13, v15
	v_lshl_add_u64 v[80:81], v[12:13], 3, s[8:9]
	v_add_u32_e32 v16, 64, v16
	v_cmp_ge_i32_e32 vcc, v16, v18
	s_or_b64 s[16:17], vcc, s[16:17]
	s_waitcnt vmcnt(5)
	v_subrev_u32_e32 v11, s12, v11
	v_mul_lo_u32 v64, v11, 12
	v_lshl_add_u64 v[48:49], v[64:65], 3, s[10:11]
	global_load_dwordx4 v[40:43], v[48:49], off
	global_load_dwordx4 v[44:47], v[48:49], off offset:16
	v_add_u32_e32 v14, 4, v64
	v_lshl_add_u64 v[56:57], v[14:15], 3, s[10:11]
	v_add_u32_e32 v14, -12, v12
	global_load_dwordx4 v[48:51], v[56:57], off offset:16
	global_load_dwordx4 v[52:55], v[56:57], off
	v_lshl_add_u64 v[56:57], v[14:15], 3, s[8:9]
	v_add_u32_e32 v14, -10, v12
	v_lshl_add_u64 v[60:61], v[14:15], 3, s[8:9]
	v_add_u32_e32 v14, -8, v12
	global_load_dwordx4 v[56:59], v[56:57], off
	v_lshl_add_u64 v[72:73], v[14:15], 3, s[8:9]
	global_load_dwordx4 v[60:63], v[60:61], off
	v_add_u32_e32 v14, -6, v12
	v_lshl_add_u64 v[74:75], v[14:15], 3, s[8:9]
	v_add_u32_e32 v14, 8, v64
	v_lshl_add_u64 v[82:83], v[14:15], 3, s[10:11]
	v_add_u32_e32 v14, -4, v12
	global_load_dwordx4 v[64:67], v[72:73], off
	global_load_dwordx4 v[68:71], v[74:75], off
	s_nop 0
	global_load_dwordx4 v[72:75], v[82:83], off offset:16
	global_load_dwordx4 v[76:79], v[82:83], off
	v_lshl_add_u64 v[82:83], v[14:15], 3, s[8:9]
	v_add_u32_e32 v14, -2, v12
	v_lshl_add_u64 v[84:85], v[14:15], 3, s[8:9]
	v_add_u32_e32 v12, 0x600, v12
	s_waitcnt vmcnt(9)
	v_fmac_f64_e32 v[8:9], v[32:33], v[40:41]
	v_fmac_f64_e32 v[0:1], v[34:35], v[40:41]
	global_load_dwordx4 v[32:35], v[82:83], off
	v_fmac_f64_e32 v[8:9], v[28:29], v[42:43]
	v_fmac_f64_e32 v[0:1], v[30:31], v[42:43]
	global_load_dwordx4 v[28:31], v[84:85], off
	global_load_dwordx4 v[40:43], v[80:81], off
	s_waitcnt vmcnt(11)
	v_fmac_f64_e32 v[8:9], v[24:25], v[44:45]
	v_fmac_f64_e32 v[0:1], v[26:27], v[44:45]
	;; [unrolled: 1-line block ×4, first 2 shown]
	s_waitcnt vmcnt(9)
	v_fmac_f64_e32 v[8:9], v[36:37], v[52:53]
	v_fmac_f64_e32 v[0:1], v[38:39], v[52:53]
	s_waitcnt vmcnt(8)
	v_fmac_f64_e32 v[8:9], v[56:57], v[54:55]
	v_fmac_f64_e32 v[0:1], v[58:59], v[54:55]
	;; [unrolled: 3-line block ×8, first 2 shown]
	s_andn2_b64 exec, exec, s[16:17]
	s_cbranch_execnz .LBB130_9
; %bb.10:
	s_or_b64 exec, exec, s[16:17]
.LBB130_11:
	s_or_b64 exec, exec, s[14:15]
	s_andn2_b64 vcc, exec, s[4:5]
	s_cbranch_vccz .LBB130_13
	s_branch .LBB130_18
.LBB130_12:
                                        ; implicit-def: $vgpr8_vgpr9
                                        ; implicit-def: $vgpr0_vgpr1
.LBB130_13:
	v_mov_b64_e32 v[8:9], 0
	v_mov_b64_e32 v[0:1], v[8:9]
	s_and_saveexec_b64 s[4:5], s[2:3]
	s_cbranch_execz .LBB130_17
; %bb.14:
	v_mad_u64_u32 v[12:13], s[2:3], v10, 24, 23
	v_mov_b64_e32 v[8:9], 0
	s_mov_b64 s[2:3], 0
	v_mov_b32_e32 v15, 0
	v_mov_b64_e32 v[0:1], v[8:9]
.LBB130_15:                             ; =>This Inner Loop Header: Depth=1
	v_ashrrev_i32_e32 v11, 31, v10
	v_subrev_u32_e32 v14, 23, v12
	v_lshl_add_u64 v[36:37], v[10:11], 2, s[6:7]
	v_lshl_add_u64 v[38:39], v[14:15], 3, s[8:9]
	global_load_dword v11, v[36:37], off
	global_load_dwordx4 v[20:23], v[38:39], off offset:48
	global_load_dwordx4 v[24:27], v[38:39], off offset:32
	;; [unrolled: 1-line block ×3, first 2 shown]
	global_load_dwordx4 v[32:35], v[38:39], off
	v_add_u32_e32 v14, -10, v12
	v_add_u32_e32 v16, -11, v12
	v_mov_b32_e32 v17, v15
	v_lshl_add_u64 v[36:37], v[14:15], 3, s[8:9]
	v_add_u32_e32 v14, -9, v12
	v_mov_b32_e32 v53, v15
	v_lshl_add_u64 v[16:17], v[16:17], 3, s[8:9]
	v_lshl_add_u64 v[38:39], v[14:15], 3, s[8:9]
	v_add_u32_e32 v14, -8, v12
	global_load_dwordx2 v[16:17], v[16:17], off
	v_mov_b32_e32 v13, v15
	global_load_dwordx2 v[58:59], v[36:37], off
	v_lshl_add_u64 v[36:37], v[14:15], 3, s[8:9]
	global_load_dwordx2 v[60:61], v[38:39], off
	global_load_dwordx2 v[62:63], v[36:37], off
	v_lshl_add_u64 v[56:57], v[12:13], 3, s[8:9]
	v_add_u32_e32 v10, 64, v10
	v_cmp_ge_i32_e32 vcc, v10, v18
	s_or_b64 s[2:3], vcc, s[2:3]
	s_waitcnt vmcnt(8)
	v_subrev_u32_e32 v11, s12, v11
	v_mul_lo_u32 v52, v11, 12
	v_lshl_add_u64 v[44:45], v[52:53], 3, s[10:11]
	global_load_dwordx4 v[36:39], v[44:45], off
	global_load_dwordx4 v[40:43], v[44:45], off offset:16
	v_add_u32_e32 v14, 4, v52
	v_lshl_add_u64 v[54:55], v[14:15], 3, s[10:11]
	v_add_u32_e32 v14, -7, v12
	v_lshl_add_u64 v[64:65], v[14:15], 3, s[8:9]
	v_add_u32_e32 v14, -6, v12
	global_load_dwordx4 v[44:47], v[54:55], off offset:16
	global_load_dwordx4 v[48:51], v[54:55], off
	v_lshl_add_u64 v[54:55], v[14:15], 3, s[8:9]
	v_add_u32_e32 v14, -5, v12
	v_lshl_add_u64 v[66:67], v[14:15], 3, s[8:9]
	v_add_u32_e32 v14, -4, v12
	global_load_dwordx2 v[64:65], v[64:65], off
	s_waitcnt vmcnt(4)
	v_fmac_f64_e32 v[0:1], v[16:17], v[36:37]
	global_load_dwordx2 v[66:67], v[66:67], off
	v_fmac_f64_e32 v[8:9], v[32:33], v[36:37]
	global_load_dwordx2 v[68:69], v[54:55], off
	v_lshl_add_u64 v[54:55], v[14:15], 3, s[8:9]
	v_add_u32_e32 v14, -15, v12
	v_lshl_add_u64 v[70:71], v[14:15], 3, s[8:9]
	v_add_u32_e32 v14, 8, v52
	global_load_dwordx2 v[72:73], v[54:55], off
	global_load_dwordx2 v[74:75], v[70:71], off
	v_lshl_add_u64 v[70:71], v[14:15], 3, s[10:11]
	v_add_u32_e32 v14, -3, v12
	v_lshl_add_u64 v[16:17], v[14:15], 3, s[8:9]
	v_add_u32_e32 v14, -14, v12
	;; [unrolled: 2-line block ×3, first 2 shown]
	v_fmac_f64_e32 v[8:9], v[34:35], v[38:39]
	global_load_dwordx4 v[32:35], v[70:71], off offset:16
	global_load_dwordx4 v[52:55], v[70:71], off
	v_fmac_f64_e32 v[0:1], v[58:59], v[38:39]
	global_load_dwordx2 v[16:17], v[16:17], off
	v_lshl_add_u64 v[38:39], v[14:15], 3, s[8:9]
	global_load_dwordx2 v[36:37], v[36:37], off
	v_add_u32_e32 v14, -13, v12
	v_lshl_add_u64 v[58:59], v[14:15], 3, s[8:9]
	v_add_u32_e32 v14, -1, v12
	global_load_dwordx2 v[70:71], v[38:39], off
	global_load_dwordx2 v[76:77], v[58:59], off
	s_waitcnt vmcnt(13)
	v_fmac_f64_e32 v[8:9], v[28:29], v[40:41]
	v_lshl_add_u64 v[28:29], v[14:15], 3, s[8:9]
	v_add_u32_e32 v14, -12, v12
	v_fmac_f64_e32 v[8:9], v[30:31], v[42:43]
	v_lshl_add_u64 v[30:31], v[14:15], 3, s[8:9]
	global_load_dwordx2 v[38:39], v[28:29], off
	global_load_dwordx2 v[58:59], v[30:31], off
	;; [unrolled: 1-line block ×3, first 2 shown]
	v_fmac_f64_e32 v[0:1], v[60:61], v[40:41]
	v_fmac_f64_e32 v[0:1], v[62:63], v[42:43]
	s_waitcnt vmcnt(14)
	v_fmac_f64_e32 v[8:9], v[24:25], v[48:49]
	s_waitcnt vmcnt(13)
	v_fmac_f64_e32 v[0:1], v[64:65], v[48:49]
	v_fmac_f64_e32 v[8:9], v[26:27], v[50:51]
	;; [unrolled: 1-line block ×4, first 2 shown]
	v_add_u32_e32 v12, 0x600, v12
	s_waitcnt vmcnt(11)
	v_fmac_f64_e32 v[0:1], v[68:69], v[50:51]
	v_fmac_f64_e32 v[0:1], v[66:67], v[44:45]
	s_waitcnt vmcnt(10)
	v_fmac_f64_e32 v[0:1], v[72:73], v[46:47]
	s_waitcnt vmcnt(7)
	;; [unrolled: 2-line block ×9, first 2 shown]
	v_fmac_f64_e32 v[0:1], v[78:79], v[34:35]
	s_andn2_b64 exec, exec, s[2:3]
	s_cbranch_execnz .LBB130_15
; %bb.16:
	s_or_b64 exec, exec, s[2:3]
.LBB130_17:
	s_or_b64 exec, exec, s[4:5]
.LBB130_18:
	v_mov_b32_dpp v10, v8 row_shr:1 row_mask:0xf bank_mask:0xf
	v_mov_b32_dpp v11, v9 row_shr:1 row_mask:0xf bank_mask:0xf
	;; [unrolled: 1-line block ×4, first 2 shown]
	v_add_f64 v[8:9], v[8:9], v[10:11]
	v_add_f64 v[0:1], v[0:1], v[12:13]
	v_cmp_eq_u32_e32 vcc, 63, v7
	v_mov_b32_dpp v10, v8 row_shr:2 row_mask:0xf bank_mask:0xf
	v_mov_b32_dpp v11, v9 row_shr:2 row_mask:0xf bank_mask:0xf
	v_mov_b32_dpp v12, v0 row_shr:2 row_mask:0xf bank_mask:0xf
	v_mov_b32_dpp v13, v1 row_shr:2 row_mask:0xf bank_mask:0xf
	v_add_f64 v[8:9], v[8:9], v[10:11]
	v_add_f64 v[0:1], v[0:1], v[12:13]
	s_nop 0
	v_mov_b32_dpp v10, v8 row_shr:4 row_mask:0xf bank_mask:0xe
	v_mov_b32_dpp v11, v9 row_shr:4 row_mask:0xf bank_mask:0xe
	v_mov_b32_dpp v12, v0 row_shr:4 row_mask:0xf bank_mask:0xe
	v_mov_b32_dpp v13, v1 row_shr:4 row_mask:0xf bank_mask:0xe
	v_add_f64 v[8:9], v[8:9], v[10:11]
	v_add_f64 v[0:1], v[0:1], v[12:13]
	s_nop 0
	;; [unrolled: 7-line block ×3, first 2 shown]
	v_mov_b32_dpp v10, v8 row_bcast:15 row_mask:0xa bank_mask:0xf
	v_mov_b32_dpp v11, v9 row_bcast:15 row_mask:0xa bank_mask:0xf
	v_mov_b32_dpp v12, v0 row_bcast:15 row_mask:0xa bank_mask:0xf
	v_mov_b32_dpp v13, v1 row_bcast:15 row_mask:0xa bank_mask:0xf
	v_add_f64 v[8:9], v[8:9], v[10:11]
	v_add_f64 v[0:1], v[0:1], v[12:13]
	s_nop 0
	v_mov_b32_dpp v10, v8 row_bcast:31 row_mask:0xc bank_mask:0xf
	v_mov_b32_dpp v11, v9 row_bcast:31 row_mask:0xc bank_mask:0xf
	;; [unrolled: 1-line block ×4, first 2 shown]
	s_and_b64 exec, exec, vcc
	s_cbranch_execz .LBB130_23
; %bb.19:
	s_load_dwordx2 s[0:1], s[0:1], 0x38
	v_add_f64 v[8:9], v[8:9], v[10:11]
	v_add_f64 v[0:1], v[0:1], v[12:13]
	v_cmp_eq_f64_e32 vcc, 0, v[4:5]
	s_and_saveexec_b64 s[2:3], vcc
	s_xor_b64 s[2:3], exec, s[2:3]
	s_cbranch_execz .LBB130_21
; %bb.20:
	v_lshlrev_b32_e32 v6, 1, v6
	v_ashrrev_i32_e32 v7, 31, v6
	v_mul_f64 v[4:5], v[2:3], v[8:9]
	s_waitcnt lgkmcnt(0)
	v_lshl_add_u64 v[8:9], v[6:7], 3, s[0:1]
	v_mul_f64 v[6:7], v[2:3], v[0:1]
	global_store_dwordx4 v[8:9], v[4:7], off
                                        ; implicit-def: $vgpr6
                                        ; implicit-def: $vgpr2_vgpr3
                                        ; implicit-def: $vgpr8_vgpr9
                                        ; implicit-def: $vgpr4_vgpr5
                                        ; implicit-def: $vgpr0_vgpr1
.LBB130_21:
	s_andn2_saveexec_b64 s[2:3], s[2:3]
	s_cbranch_execz .LBB130_23
; %bb.22:
	v_lshlrev_b32_e32 v6, 1, v6
	v_ashrrev_i32_e32 v7, 31, v6
	s_waitcnt lgkmcnt(0)
	v_lshl_add_u64 v[14:15], v[6:7], 3, s[0:1]
	global_load_dwordx4 v[10:13], v[14:15], off
	v_mul_f64 v[6:7], v[2:3], v[8:9]
	v_mul_f64 v[8:9], v[2:3], v[0:1]
	s_waitcnt vmcnt(0)
	v_fmac_f64_e32 v[6:7], v[4:5], v[10:11]
	v_fmac_f64_e32 v[8:9], v[4:5], v[12:13]
	global_store_dwordx4 v[14:15], v[6:9], off
.LBB130_23:
	s_endpgm
	.section	.rodata,"a",@progbits
	.p2align	6, 0x0
	.amdhsa_kernel _ZN9rocsparseL19gebsrmvn_2xn_kernelILj128ELj12ELj64EdEEvi20rocsparse_direction_NS_24const_host_device_scalarIT2_EEPKiS6_PKS3_S8_S4_PS3_21rocsparse_index_base_b
		.amdhsa_group_segment_fixed_size 0
		.amdhsa_private_segment_fixed_size 0
		.amdhsa_kernarg_size 72
		.amdhsa_user_sgpr_count 2
		.amdhsa_user_sgpr_dispatch_ptr 0
		.amdhsa_user_sgpr_queue_ptr 0
		.amdhsa_user_sgpr_kernarg_segment_ptr 1
		.amdhsa_user_sgpr_dispatch_id 0
		.amdhsa_user_sgpr_kernarg_preload_length 0
		.amdhsa_user_sgpr_kernarg_preload_offset 0
		.amdhsa_user_sgpr_private_segment_size 0
		.amdhsa_uses_dynamic_stack 0
		.amdhsa_enable_private_segment 0
		.amdhsa_system_sgpr_workgroup_id_x 1
		.amdhsa_system_sgpr_workgroup_id_y 0
		.amdhsa_system_sgpr_workgroup_id_z 0
		.amdhsa_system_sgpr_workgroup_info 0
		.amdhsa_system_vgpr_workitem_id 0
		.amdhsa_next_free_vgpr 86
		.amdhsa_next_free_sgpr 18
		.amdhsa_accum_offset 88
		.amdhsa_reserve_vcc 1
		.amdhsa_float_round_mode_32 0
		.amdhsa_float_round_mode_16_64 0
		.amdhsa_float_denorm_mode_32 3
		.amdhsa_float_denorm_mode_16_64 3
		.amdhsa_dx10_clamp 1
		.amdhsa_ieee_mode 1
		.amdhsa_fp16_overflow 0
		.amdhsa_tg_split 0
		.amdhsa_exception_fp_ieee_invalid_op 0
		.amdhsa_exception_fp_denorm_src 0
		.amdhsa_exception_fp_ieee_div_zero 0
		.amdhsa_exception_fp_ieee_overflow 0
		.amdhsa_exception_fp_ieee_underflow 0
		.amdhsa_exception_fp_ieee_inexact 0
		.amdhsa_exception_int_div_zero 0
	.end_amdhsa_kernel
	.section	.text._ZN9rocsparseL19gebsrmvn_2xn_kernelILj128ELj12ELj64EdEEvi20rocsparse_direction_NS_24const_host_device_scalarIT2_EEPKiS6_PKS3_S8_S4_PS3_21rocsparse_index_base_b,"axG",@progbits,_ZN9rocsparseL19gebsrmvn_2xn_kernelILj128ELj12ELj64EdEEvi20rocsparse_direction_NS_24const_host_device_scalarIT2_EEPKiS6_PKS3_S8_S4_PS3_21rocsparse_index_base_b,comdat
.Lfunc_end130:
	.size	_ZN9rocsparseL19gebsrmvn_2xn_kernelILj128ELj12ELj64EdEEvi20rocsparse_direction_NS_24const_host_device_scalarIT2_EEPKiS6_PKS3_S8_S4_PS3_21rocsparse_index_base_b, .Lfunc_end130-_ZN9rocsparseL19gebsrmvn_2xn_kernelILj128ELj12ELj64EdEEvi20rocsparse_direction_NS_24const_host_device_scalarIT2_EEPKiS6_PKS3_S8_S4_PS3_21rocsparse_index_base_b
                                        ; -- End function
	.section	.AMDGPU.csdata,"",@progbits
; Kernel info:
; codeLenInByte = 1956
; NumSgprs: 24
; NumVgprs: 86
; NumAgprs: 0
; TotalNumVgprs: 86
; ScratchSize: 0
; MemoryBound: 1
; FloatMode: 240
; IeeeMode: 1
; LDSByteSize: 0 bytes/workgroup (compile time only)
; SGPRBlocks: 2
; VGPRBlocks: 10
; NumSGPRsForWavesPerEU: 24
; NumVGPRsForWavesPerEU: 86
; AccumOffset: 88
; Occupancy: 5
; WaveLimiterHint : 1
; COMPUTE_PGM_RSRC2:SCRATCH_EN: 0
; COMPUTE_PGM_RSRC2:USER_SGPR: 2
; COMPUTE_PGM_RSRC2:TRAP_HANDLER: 0
; COMPUTE_PGM_RSRC2:TGID_X_EN: 1
; COMPUTE_PGM_RSRC2:TGID_Y_EN: 0
; COMPUTE_PGM_RSRC2:TGID_Z_EN: 0
; COMPUTE_PGM_RSRC2:TIDIG_COMP_CNT: 0
; COMPUTE_PGM_RSRC3_GFX90A:ACCUM_OFFSET: 21
; COMPUTE_PGM_RSRC3_GFX90A:TG_SPLIT: 0
	.section	.text._ZN9rocsparseL19gebsrmvn_2xn_kernelILj128ELj13ELj4EdEEvi20rocsparse_direction_NS_24const_host_device_scalarIT2_EEPKiS6_PKS3_S8_S4_PS3_21rocsparse_index_base_b,"axG",@progbits,_ZN9rocsparseL19gebsrmvn_2xn_kernelILj128ELj13ELj4EdEEvi20rocsparse_direction_NS_24const_host_device_scalarIT2_EEPKiS6_PKS3_S8_S4_PS3_21rocsparse_index_base_b,comdat
	.globl	_ZN9rocsparseL19gebsrmvn_2xn_kernelILj128ELj13ELj4EdEEvi20rocsparse_direction_NS_24const_host_device_scalarIT2_EEPKiS6_PKS3_S8_S4_PS3_21rocsparse_index_base_b ; -- Begin function _ZN9rocsparseL19gebsrmvn_2xn_kernelILj128ELj13ELj4EdEEvi20rocsparse_direction_NS_24const_host_device_scalarIT2_EEPKiS6_PKS3_S8_S4_PS3_21rocsparse_index_base_b
	.p2align	8
	.type	_ZN9rocsparseL19gebsrmvn_2xn_kernelILj128ELj13ELj4EdEEvi20rocsparse_direction_NS_24const_host_device_scalarIT2_EEPKiS6_PKS3_S8_S4_PS3_21rocsparse_index_base_b,@function
_ZN9rocsparseL19gebsrmvn_2xn_kernelILj128ELj13ELj4EdEEvi20rocsparse_direction_NS_24const_host_device_scalarIT2_EEPKiS6_PKS3_S8_S4_PS3_21rocsparse_index_base_b: ; @_ZN9rocsparseL19gebsrmvn_2xn_kernelILj128ELj13ELj4EdEEvi20rocsparse_direction_NS_24const_host_device_scalarIT2_EEPKiS6_PKS3_S8_S4_PS3_21rocsparse_index_base_b
; %bb.0:
	s_load_dwordx2 s[12:13], s[0:1], 0x40
	s_load_dwordx2 s[8:9], s[0:1], 0x8
	;; [unrolled: 1-line block ×3, first 2 shown]
	s_waitcnt lgkmcnt(0)
	s_bitcmp1_b32 s13, 0
	s_cselect_b64 s[10:11], -1, 0
	s_xor_b64 s[6:7], s[10:11], -1
	s_and_b64 vcc, exec, s[10:11]
	v_mov_b64_e32 v[2:3], s[8:9]
	s_cbranch_vccnz .LBB131_2
; %bb.1:
	v_mov_b64_e32 v[2:3], s[8:9]
	flat_load_dwordx2 v[2:3], v[2:3]
.LBB131_2:
	s_andn2_b64 vcc, exec, s[6:7]
	v_mov_b64_e32 v[4:5], s[4:5]
	s_cbranch_vccnz .LBB131_4
; %bb.3:
	v_mov_b64_e32 v[4:5], s[4:5]
	flat_load_dwordx2 v[4:5], v[4:5]
.LBB131_4:
	s_waitcnt vmcnt(0) lgkmcnt(0)
	v_cmp_neq_f64_e32 vcc, 0, v[2:3]
	v_cmp_neq_f64_e64 s[4:5], 1.0, v[4:5]
	s_or_b64 s[4:5], vcc, s[4:5]
	s_and_saveexec_b64 s[6:7], s[4:5]
	s_cbranch_execz .LBB131_23
; %bb.5:
	s_load_dwordx2 s[14:15], s[0:1], 0x0
	v_lshrrev_b32_e32 v1, 2, v0
	v_lshl_or_b32 v6, s2, 5, v1
	s_waitcnt lgkmcnt(0)
	v_cmp_gt_i32_e32 vcc, s14, v6
	s_and_b64 exec, exec, vcc
	s_cbranch_execz .LBB131_23
; %bb.6:
	s_load_dwordx8 s[4:11], s[0:1], 0x10
	v_ashrrev_i32_e32 v7, 31, v6
	s_cmp_lg_u32 s15, 0
	s_waitcnt lgkmcnt(0)
	v_lshl_add_u64 v[8:9], v[6:7], 2, s[4:5]
	global_load_dwordx2 v[8:9], v[8:9], off
	v_and_b32_e32 v7, 3, v0
	s_waitcnt vmcnt(0)
	v_subrev_u32_e32 v0, s12, v8
	v_subrev_u32_e32 v20, s12, v9
	v_add_u32_e32 v8, v0, v7
	v_cmp_lt_i32_e64 s[2:3], v8, v20
	s_cbranch_scc0 .LBB131_12
; %bb.7:
	v_mov_b64_e32 v[0:1], 0
	s_mov_b64 s[4:5], 0
	v_mov_b64_e32 v[10:11], v[0:1]
	s_and_saveexec_b64 s[14:15], s[2:3]
	s_cbranch_execz .LBB131_11
; %bb.8:
	v_mad_u64_u32 v[12:13], s[16:17], v8, 26, 24
	v_mov_b64_e32 v[0:1], 0
	s_mov_b64 s[16:17], 0
	v_mov_b32_e32 v15, 0
	v_mov_b32_e32 v16, v8
	v_mov_b64_e32 v[10:11], v[0:1]
.LBB131_9:                              ; =>This Inner Loop Header: Depth=1
	v_ashrrev_i32_e32 v17, 31, v16
	v_subrev_u32_e32 v14, 24, v12
	v_lshl_add_u64 v[26:27], v[16:17], 2, s[6:7]
	v_lshl_add_u64 v[28:29], v[14:15], 3, s[8:9]
	global_load_dword v9, v[26:27], off
	global_load_dwordx4 v[22:25], v[28:29], off
	v_mov_b32_e32 v13, v15
	v_mov_b32_e32 v19, v15
	v_subrev_u32_e32 v14, 22, v12
	v_lshl_add_u64 v[34:35], v[12:13], 3, s[8:9]
	v_lshl_add_u64 v[36:37], v[14:15], 3, s[8:9]
	global_load_dwordx4 v[26:29], v[34:35], off
	global_load_dwordx4 v[30:33], v[36:37], off
	v_add_u32_e32 v16, 4, v16
	v_cmp_ge_i32_e32 vcc, v16, v20
	s_or_b64 s[16:17], vcc, s[16:17]
	s_waitcnt vmcnt(3)
	v_subrev_u32_e32 v9, s12, v9
	v_mul_lo_u32 v18, v9, 13
	v_lshl_add_u64 v[34:35], v[18:19], 3, s[10:11]
	v_add_u32_e32 v14, 1, v18
	global_load_dwordx2 v[50:51], v[34:35], off
	v_lshl_add_u64 v[34:35], v[14:15], 3, s[10:11]
	v_subrev_u32_e32 v14, 20, v12
	global_load_dwordx2 v[52:53], v[34:35], off
	v_lshl_add_u64 v[34:35], v[14:15], 3, s[8:9]
	v_add_u32_e32 v14, 2, v18
	v_lshl_add_u64 v[38:39], v[14:15], 3, s[10:11]
	v_subrev_u32_e32 v14, 18, v12
	global_load_dwordx4 v[34:37], v[34:35], off
	s_waitcnt vmcnt(2)
	v_fmac_f64_e32 v[0:1], v[22:23], v[50:51]
	global_load_dwordx2 v[54:55], v[38:39], off
	v_lshl_add_u64 v[38:39], v[14:15], 3, s[8:9]
	v_add_u32_e32 v14, 3, v18
	v_lshl_add_u64 v[42:43], v[14:15], 3, s[10:11]
	v_add_u32_e32 v14, -16, v12
	global_load_dwordx4 v[38:41], v[38:39], off
	v_fmac_f64_e32 v[10:11], v[24:25], v[50:51]
	global_load_dwordx2 v[56:57], v[42:43], off
	v_lshl_add_u64 v[42:43], v[14:15], 3, s[8:9]
	v_add_u32_e32 v14, 4, v18
	v_lshl_add_u64 v[46:47], v[14:15], 3, s[10:11]
	v_add_u32_e32 v14, -14, v12
	global_load_dwordx4 v[42:45], v[42:43], off
	s_waitcnt vmcnt(5)
	v_fmac_f64_e32 v[0:1], v[30:31], v[52:53]
	global_load_dwordx2 v[58:59], v[46:47], off
	v_lshl_add_u64 v[46:47], v[14:15], 3, s[8:9]
	v_add_u32_e32 v14, 5, v18
	v_lshl_add_u64 v[60:61], v[14:15], 3, s[10:11]
	global_load_dwordx4 v[46:49], v[46:47], off
	v_add_u32_e32 v14, -12, v12
	global_load_dwordx2 v[60:61], v[60:61], off
	v_lshl_add_u64 v[22:23], v[14:15], 3, s[8:9]
	v_add_u32_e32 v14, 6, v18
	v_lshl_add_u64 v[50:51], v[14:15], 3, s[10:11]
	v_add_u32_e32 v14, -10, v12
	v_lshl_add_u64 v[30:31], v[14:15], 3, s[8:9]
	v_add_u32_e32 v14, 7, v18
	v_fmac_f64_e32 v[10:11], v[32:33], v[52:53]
	v_lshl_add_u64 v[52:53], v[14:15], 3, s[10:11]
	v_add_u32_e32 v14, -8, v12
	global_load_dwordx4 v[22:25], v[22:23], off
	s_waitcnt vmcnt(7)
	v_fmac_f64_e32 v[0:1], v[34:35], v[54:55]
	global_load_dwordx4 v[30:33], v[30:31], off
	v_lshl_add_u64 v[34:35], v[14:15], 3, s[8:9]
	v_add_u32_e32 v14, 8, v18
	v_fmac_f64_e32 v[10:11], v[36:37], v[54:55]
	v_lshl_add_u64 v[54:55], v[14:15], 3, s[10:11]
	v_add_u32_e32 v14, -6, v12
	global_load_dwordx4 v[34:37], v[34:35], off
	s_waitcnt vmcnt(7)
	v_fmac_f64_e32 v[0:1], v[38:39], v[56:57]
	v_lshl_add_u64 v[38:39], v[14:15], 3, s[8:9]
	v_add_u32_e32 v14, 9, v18
	global_load_dwordx2 v[50:51], v[50:51], off
	v_fmac_f64_e32 v[10:11], v[40:41], v[56:57]
	global_load_dwordx2 v[52:53], v[52:53], off
	v_lshl_add_u64 v[56:57], v[14:15], 3, s[10:11]
	global_load_dwordx2 v[54:55], v[54:55], off
	v_add_u32_e32 v14, -4, v12
	global_load_dwordx2 v[56:57], v[56:57], off
	s_nop 0
	global_load_dwordx4 v[38:41], v[38:39], off
	s_waitcnt vmcnt(10)
	v_fmac_f64_e32 v[0:1], v[42:43], v[58:59]
	v_lshl_add_u64 v[42:43], v[14:15], 3, s[8:9]
	v_add_u32_e32 v14, 10, v18
	v_fmac_f64_e32 v[10:11], v[44:45], v[58:59]
	v_lshl_add_u64 v[58:59], v[14:15], 3, s[10:11]
	v_add_u32_e32 v14, -2, v12
	global_load_dwordx4 v[42:45], v[42:43], off
	v_add_u32_e32 v12, 0x68, v12
	global_load_dwordx2 v[58:59], v[58:59], off
	s_waitcnt vmcnt(10)
	v_fmac_f64_e32 v[0:1], v[46:47], v[60:61]
	v_lshl_add_u64 v[46:47], v[14:15], 3, s[8:9]
	v_add_u32_e32 v14, 11, v18
	v_fmac_f64_e32 v[10:11], v[48:49], v[60:61]
	v_lshl_add_u64 v[60:61], v[14:15], 3, s[10:11]
	v_add_u32_e32 v14, 12, v18
	global_load_dwordx4 v[46:49], v[46:47], off
	s_waitcnt vmcnt(7)
	v_fmac_f64_e32 v[0:1], v[22:23], v[50:51]
	global_load_dwordx2 v[18:19], v[60:61], off
	v_lshl_add_u64 v[60:61], v[14:15], 3, s[10:11]
	global_load_dwordx2 v[60:61], v[60:61], off
	v_fmac_f64_e32 v[10:11], v[24:25], v[50:51]
	s_waitcnt vmcnt(8)
	v_fmac_f64_e32 v[0:1], v[30:31], v[52:53]
	v_fmac_f64_e32 v[10:11], v[32:33], v[52:53]
	s_waitcnt vmcnt(7)
	v_fmac_f64_e32 v[0:1], v[34:35], v[54:55]
	;; [unrolled: 3-line block ×6, first 2 shown]
	v_fmac_f64_e32 v[10:11], v[28:29], v[60:61]
	s_andn2_b64 exec, exec, s[16:17]
	s_cbranch_execnz .LBB131_9
; %bb.10:
	s_or_b64 exec, exec, s[16:17]
.LBB131_11:
	s_or_b64 exec, exec, s[14:15]
	s_andn2_b64 vcc, exec, s[4:5]
	s_cbranch_vccz .LBB131_13
	s_branch .LBB131_18
.LBB131_12:
                                        ; implicit-def: $vgpr0_vgpr1
                                        ; implicit-def: $vgpr10_vgpr11
.LBB131_13:
	v_mov_b64_e32 v[0:1], 0
	v_mov_b64_e32 v[10:11], v[0:1]
	s_and_saveexec_b64 s[4:5], s[2:3]
	s_cbranch_execz .LBB131_17
; %bb.14:
	v_mad_u64_u32 v[12:13], s[2:3], v8, 26, 25
	v_mov_b64_e32 v[0:1], 0
	s_mov_b64 s[2:3], 0
	v_mov_b32_e32 v15, 0
	v_mov_b64_e32 v[10:11], v[0:1]
.LBB131_15:                             ; =>This Inner Loop Header: Depth=1
	v_ashrrev_i32_e32 v9, 31, v8
	v_subrev_u32_e32 v14, 25, v12
	v_add_u32_e32 v18, -12, v12
	v_mov_b32_e32 v19, v15
	v_mov_b32_e32 v13, v15
	v_lshl_add_u64 v[26:27], v[8:9], 2, s[6:7]
	v_lshl_add_u64 v[28:29], v[14:15], 3, s[8:9]
	;; [unrolled: 1-line block ×4, first 2 shown]
	global_load_dword v9, v[26:27], off
	global_load_dwordx4 v[22:25], v[28:29], off
	global_load_dwordx2 v[32:33], v[18:19], off
	global_load_dwordx2 v[34:35], v[30:31], off
	v_mov_b32_e32 v17, v15
	v_add_u32_e32 v8, 4, v8
	v_cmp_ge_i32_e32 vcc, v8, v20
	s_or_b64 s[2:3], vcc, s[2:3]
	s_waitcnt vmcnt(3)
	v_subrev_u32_e32 v9, s12, v9
	v_mul_lo_u32 v16, v9, 13
	v_lshl_add_u64 v[18:19], v[16:17], 3, s[10:11]
	global_load_dwordx2 v[18:19], v[18:19], off
	v_add_u32_e32 v14, 1, v16
	v_lshl_add_u64 v[26:27], v[14:15], 3, s[10:11]
	global_load_dwordx2 v[26:27], v[26:27], off
	v_add_u32_e32 v14, -11, v12
	v_lshl_add_u64 v[28:29], v[14:15], 3, s[8:9]
	v_subrev_u32_e32 v14, 23, v12
	global_load_dwordx2 v[28:29], v[28:29], off
	v_lshl_add_u64 v[30:31], v[14:15], 3, s[8:9]
	global_load_dwordx2 v[30:31], v[30:31], off
	v_add_u32_e32 v14, 2, v16
	v_lshl_add_u64 v[36:37], v[14:15], 3, s[10:11]
	v_add_u32_e32 v14, -10, v12
	global_load_dwordx2 v[36:37], v[36:37], off
	v_lshl_add_u64 v[38:39], v[14:15], 3, s[8:9]
	v_subrev_u32_e32 v14, 22, v12
	global_load_dwordx2 v[38:39], v[38:39], off
	v_lshl_add_u64 v[40:41], v[14:15], 3, s[8:9]
	global_load_dwordx2 v[40:41], v[40:41], off
	v_add_u32_e32 v14, 3, v16
	v_lshl_add_u64 v[42:43], v[14:15], 3, s[10:11]
	v_add_u32_e32 v14, -9, v12
	global_load_dwordx2 v[42:43], v[42:43], off
	;; [unrolled: 9-line block ×3, first 2 shown]
	v_lshl_add_u64 v[50:51], v[14:15], 3, s[8:9]
	global_load_dwordx2 v[50:51], v[50:51], off
	v_subrev_u32_e32 v14, 20, v12
	v_lshl_add_u64 v[52:53], v[14:15], 3, s[8:9]
	global_load_dwordx2 v[52:53], v[52:53], off
	v_add_u32_e32 v14, 5, v16
	v_lshl_add_u64 v[54:55], v[14:15], 3, s[10:11]
	v_add_u32_e32 v14, -7, v12
	v_lshl_add_u64 v[56:57], v[14:15], 3, s[8:9]
	v_subrev_u32_e32 v14, 19, v12
	v_lshl_add_u64 v[58:59], v[14:15], 3, s[8:9]
	v_add_u32_e32 v14, 6, v16
	global_load_dwordx2 v[54:55], v[54:55], off
	s_nop 0
	global_load_dwordx2 v[60:61], v[56:57], off
	global_load_dwordx2 v[62:63], v[58:59], off
	v_lshl_add_u64 v[56:57], v[14:15], 3, s[10:11]
	v_add_u32_e32 v14, -6, v12
	v_lshl_add_u64 v[58:59], v[14:15], 3, s[8:9]
	v_subrev_u32_e32 v14, 18, v12
	v_lshl_add_u64 v[64:65], v[14:15], 3, s[8:9]
	v_add_u32_e32 v14, 7, v16
	global_load_dwordx2 v[56:57], v[56:57], off
	s_nop 0
	global_load_dwordx2 v[66:67], v[58:59], off
	global_load_dwordx2 v[68:69], v[64:65], off
	s_waitcnt vmcnt(18)
	v_fmac_f64_e32 v[10:11], v[32:33], v[18:19]
	v_lshl_add_u64 v[32:33], v[14:15], 3, s[10:11]
	v_add_u32_e32 v14, -5, v12
	v_fmac_f64_e32 v[0:1], v[22:23], v[18:19]
	v_lshl_add_u64 v[18:19], v[14:15], 3, s[8:9]
	v_subrev_u32_e32 v14, 17, v12
	v_lshl_add_u64 v[22:23], v[14:15], 3, s[8:9]
	v_add_u32_e32 v14, 8, v16
	global_load_dwordx2 v[32:33], v[32:33], off
	s_waitcnt vmcnt(18)
	v_fmac_f64_e32 v[0:1], v[24:25], v[26:27]
	global_load_dwordx2 v[24:25], v[18:19], off
	global_load_dwordx2 v[58:59], v[22:23], off
	v_lshl_add_u64 v[18:19], v[14:15], 3, s[10:11]
	v_add_u32_e32 v14, -4, v12
	v_lshl_add_u64 v[22:23], v[14:15], 3, s[8:9]
	v_add_u32_e32 v14, -16, v12
	s_waitcnt vmcnt(19)
	v_fmac_f64_e32 v[10:11], v[28:29], v[26:27]
	v_lshl_add_u64 v[26:27], v[14:15], 3, s[8:9]
	v_add_u32_e32 v14, 9, v16
	global_load_dwordx2 v[18:19], v[18:19], off
	s_nop 0
	global_load_dwordx2 v[28:29], v[22:23], off
	global_load_dwordx2 v[64:65], v[26:27], off
	v_lshl_add_u64 v[22:23], v[14:15], 3, s[10:11]
	v_add_u32_e32 v14, -3, v12
	v_lshl_add_u64 v[26:27], v[14:15], 3, s[8:9]
	v_add_u32_e32 v14, -15, v12
	s_waitcnt vmcnt(20)
	v_fmac_f64_e32 v[0:1], v[30:31], v[36:37]
	v_lshl_add_u64 v[30:31], v[14:15], 3, s[8:9]
	v_add_u32_e32 v14, 10, v16
	global_load_dwordx2 v[22:23], v[22:23], off
	s_waitcnt vmcnt(20)
	v_fmac_f64_e32 v[10:11], v[38:39], v[36:37]
	global_load_dwordx2 v[36:37], v[26:27], off
	global_load_dwordx2 v[38:39], v[30:31], off
	v_lshl_add_u64 v[26:27], v[14:15], 3, s[10:11]
	v_add_u32_e32 v14, -2, v12
	v_lshl_add_u64 v[30:31], v[14:15], 3, s[8:9]
	v_add_u32_e32 v14, -14, v12
	s_waitcnt vmcnt(20)
	v_fmac_f64_e32 v[0:1], v[40:41], v[42:43]
	v_lshl_add_u64 v[40:41], v[14:15], 3, s[8:9]
	v_add_u32_e32 v14, 11, v16
	global_load_dwordx2 v[26:27], v[26:27], off
	s_waitcnt vmcnt(20)
	v_fmac_f64_e32 v[10:11], v[44:45], v[42:43]
	;; [unrolled: 13-line block ×3, first 2 shown]
	global_load_dwordx2 v[16:17], v[40:41], off
	global_load_dwordx2 v[48:49], v[46:47], off
	v_lshl_add_u64 v[40:41], v[14:15], 3, s[10:11]
	global_load_dwordx2 v[40:41], v[40:41], off
	s_waitcnt vmcnt(21)
	v_fmac_f64_e32 v[0:1], v[52:53], v[54:55]
	s_waitcnt vmcnt(20)
	v_fmac_f64_e32 v[10:11], v[60:61], v[54:55]
	;; [unrolled: 2-line block ×4, first 2 shown]
	v_add_u32_e32 v12, 0x68, v12
	s_waitcnt vmcnt(15)
	v_fmac_f64_e32 v[0:1], v[68:69], v[32:33]
	s_waitcnt vmcnt(14)
	v_fmac_f64_e32 v[10:11], v[24:25], v[32:33]
	;; [unrolled: 2-line block ×11, first 2 shown]
	v_fmac_f64_e32 v[10:11], v[34:35], v[40:41]
	s_andn2_b64 exec, exec, s[2:3]
	s_cbranch_execnz .LBB131_15
; %bb.16:
	s_or_b64 exec, exec, s[2:3]
.LBB131_17:
	s_or_b64 exec, exec, s[4:5]
.LBB131_18:
	v_mov_b32_dpp v8, v0 row_shr:1 row_mask:0xf bank_mask:0xf
	v_mov_b32_dpp v9, v1 row_shr:1 row_mask:0xf bank_mask:0xf
	;; [unrolled: 1-line block ×4, first 2 shown]
	v_add_f64 v[0:1], v[0:1], v[8:9]
	v_add_f64 v[10:11], v[10:11], v[12:13]
	v_cmp_eq_u32_e32 vcc, 3, v7
	v_mov_b32_dpp v8, v0 row_shr:2 row_mask:0xf bank_mask:0xf
	v_mov_b32_dpp v9, v1 row_shr:2 row_mask:0xf bank_mask:0xf
	;; [unrolled: 1-line block ×4, first 2 shown]
	s_and_b64 exec, exec, vcc
	s_cbranch_execz .LBB131_23
; %bb.19:
	s_load_dwordx2 s[0:1], s[0:1], 0x38
	v_add_f64 v[8:9], v[0:1], v[8:9]
	v_add_f64 v[0:1], v[10:11], v[12:13]
	v_cmp_eq_f64_e32 vcc, 0, v[4:5]
	s_and_saveexec_b64 s[2:3], vcc
	s_xor_b64 s[2:3], exec, s[2:3]
	s_cbranch_execz .LBB131_21
; %bb.20:
	v_lshlrev_b32_e32 v6, 1, v6
	v_ashrrev_i32_e32 v7, 31, v6
	v_mul_f64 v[4:5], v[2:3], v[8:9]
	s_waitcnt lgkmcnt(0)
	v_lshl_add_u64 v[8:9], v[6:7], 3, s[0:1]
	v_mul_f64 v[6:7], v[2:3], v[0:1]
	global_store_dwordx4 v[8:9], v[4:7], off
                                        ; implicit-def: $vgpr6
                                        ; implicit-def: $vgpr2_vgpr3
                                        ; implicit-def: $vgpr8_vgpr9
                                        ; implicit-def: $vgpr4_vgpr5
                                        ; implicit-def: $vgpr0_vgpr1
.LBB131_21:
	s_andn2_saveexec_b64 s[2:3], s[2:3]
	s_cbranch_execz .LBB131_23
; %bb.22:
	v_lshlrev_b32_e32 v6, 1, v6
	v_ashrrev_i32_e32 v7, 31, v6
	s_waitcnt lgkmcnt(0)
	v_lshl_add_u64 v[14:15], v[6:7], 3, s[0:1]
	global_load_dwordx4 v[10:13], v[14:15], off
	v_mul_f64 v[6:7], v[2:3], v[8:9]
	v_mul_f64 v[8:9], v[2:3], v[0:1]
	s_waitcnt vmcnt(0)
	v_fmac_f64_e32 v[6:7], v[4:5], v[10:11]
	v_fmac_f64_e32 v[8:9], v[4:5], v[12:13]
	global_store_dwordx4 v[14:15], v[6:9], off
.LBB131_23:
	s_endpgm
	.section	.rodata,"a",@progbits
	.p2align	6, 0x0
	.amdhsa_kernel _ZN9rocsparseL19gebsrmvn_2xn_kernelILj128ELj13ELj4EdEEvi20rocsparse_direction_NS_24const_host_device_scalarIT2_EEPKiS6_PKS3_S8_S4_PS3_21rocsparse_index_base_b
		.amdhsa_group_segment_fixed_size 0
		.amdhsa_private_segment_fixed_size 0
		.amdhsa_kernarg_size 72
		.amdhsa_user_sgpr_count 2
		.amdhsa_user_sgpr_dispatch_ptr 0
		.amdhsa_user_sgpr_queue_ptr 0
		.amdhsa_user_sgpr_kernarg_segment_ptr 1
		.amdhsa_user_sgpr_dispatch_id 0
		.amdhsa_user_sgpr_kernarg_preload_length 0
		.amdhsa_user_sgpr_kernarg_preload_offset 0
		.amdhsa_user_sgpr_private_segment_size 0
		.amdhsa_uses_dynamic_stack 0
		.amdhsa_enable_private_segment 0
		.amdhsa_system_sgpr_workgroup_id_x 1
		.amdhsa_system_sgpr_workgroup_id_y 0
		.amdhsa_system_sgpr_workgroup_id_z 0
		.amdhsa_system_sgpr_workgroup_info 0
		.amdhsa_system_vgpr_workitem_id 0
		.amdhsa_next_free_vgpr 70
		.amdhsa_next_free_sgpr 18
		.amdhsa_accum_offset 72
		.amdhsa_reserve_vcc 1
		.amdhsa_float_round_mode_32 0
		.amdhsa_float_round_mode_16_64 0
		.amdhsa_float_denorm_mode_32 3
		.amdhsa_float_denorm_mode_16_64 3
		.amdhsa_dx10_clamp 1
		.amdhsa_ieee_mode 1
		.amdhsa_fp16_overflow 0
		.amdhsa_tg_split 0
		.amdhsa_exception_fp_ieee_invalid_op 0
		.amdhsa_exception_fp_denorm_src 0
		.amdhsa_exception_fp_ieee_div_zero 0
		.amdhsa_exception_fp_ieee_overflow 0
		.amdhsa_exception_fp_ieee_underflow 0
		.amdhsa_exception_fp_ieee_inexact 0
		.amdhsa_exception_int_div_zero 0
	.end_amdhsa_kernel
	.section	.text._ZN9rocsparseL19gebsrmvn_2xn_kernelILj128ELj13ELj4EdEEvi20rocsparse_direction_NS_24const_host_device_scalarIT2_EEPKiS6_PKS3_S8_S4_PS3_21rocsparse_index_base_b,"axG",@progbits,_ZN9rocsparseL19gebsrmvn_2xn_kernelILj128ELj13ELj4EdEEvi20rocsparse_direction_NS_24const_host_device_scalarIT2_EEPKiS6_PKS3_S8_S4_PS3_21rocsparse_index_base_b,comdat
.Lfunc_end131:
	.size	_ZN9rocsparseL19gebsrmvn_2xn_kernelILj128ELj13ELj4EdEEvi20rocsparse_direction_NS_24const_host_device_scalarIT2_EEPKiS6_PKS3_S8_S4_PS3_21rocsparse_index_base_b, .Lfunc_end131-_ZN9rocsparseL19gebsrmvn_2xn_kernelILj128ELj13ELj4EdEEvi20rocsparse_direction_NS_24const_host_device_scalarIT2_EEPKiS6_PKS3_S8_S4_PS3_21rocsparse_index_base_b
                                        ; -- End function
	.section	.AMDGPU.csdata,"",@progbits
; Kernel info:
; codeLenInByte = 2372
; NumSgprs: 24
; NumVgprs: 70
; NumAgprs: 0
; TotalNumVgprs: 70
; ScratchSize: 0
; MemoryBound: 0
; FloatMode: 240
; IeeeMode: 1
; LDSByteSize: 0 bytes/workgroup (compile time only)
; SGPRBlocks: 2
; VGPRBlocks: 8
; NumSGPRsForWavesPerEU: 24
; NumVGPRsForWavesPerEU: 70
; AccumOffset: 72
; Occupancy: 7
; WaveLimiterHint : 1
; COMPUTE_PGM_RSRC2:SCRATCH_EN: 0
; COMPUTE_PGM_RSRC2:USER_SGPR: 2
; COMPUTE_PGM_RSRC2:TRAP_HANDLER: 0
; COMPUTE_PGM_RSRC2:TGID_X_EN: 1
; COMPUTE_PGM_RSRC2:TGID_Y_EN: 0
; COMPUTE_PGM_RSRC2:TGID_Z_EN: 0
; COMPUTE_PGM_RSRC2:TIDIG_COMP_CNT: 0
; COMPUTE_PGM_RSRC3_GFX90A:ACCUM_OFFSET: 17
; COMPUTE_PGM_RSRC3_GFX90A:TG_SPLIT: 0
	.section	.text._ZN9rocsparseL19gebsrmvn_2xn_kernelILj128ELj13ELj8EdEEvi20rocsparse_direction_NS_24const_host_device_scalarIT2_EEPKiS6_PKS3_S8_S4_PS3_21rocsparse_index_base_b,"axG",@progbits,_ZN9rocsparseL19gebsrmvn_2xn_kernelILj128ELj13ELj8EdEEvi20rocsparse_direction_NS_24const_host_device_scalarIT2_EEPKiS6_PKS3_S8_S4_PS3_21rocsparse_index_base_b,comdat
	.globl	_ZN9rocsparseL19gebsrmvn_2xn_kernelILj128ELj13ELj8EdEEvi20rocsparse_direction_NS_24const_host_device_scalarIT2_EEPKiS6_PKS3_S8_S4_PS3_21rocsparse_index_base_b ; -- Begin function _ZN9rocsparseL19gebsrmvn_2xn_kernelILj128ELj13ELj8EdEEvi20rocsparse_direction_NS_24const_host_device_scalarIT2_EEPKiS6_PKS3_S8_S4_PS3_21rocsparse_index_base_b
	.p2align	8
	.type	_ZN9rocsparseL19gebsrmvn_2xn_kernelILj128ELj13ELj8EdEEvi20rocsparse_direction_NS_24const_host_device_scalarIT2_EEPKiS6_PKS3_S8_S4_PS3_21rocsparse_index_base_b,@function
_ZN9rocsparseL19gebsrmvn_2xn_kernelILj128ELj13ELj8EdEEvi20rocsparse_direction_NS_24const_host_device_scalarIT2_EEPKiS6_PKS3_S8_S4_PS3_21rocsparse_index_base_b: ; @_ZN9rocsparseL19gebsrmvn_2xn_kernelILj128ELj13ELj8EdEEvi20rocsparse_direction_NS_24const_host_device_scalarIT2_EEPKiS6_PKS3_S8_S4_PS3_21rocsparse_index_base_b
; %bb.0:
	s_load_dwordx2 s[12:13], s[0:1], 0x40
	s_load_dwordx2 s[8:9], s[0:1], 0x8
	;; [unrolled: 1-line block ×3, first 2 shown]
	s_waitcnt lgkmcnt(0)
	s_bitcmp1_b32 s13, 0
	s_cselect_b64 s[10:11], -1, 0
	s_xor_b64 s[6:7], s[10:11], -1
	s_and_b64 vcc, exec, s[10:11]
	v_mov_b64_e32 v[2:3], s[8:9]
	s_cbranch_vccnz .LBB132_2
; %bb.1:
	v_mov_b64_e32 v[2:3], s[8:9]
	flat_load_dwordx2 v[2:3], v[2:3]
.LBB132_2:
	s_andn2_b64 vcc, exec, s[6:7]
	v_mov_b64_e32 v[4:5], s[4:5]
	s_cbranch_vccnz .LBB132_4
; %bb.3:
	v_mov_b64_e32 v[4:5], s[4:5]
	flat_load_dwordx2 v[4:5], v[4:5]
.LBB132_4:
	s_waitcnt vmcnt(0) lgkmcnt(0)
	v_cmp_neq_f64_e32 vcc, 0, v[2:3]
	v_cmp_neq_f64_e64 s[4:5], 1.0, v[4:5]
	s_or_b64 s[4:5], vcc, s[4:5]
	s_and_saveexec_b64 s[6:7], s[4:5]
	s_cbranch_execz .LBB132_23
; %bb.5:
	s_load_dwordx2 s[14:15], s[0:1], 0x0
	v_lshrrev_b32_e32 v1, 3, v0
	v_lshl_or_b32 v6, s2, 4, v1
	s_waitcnt lgkmcnt(0)
	v_cmp_gt_i32_e32 vcc, s14, v6
	s_and_b64 exec, exec, vcc
	s_cbranch_execz .LBB132_23
; %bb.6:
	s_load_dwordx8 s[4:11], s[0:1], 0x10
	v_ashrrev_i32_e32 v7, 31, v6
	s_cmp_lg_u32 s15, 0
	s_waitcnt lgkmcnt(0)
	v_lshl_add_u64 v[8:9], v[6:7], 2, s[4:5]
	global_load_dwordx2 v[8:9], v[8:9], off
	v_and_b32_e32 v7, 7, v0
	s_waitcnt vmcnt(0)
	v_subrev_u32_e32 v0, s12, v8
	v_subrev_u32_e32 v20, s12, v9
	v_add_u32_e32 v8, v0, v7
	v_cmp_lt_i32_e64 s[2:3], v8, v20
	s_cbranch_scc0 .LBB132_12
; %bb.7:
	v_mov_b64_e32 v[0:1], 0
	s_mov_b64 s[4:5], 0
	v_mov_b64_e32 v[10:11], v[0:1]
	s_and_saveexec_b64 s[14:15], s[2:3]
	s_cbranch_execz .LBB132_11
; %bb.8:
	v_mad_u64_u32 v[12:13], s[16:17], v8, 26, 24
	v_mov_b64_e32 v[0:1], 0
	s_mov_b64 s[16:17], 0
	v_mov_b32_e32 v15, 0
	v_mov_b32_e32 v16, v8
	v_mov_b64_e32 v[10:11], v[0:1]
.LBB132_9:                              ; =>This Inner Loop Header: Depth=1
	v_ashrrev_i32_e32 v17, 31, v16
	v_subrev_u32_e32 v14, 24, v12
	v_lshl_add_u64 v[26:27], v[16:17], 2, s[6:7]
	v_lshl_add_u64 v[28:29], v[14:15], 3, s[8:9]
	global_load_dword v9, v[26:27], off
	global_load_dwordx4 v[22:25], v[28:29], off
	v_mov_b32_e32 v13, v15
	v_mov_b32_e32 v19, v15
	v_subrev_u32_e32 v14, 22, v12
	v_lshl_add_u64 v[34:35], v[12:13], 3, s[8:9]
	v_lshl_add_u64 v[36:37], v[14:15], 3, s[8:9]
	global_load_dwordx4 v[26:29], v[34:35], off
	global_load_dwordx4 v[30:33], v[36:37], off
	v_add_u32_e32 v16, 8, v16
	v_cmp_ge_i32_e32 vcc, v16, v20
	s_or_b64 s[16:17], vcc, s[16:17]
	s_waitcnt vmcnt(3)
	v_subrev_u32_e32 v9, s12, v9
	v_mul_lo_u32 v18, v9, 13
	v_lshl_add_u64 v[34:35], v[18:19], 3, s[10:11]
	v_add_u32_e32 v14, 1, v18
	global_load_dwordx2 v[50:51], v[34:35], off
	v_lshl_add_u64 v[34:35], v[14:15], 3, s[10:11]
	v_subrev_u32_e32 v14, 20, v12
	global_load_dwordx2 v[52:53], v[34:35], off
	v_lshl_add_u64 v[34:35], v[14:15], 3, s[8:9]
	v_add_u32_e32 v14, 2, v18
	v_lshl_add_u64 v[38:39], v[14:15], 3, s[10:11]
	v_subrev_u32_e32 v14, 18, v12
	global_load_dwordx4 v[34:37], v[34:35], off
	s_waitcnt vmcnt(2)
	v_fmac_f64_e32 v[0:1], v[22:23], v[50:51]
	global_load_dwordx2 v[54:55], v[38:39], off
	v_lshl_add_u64 v[38:39], v[14:15], 3, s[8:9]
	v_add_u32_e32 v14, 3, v18
	v_lshl_add_u64 v[42:43], v[14:15], 3, s[10:11]
	v_add_u32_e32 v14, -16, v12
	global_load_dwordx4 v[38:41], v[38:39], off
	v_fmac_f64_e32 v[10:11], v[24:25], v[50:51]
	global_load_dwordx2 v[56:57], v[42:43], off
	v_lshl_add_u64 v[42:43], v[14:15], 3, s[8:9]
	v_add_u32_e32 v14, 4, v18
	v_lshl_add_u64 v[46:47], v[14:15], 3, s[10:11]
	v_add_u32_e32 v14, -14, v12
	global_load_dwordx4 v[42:45], v[42:43], off
	s_waitcnt vmcnt(5)
	v_fmac_f64_e32 v[0:1], v[30:31], v[52:53]
	global_load_dwordx2 v[58:59], v[46:47], off
	v_lshl_add_u64 v[46:47], v[14:15], 3, s[8:9]
	v_add_u32_e32 v14, 5, v18
	v_lshl_add_u64 v[60:61], v[14:15], 3, s[10:11]
	global_load_dwordx4 v[46:49], v[46:47], off
	v_add_u32_e32 v14, -12, v12
	global_load_dwordx2 v[60:61], v[60:61], off
	v_lshl_add_u64 v[22:23], v[14:15], 3, s[8:9]
	v_add_u32_e32 v14, 6, v18
	v_lshl_add_u64 v[50:51], v[14:15], 3, s[10:11]
	v_add_u32_e32 v14, -10, v12
	v_lshl_add_u64 v[30:31], v[14:15], 3, s[8:9]
	v_add_u32_e32 v14, 7, v18
	v_fmac_f64_e32 v[10:11], v[32:33], v[52:53]
	v_lshl_add_u64 v[52:53], v[14:15], 3, s[10:11]
	v_add_u32_e32 v14, -8, v12
	global_load_dwordx4 v[22:25], v[22:23], off
	s_waitcnt vmcnt(7)
	v_fmac_f64_e32 v[0:1], v[34:35], v[54:55]
	global_load_dwordx4 v[30:33], v[30:31], off
	v_lshl_add_u64 v[34:35], v[14:15], 3, s[8:9]
	v_add_u32_e32 v14, 8, v18
	v_fmac_f64_e32 v[10:11], v[36:37], v[54:55]
	v_lshl_add_u64 v[54:55], v[14:15], 3, s[10:11]
	v_add_u32_e32 v14, -6, v12
	global_load_dwordx4 v[34:37], v[34:35], off
	s_waitcnt vmcnt(7)
	v_fmac_f64_e32 v[0:1], v[38:39], v[56:57]
	v_lshl_add_u64 v[38:39], v[14:15], 3, s[8:9]
	v_add_u32_e32 v14, 9, v18
	global_load_dwordx2 v[50:51], v[50:51], off
	v_fmac_f64_e32 v[10:11], v[40:41], v[56:57]
	global_load_dwordx2 v[52:53], v[52:53], off
	v_lshl_add_u64 v[56:57], v[14:15], 3, s[10:11]
	global_load_dwordx2 v[54:55], v[54:55], off
	v_add_u32_e32 v14, -4, v12
	global_load_dwordx2 v[56:57], v[56:57], off
	s_nop 0
	global_load_dwordx4 v[38:41], v[38:39], off
	s_waitcnt vmcnt(10)
	v_fmac_f64_e32 v[0:1], v[42:43], v[58:59]
	v_lshl_add_u64 v[42:43], v[14:15], 3, s[8:9]
	v_add_u32_e32 v14, 10, v18
	v_fmac_f64_e32 v[10:11], v[44:45], v[58:59]
	v_lshl_add_u64 v[58:59], v[14:15], 3, s[10:11]
	v_add_u32_e32 v14, -2, v12
	global_load_dwordx4 v[42:45], v[42:43], off
	v_add_u32_e32 v12, 0xd0, v12
	global_load_dwordx2 v[58:59], v[58:59], off
	s_waitcnt vmcnt(10)
	v_fmac_f64_e32 v[0:1], v[46:47], v[60:61]
	v_lshl_add_u64 v[46:47], v[14:15], 3, s[8:9]
	v_add_u32_e32 v14, 11, v18
	v_fmac_f64_e32 v[10:11], v[48:49], v[60:61]
	v_lshl_add_u64 v[60:61], v[14:15], 3, s[10:11]
	v_add_u32_e32 v14, 12, v18
	global_load_dwordx4 v[46:49], v[46:47], off
	s_waitcnt vmcnt(7)
	v_fmac_f64_e32 v[0:1], v[22:23], v[50:51]
	global_load_dwordx2 v[18:19], v[60:61], off
	v_lshl_add_u64 v[60:61], v[14:15], 3, s[10:11]
	global_load_dwordx2 v[60:61], v[60:61], off
	v_fmac_f64_e32 v[10:11], v[24:25], v[50:51]
	s_waitcnt vmcnt(8)
	v_fmac_f64_e32 v[0:1], v[30:31], v[52:53]
	v_fmac_f64_e32 v[10:11], v[32:33], v[52:53]
	s_waitcnt vmcnt(7)
	v_fmac_f64_e32 v[0:1], v[34:35], v[54:55]
	;; [unrolled: 3-line block ×6, first 2 shown]
	v_fmac_f64_e32 v[10:11], v[28:29], v[60:61]
	s_andn2_b64 exec, exec, s[16:17]
	s_cbranch_execnz .LBB132_9
; %bb.10:
	s_or_b64 exec, exec, s[16:17]
.LBB132_11:
	s_or_b64 exec, exec, s[14:15]
	s_andn2_b64 vcc, exec, s[4:5]
	s_cbranch_vccz .LBB132_13
	s_branch .LBB132_18
.LBB132_12:
                                        ; implicit-def: $vgpr0_vgpr1
                                        ; implicit-def: $vgpr10_vgpr11
.LBB132_13:
	v_mov_b64_e32 v[0:1], 0
	v_mov_b64_e32 v[10:11], v[0:1]
	s_and_saveexec_b64 s[4:5], s[2:3]
	s_cbranch_execz .LBB132_17
; %bb.14:
	v_mad_u64_u32 v[12:13], s[2:3], v8, 26, 25
	v_mov_b64_e32 v[0:1], 0
	s_mov_b64 s[2:3], 0
	v_mov_b32_e32 v15, 0
	v_mov_b64_e32 v[10:11], v[0:1]
.LBB132_15:                             ; =>This Inner Loop Header: Depth=1
	v_ashrrev_i32_e32 v9, 31, v8
	v_subrev_u32_e32 v14, 25, v12
	v_add_u32_e32 v18, -12, v12
	v_mov_b32_e32 v19, v15
	v_mov_b32_e32 v13, v15
	v_lshl_add_u64 v[26:27], v[8:9], 2, s[6:7]
	v_lshl_add_u64 v[28:29], v[14:15], 3, s[8:9]
	;; [unrolled: 1-line block ×4, first 2 shown]
	global_load_dword v9, v[26:27], off
	global_load_dwordx4 v[22:25], v[28:29], off
	global_load_dwordx2 v[32:33], v[18:19], off
	global_load_dwordx2 v[34:35], v[30:31], off
	v_mov_b32_e32 v17, v15
	v_add_u32_e32 v8, 8, v8
	v_cmp_ge_i32_e32 vcc, v8, v20
	s_or_b64 s[2:3], vcc, s[2:3]
	s_waitcnt vmcnt(3)
	v_subrev_u32_e32 v9, s12, v9
	v_mul_lo_u32 v16, v9, 13
	v_lshl_add_u64 v[18:19], v[16:17], 3, s[10:11]
	global_load_dwordx2 v[18:19], v[18:19], off
	v_add_u32_e32 v14, 1, v16
	v_lshl_add_u64 v[26:27], v[14:15], 3, s[10:11]
	global_load_dwordx2 v[26:27], v[26:27], off
	v_add_u32_e32 v14, -11, v12
	v_lshl_add_u64 v[28:29], v[14:15], 3, s[8:9]
	v_subrev_u32_e32 v14, 23, v12
	global_load_dwordx2 v[28:29], v[28:29], off
	v_lshl_add_u64 v[30:31], v[14:15], 3, s[8:9]
	global_load_dwordx2 v[30:31], v[30:31], off
	v_add_u32_e32 v14, 2, v16
	v_lshl_add_u64 v[36:37], v[14:15], 3, s[10:11]
	v_add_u32_e32 v14, -10, v12
	global_load_dwordx2 v[36:37], v[36:37], off
	v_lshl_add_u64 v[38:39], v[14:15], 3, s[8:9]
	v_subrev_u32_e32 v14, 22, v12
	global_load_dwordx2 v[38:39], v[38:39], off
	v_lshl_add_u64 v[40:41], v[14:15], 3, s[8:9]
	global_load_dwordx2 v[40:41], v[40:41], off
	v_add_u32_e32 v14, 3, v16
	v_lshl_add_u64 v[42:43], v[14:15], 3, s[10:11]
	v_add_u32_e32 v14, -9, v12
	global_load_dwordx2 v[42:43], v[42:43], off
	;; [unrolled: 9-line block ×3, first 2 shown]
	v_lshl_add_u64 v[50:51], v[14:15], 3, s[8:9]
	global_load_dwordx2 v[50:51], v[50:51], off
	v_subrev_u32_e32 v14, 20, v12
	v_lshl_add_u64 v[52:53], v[14:15], 3, s[8:9]
	global_load_dwordx2 v[52:53], v[52:53], off
	v_add_u32_e32 v14, 5, v16
	v_lshl_add_u64 v[54:55], v[14:15], 3, s[10:11]
	v_add_u32_e32 v14, -7, v12
	v_lshl_add_u64 v[56:57], v[14:15], 3, s[8:9]
	v_subrev_u32_e32 v14, 19, v12
	v_lshl_add_u64 v[58:59], v[14:15], 3, s[8:9]
	v_add_u32_e32 v14, 6, v16
	global_load_dwordx2 v[54:55], v[54:55], off
	s_nop 0
	global_load_dwordx2 v[60:61], v[56:57], off
	global_load_dwordx2 v[62:63], v[58:59], off
	v_lshl_add_u64 v[56:57], v[14:15], 3, s[10:11]
	v_add_u32_e32 v14, -6, v12
	v_lshl_add_u64 v[58:59], v[14:15], 3, s[8:9]
	v_subrev_u32_e32 v14, 18, v12
	v_lshl_add_u64 v[64:65], v[14:15], 3, s[8:9]
	v_add_u32_e32 v14, 7, v16
	global_load_dwordx2 v[56:57], v[56:57], off
	s_nop 0
	global_load_dwordx2 v[66:67], v[58:59], off
	global_load_dwordx2 v[68:69], v[64:65], off
	s_waitcnt vmcnt(18)
	v_fmac_f64_e32 v[10:11], v[32:33], v[18:19]
	v_lshl_add_u64 v[32:33], v[14:15], 3, s[10:11]
	v_add_u32_e32 v14, -5, v12
	v_fmac_f64_e32 v[0:1], v[22:23], v[18:19]
	v_lshl_add_u64 v[18:19], v[14:15], 3, s[8:9]
	v_subrev_u32_e32 v14, 17, v12
	v_lshl_add_u64 v[22:23], v[14:15], 3, s[8:9]
	v_add_u32_e32 v14, 8, v16
	global_load_dwordx2 v[32:33], v[32:33], off
	s_waitcnt vmcnt(18)
	v_fmac_f64_e32 v[0:1], v[24:25], v[26:27]
	global_load_dwordx2 v[24:25], v[18:19], off
	global_load_dwordx2 v[58:59], v[22:23], off
	v_lshl_add_u64 v[18:19], v[14:15], 3, s[10:11]
	v_add_u32_e32 v14, -4, v12
	v_lshl_add_u64 v[22:23], v[14:15], 3, s[8:9]
	v_add_u32_e32 v14, -16, v12
	s_waitcnt vmcnt(19)
	v_fmac_f64_e32 v[10:11], v[28:29], v[26:27]
	v_lshl_add_u64 v[26:27], v[14:15], 3, s[8:9]
	v_add_u32_e32 v14, 9, v16
	global_load_dwordx2 v[18:19], v[18:19], off
	s_nop 0
	global_load_dwordx2 v[28:29], v[22:23], off
	global_load_dwordx2 v[64:65], v[26:27], off
	v_lshl_add_u64 v[22:23], v[14:15], 3, s[10:11]
	v_add_u32_e32 v14, -3, v12
	v_lshl_add_u64 v[26:27], v[14:15], 3, s[8:9]
	v_add_u32_e32 v14, -15, v12
	s_waitcnt vmcnt(20)
	v_fmac_f64_e32 v[0:1], v[30:31], v[36:37]
	v_lshl_add_u64 v[30:31], v[14:15], 3, s[8:9]
	v_add_u32_e32 v14, 10, v16
	global_load_dwordx2 v[22:23], v[22:23], off
	s_waitcnt vmcnt(20)
	v_fmac_f64_e32 v[10:11], v[38:39], v[36:37]
	global_load_dwordx2 v[36:37], v[26:27], off
	global_load_dwordx2 v[38:39], v[30:31], off
	v_lshl_add_u64 v[26:27], v[14:15], 3, s[10:11]
	v_add_u32_e32 v14, -2, v12
	v_lshl_add_u64 v[30:31], v[14:15], 3, s[8:9]
	v_add_u32_e32 v14, -14, v12
	s_waitcnt vmcnt(20)
	v_fmac_f64_e32 v[0:1], v[40:41], v[42:43]
	v_lshl_add_u64 v[40:41], v[14:15], 3, s[8:9]
	v_add_u32_e32 v14, 11, v16
	global_load_dwordx2 v[26:27], v[26:27], off
	s_waitcnt vmcnt(20)
	v_fmac_f64_e32 v[10:11], v[44:45], v[42:43]
	;; [unrolled: 13-line block ×3, first 2 shown]
	global_load_dwordx2 v[16:17], v[40:41], off
	global_load_dwordx2 v[48:49], v[46:47], off
	v_lshl_add_u64 v[40:41], v[14:15], 3, s[10:11]
	global_load_dwordx2 v[40:41], v[40:41], off
	s_waitcnt vmcnt(21)
	v_fmac_f64_e32 v[0:1], v[52:53], v[54:55]
	s_waitcnt vmcnt(20)
	v_fmac_f64_e32 v[10:11], v[60:61], v[54:55]
	;; [unrolled: 2-line block ×4, first 2 shown]
	v_add_u32_e32 v12, 0xd0, v12
	s_waitcnt vmcnt(15)
	v_fmac_f64_e32 v[0:1], v[68:69], v[32:33]
	s_waitcnt vmcnt(14)
	v_fmac_f64_e32 v[10:11], v[24:25], v[32:33]
	;; [unrolled: 2-line block ×11, first 2 shown]
	v_fmac_f64_e32 v[10:11], v[34:35], v[40:41]
	s_andn2_b64 exec, exec, s[2:3]
	s_cbranch_execnz .LBB132_15
; %bb.16:
	s_or_b64 exec, exec, s[2:3]
.LBB132_17:
	s_or_b64 exec, exec, s[4:5]
.LBB132_18:
	v_mov_b32_dpp v8, v0 row_shr:1 row_mask:0xf bank_mask:0xf
	v_mov_b32_dpp v9, v1 row_shr:1 row_mask:0xf bank_mask:0xf
	;; [unrolled: 1-line block ×4, first 2 shown]
	v_add_f64 v[0:1], v[0:1], v[8:9]
	v_add_f64 v[10:11], v[10:11], v[12:13]
	v_cmp_eq_u32_e32 vcc, 7, v7
	v_mov_b32_dpp v8, v0 row_shr:2 row_mask:0xf bank_mask:0xf
	v_mov_b32_dpp v9, v1 row_shr:2 row_mask:0xf bank_mask:0xf
	;; [unrolled: 1-line block ×4, first 2 shown]
	v_add_f64 v[0:1], v[0:1], v[8:9]
	v_add_f64 v[10:11], v[10:11], v[12:13]
	s_nop 0
	v_mov_b32_dpp v8, v0 row_shr:4 row_mask:0xf bank_mask:0xe
	v_mov_b32_dpp v9, v1 row_shr:4 row_mask:0xf bank_mask:0xe
	;; [unrolled: 1-line block ×4, first 2 shown]
	s_and_b64 exec, exec, vcc
	s_cbranch_execz .LBB132_23
; %bb.19:
	s_load_dwordx2 s[0:1], s[0:1], 0x38
	v_add_f64 v[8:9], v[0:1], v[8:9]
	v_add_f64 v[0:1], v[10:11], v[12:13]
	v_cmp_eq_f64_e32 vcc, 0, v[4:5]
	s_and_saveexec_b64 s[2:3], vcc
	s_xor_b64 s[2:3], exec, s[2:3]
	s_cbranch_execz .LBB132_21
; %bb.20:
	v_lshlrev_b32_e32 v6, 1, v6
	v_ashrrev_i32_e32 v7, 31, v6
	v_mul_f64 v[4:5], v[2:3], v[8:9]
	s_waitcnt lgkmcnt(0)
	v_lshl_add_u64 v[8:9], v[6:7], 3, s[0:1]
	v_mul_f64 v[6:7], v[2:3], v[0:1]
	global_store_dwordx4 v[8:9], v[4:7], off
                                        ; implicit-def: $vgpr6
                                        ; implicit-def: $vgpr2_vgpr3
                                        ; implicit-def: $vgpr8_vgpr9
                                        ; implicit-def: $vgpr4_vgpr5
                                        ; implicit-def: $vgpr0_vgpr1
.LBB132_21:
	s_andn2_saveexec_b64 s[2:3], s[2:3]
	s_cbranch_execz .LBB132_23
; %bb.22:
	v_lshlrev_b32_e32 v6, 1, v6
	v_ashrrev_i32_e32 v7, 31, v6
	s_waitcnt lgkmcnt(0)
	v_lshl_add_u64 v[14:15], v[6:7], 3, s[0:1]
	global_load_dwordx4 v[10:13], v[14:15], off
	v_mul_f64 v[6:7], v[2:3], v[8:9]
	v_mul_f64 v[8:9], v[2:3], v[0:1]
	s_waitcnt vmcnt(0)
	v_fmac_f64_e32 v[6:7], v[4:5], v[10:11]
	v_fmac_f64_e32 v[8:9], v[4:5], v[12:13]
	global_store_dwordx4 v[14:15], v[6:9], off
.LBB132_23:
	s_endpgm
	.section	.rodata,"a",@progbits
	.p2align	6, 0x0
	.amdhsa_kernel _ZN9rocsparseL19gebsrmvn_2xn_kernelILj128ELj13ELj8EdEEvi20rocsparse_direction_NS_24const_host_device_scalarIT2_EEPKiS6_PKS3_S8_S4_PS3_21rocsparse_index_base_b
		.amdhsa_group_segment_fixed_size 0
		.amdhsa_private_segment_fixed_size 0
		.amdhsa_kernarg_size 72
		.amdhsa_user_sgpr_count 2
		.amdhsa_user_sgpr_dispatch_ptr 0
		.amdhsa_user_sgpr_queue_ptr 0
		.amdhsa_user_sgpr_kernarg_segment_ptr 1
		.amdhsa_user_sgpr_dispatch_id 0
		.amdhsa_user_sgpr_kernarg_preload_length 0
		.amdhsa_user_sgpr_kernarg_preload_offset 0
		.amdhsa_user_sgpr_private_segment_size 0
		.amdhsa_uses_dynamic_stack 0
		.amdhsa_enable_private_segment 0
		.amdhsa_system_sgpr_workgroup_id_x 1
		.amdhsa_system_sgpr_workgroup_id_y 0
		.amdhsa_system_sgpr_workgroup_id_z 0
		.amdhsa_system_sgpr_workgroup_info 0
		.amdhsa_system_vgpr_workitem_id 0
		.amdhsa_next_free_vgpr 70
		.amdhsa_next_free_sgpr 18
		.amdhsa_accum_offset 72
		.amdhsa_reserve_vcc 1
		.amdhsa_float_round_mode_32 0
		.amdhsa_float_round_mode_16_64 0
		.amdhsa_float_denorm_mode_32 3
		.amdhsa_float_denorm_mode_16_64 3
		.amdhsa_dx10_clamp 1
		.amdhsa_ieee_mode 1
		.amdhsa_fp16_overflow 0
		.amdhsa_tg_split 0
		.amdhsa_exception_fp_ieee_invalid_op 0
		.amdhsa_exception_fp_denorm_src 0
		.amdhsa_exception_fp_ieee_div_zero 0
		.amdhsa_exception_fp_ieee_overflow 0
		.amdhsa_exception_fp_ieee_underflow 0
		.amdhsa_exception_fp_ieee_inexact 0
		.amdhsa_exception_int_div_zero 0
	.end_amdhsa_kernel
	.section	.text._ZN9rocsparseL19gebsrmvn_2xn_kernelILj128ELj13ELj8EdEEvi20rocsparse_direction_NS_24const_host_device_scalarIT2_EEPKiS6_PKS3_S8_S4_PS3_21rocsparse_index_base_b,"axG",@progbits,_ZN9rocsparseL19gebsrmvn_2xn_kernelILj128ELj13ELj8EdEEvi20rocsparse_direction_NS_24const_host_device_scalarIT2_EEPKiS6_PKS3_S8_S4_PS3_21rocsparse_index_base_b,comdat
.Lfunc_end132:
	.size	_ZN9rocsparseL19gebsrmvn_2xn_kernelILj128ELj13ELj8EdEEvi20rocsparse_direction_NS_24const_host_device_scalarIT2_EEPKiS6_PKS3_S8_S4_PS3_21rocsparse_index_base_b, .Lfunc_end132-_ZN9rocsparseL19gebsrmvn_2xn_kernelILj128ELj13ELj8EdEEvi20rocsparse_direction_NS_24const_host_device_scalarIT2_EEPKiS6_PKS3_S8_S4_PS3_21rocsparse_index_base_b
                                        ; -- End function
	.section	.AMDGPU.csdata,"",@progbits
; Kernel info:
; codeLenInByte = 2424
; NumSgprs: 24
; NumVgprs: 70
; NumAgprs: 0
; TotalNumVgprs: 70
; ScratchSize: 0
; MemoryBound: 0
; FloatMode: 240
; IeeeMode: 1
; LDSByteSize: 0 bytes/workgroup (compile time only)
; SGPRBlocks: 2
; VGPRBlocks: 8
; NumSGPRsForWavesPerEU: 24
; NumVGPRsForWavesPerEU: 70
; AccumOffset: 72
; Occupancy: 7
; WaveLimiterHint : 1
; COMPUTE_PGM_RSRC2:SCRATCH_EN: 0
; COMPUTE_PGM_RSRC2:USER_SGPR: 2
; COMPUTE_PGM_RSRC2:TRAP_HANDLER: 0
; COMPUTE_PGM_RSRC2:TGID_X_EN: 1
; COMPUTE_PGM_RSRC2:TGID_Y_EN: 0
; COMPUTE_PGM_RSRC2:TGID_Z_EN: 0
; COMPUTE_PGM_RSRC2:TIDIG_COMP_CNT: 0
; COMPUTE_PGM_RSRC3_GFX90A:ACCUM_OFFSET: 17
; COMPUTE_PGM_RSRC3_GFX90A:TG_SPLIT: 0
	.section	.text._ZN9rocsparseL19gebsrmvn_2xn_kernelILj128ELj13ELj16EdEEvi20rocsparse_direction_NS_24const_host_device_scalarIT2_EEPKiS6_PKS3_S8_S4_PS3_21rocsparse_index_base_b,"axG",@progbits,_ZN9rocsparseL19gebsrmvn_2xn_kernelILj128ELj13ELj16EdEEvi20rocsparse_direction_NS_24const_host_device_scalarIT2_EEPKiS6_PKS3_S8_S4_PS3_21rocsparse_index_base_b,comdat
	.globl	_ZN9rocsparseL19gebsrmvn_2xn_kernelILj128ELj13ELj16EdEEvi20rocsparse_direction_NS_24const_host_device_scalarIT2_EEPKiS6_PKS3_S8_S4_PS3_21rocsparse_index_base_b ; -- Begin function _ZN9rocsparseL19gebsrmvn_2xn_kernelILj128ELj13ELj16EdEEvi20rocsparse_direction_NS_24const_host_device_scalarIT2_EEPKiS6_PKS3_S8_S4_PS3_21rocsparse_index_base_b
	.p2align	8
	.type	_ZN9rocsparseL19gebsrmvn_2xn_kernelILj128ELj13ELj16EdEEvi20rocsparse_direction_NS_24const_host_device_scalarIT2_EEPKiS6_PKS3_S8_S4_PS3_21rocsparse_index_base_b,@function
_ZN9rocsparseL19gebsrmvn_2xn_kernelILj128ELj13ELj16EdEEvi20rocsparse_direction_NS_24const_host_device_scalarIT2_EEPKiS6_PKS3_S8_S4_PS3_21rocsparse_index_base_b: ; @_ZN9rocsparseL19gebsrmvn_2xn_kernelILj128ELj13ELj16EdEEvi20rocsparse_direction_NS_24const_host_device_scalarIT2_EEPKiS6_PKS3_S8_S4_PS3_21rocsparse_index_base_b
; %bb.0:
	s_load_dwordx2 s[12:13], s[0:1], 0x40
	s_load_dwordx2 s[8:9], s[0:1], 0x8
	s_load_dwordx2 s[4:5], s[0:1], 0x30
	s_waitcnt lgkmcnt(0)
	s_bitcmp1_b32 s13, 0
	s_cselect_b64 s[10:11], -1, 0
	s_xor_b64 s[6:7], s[10:11], -1
	s_and_b64 vcc, exec, s[10:11]
	v_mov_b64_e32 v[2:3], s[8:9]
	s_cbranch_vccnz .LBB133_2
; %bb.1:
	v_mov_b64_e32 v[2:3], s[8:9]
	flat_load_dwordx2 v[2:3], v[2:3]
.LBB133_2:
	s_andn2_b64 vcc, exec, s[6:7]
	v_mov_b64_e32 v[4:5], s[4:5]
	s_cbranch_vccnz .LBB133_4
; %bb.3:
	v_mov_b64_e32 v[4:5], s[4:5]
	flat_load_dwordx2 v[4:5], v[4:5]
.LBB133_4:
	s_waitcnt vmcnt(0) lgkmcnt(0)
	v_cmp_neq_f64_e32 vcc, 0, v[2:3]
	v_cmp_neq_f64_e64 s[4:5], 1.0, v[4:5]
	s_or_b64 s[4:5], vcc, s[4:5]
	s_and_saveexec_b64 s[6:7], s[4:5]
	s_cbranch_execz .LBB133_23
; %bb.5:
	s_load_dwordx2 s[14:15], s[0:1], 0x0
	v_lshrrev_b32_e32 v1, 4, v0
	v_lshl_or_b32 v6, s2, 3, v1
	s_waitcnt lgkmcnt(0)
	v_cmp_gt_i32_e32 vcc, s14, v6
	s_and_b64 exec, exec, vcc
	s_cbranch_execz .LBB133_23
; %bb.6:
	s_load_dwordx8 s[4:11], s[0:1], 0x10
	v_ashrrev_i32_e32 v7, 31, v6
	s_cmp_lg_u32 s15, 0
	s_waitcnt lgkmcnt(0)
	v_lshl_add_u64 v[8:9], v[6:7], 2, s[4:5]
	global_load_dwordx2 v[8:9], v[8:9], off
	v_and_b32_e32 v7, 15, v0
	s_waitcnt vmcnt(0)
	v_subrev_u32_e32 v0, s12, v8
	v_subrev_u32_e32 v20, s12, v9
	v_add_u32_e32 v10, v0, v7
	v_cmp_lt_i32_e64 s[2:3], v10, v20
	s_cbranch_scc0 .LBB133_12
; %bb.7:
	v_mov_b64_e32 v[0:1], 0
	s_mov_b64 s[4:5], 0
	v_mov_b64_e32 v[8:9], v[0:1]
	s_and_saveexec_b64 s[14:15], s[2:3]
	s_cbranch_execz .LBB133_11
; %bb.8:
	v_mad_u64_u32 v[12:13], s[16:17], v10, 26, 24
	v_mov_b64_e32 v[0:1], 0
	s_mov_b64 s[16:17], 0
	v_mov_b32_e32 v15, 0
	v_mov_b32_e32 v16, v10
	v_mov_b64_e32 v[8:9], v[0:1]
.LBB133_9:                              ; =>This Inner Loop Header: Depth=1
	v_ashrrev_i32_e32 v17, 31, v16
	v_subrev_u32_e32 v14, 24, v12
	v_lshl_add_u64 v[26:27], v[16:17], 2, s[6:7]
	v_lshl_add_u64 v[28:29], v[14:15], 3, s[8:9]
	global_load_dword v11, v[26:27], off
	global_load_dwordx4 v[22:25], v[28:29], off
	v_mov_b32_e32 v13, v15
	v_mov_b32_e32 v19, v15
	v_subrev_u32_e32 v14, 22, v12
	v_lshl_add_u64 v[34:35], v[12:13], 3, s[8:9]
	v_lshl_add_u64 v[36:37], v[14:15], 3, s[8:9]
	global_load_dwordx4 v[26:29], v[34:35], off
	global_load_dwordx4 v[30:33], v[36:37], off
	v_add_u32_e32 v16, 16, v16
	v_cmp_ge_i32_e32 vcc, v16, v20
	s_or_b64 s[16:17], vcc, s[16:17]
	s_waitcnt vmcnt(3)
	v_subrev_u32_e32 v11, s12, v11
	v_mul_lo_u32 v18, v11, 13
	v_lshl_add_u64 v[34:35], v[18:19], 3, s[10:11]
	v_add_u32_e32 v14, 1, v18
	global_load_dwordx2 v[50:51], v[34:35], off
	v_lshl_add_u64 v[34:35], v[14:15], 3, s[10:11]
	v_subrev_u32_e32 v14, 20, v12
	global_load_dwordx2 v[52:53], v[34:35], off
	v_lshl_add_u64 v[34:35], v[14:15], 3, s[8:9]
	v_add_u32_e32 v14, 2, v18
	v_lshl_add_u64 v[38:39], v[14:15], 3, s[10:11]
	v_subrev_u32_e32 v14, 18, v12
	global_load_dwordx4 v[34:37], v[34:35], off
	s_waitcnt vmcnt(2)
	v_fmac_f64_e32 v[0:1], v[22:23], v[50:51]
	global_load_dwordx2 v[54:55], v[38:39], off
	v_lshl_add_u64 v[38:39], v[14:15], 3, s[8:9]
	v_add_u32_e32 v14, 3, v18
	v_lshl_add_u64 v[42:43], v[14:15], 3, s[10:11]
	v_add_u32_e32 v14, -16, v12
	global_load_dwordx4 v[38:41], v[38:39], off
	v_fmac_f64_e32 v[8:9], v[24:25], v[50:51]
	global_load_dwordx2 v[56:57], v[42:43], off
	v_lshl_add_u64 v[42:43], v[14:15], 3, s[8:9]
	v_add_u32_e32 v14, 4, v18
	v_lshl_add_u64 v[46:47], v[14:15], 3, s[10:11]
	v_add_u32_e32 v14, -14, v12
	global_load_dwordx4 v[42:45], v[42:43], off
	s_waitcnt vmcnt(5)
	v_fmac_f64_e32 v[0:1], v[30:31], v[52:53]
	global_load_dwordx2 v[58:59], v[46:47], off
	v_lshl_add_u64 v[46:47], v[14:15], 3, s[8:9]
	v_add_u32_e32 v14, 5, v18
	v_lshl_add_u64 v[60:61], v[14:15], 3, s[10:11]
	global_load_dwordx4 v[46:49], v[46:47], off
	v_add_u32_e32 v14, -12, v12
	global_load_dwordx2 v[60:61], v[60:61], off
	v_lshl_add_u64 v[22:23], v[14:15], 3, s[8:9]
	v_add_u32_e32 v14, 6, v18
	v_lshl_add_u64 v[50:51], v[14:15], 3, s[10:11]
	v_add_u32_e32 v14, -10, v12
	v_lshl_add_u64 v[30:31], v[14:15], 3, s[8:9]
	v_add_u32_e32 v14, 7, v18
	v_fmac_f64_e32 v[8:9], v[32:33], v[52:53]
	v_lshl_add_u64 v[52:53], v[14:15], 3, s[10:11]
	v_add_u32_e32 v14, -8, v12
	global_load_dwordx4 v[22:25], v[22:23], off
	s_waitcnt vmcnt(7)
	v_fmac_f64_e32 v[0:1], v[34:35], v[54:55]
	global_load_dwordx4 v[30:33], v[30:31], off
	v_lshl_add_u64 v[34:35], v[14:15], 3, s[8:9]
	v_add_u32_e32 v14, 8, v18
	v_fmac_f64_e32 v[8:9], v[36:37], v[54:55]
	v_lshl_add_u64 v[54:55], v[14:15], 3, s[10:11]
	v_add_u32_e32 v14, -6, v12
	global_load_dwordx4 v[34:37], v[34:35], off
	s_waitcnt vmcnt(7)
	v_fmac_f64_e32 v[0:1], v[38:39], v[56:57]
	v_lshl_add_u64 v[38:39], v[14:15], 3, s[8:9]
	v_add_u32_e32 v14, 9, v18
	global_load_dwordx2 v[50:51], v[50:51], off
	v_fmac_f64_e32 v[8:9], v[40:41], v[56:57]
	global_load_dwordx2 v[52:53], v[52:53], off
	v_lshl_add_u64 v[56:57], v[14:15], 3, s[10:11]
	global_load_dwordx2 v[54:55], v[54:55], off
	v_add_u32_e32 v14, -4, v12
	global_load_dwordx2 v[56:57], v[56:57], off
	s_nop 0
	global_load_dwordx4 v[38:41], v[38:39], off
	s_waitcnt vmcnt(10)
	v_fmac_f64_e32 v[0:1], v[42:43], v[58:59]
	v_lshl_add_u64 v[42:43], v[14:15], 3, s[8:9]
	v_add_u32_e32 v14, 10, v18
	v_fmac_f64_e32 v[8:9], v[44:45], v[58:59]
	v_lshl_add_u64 v[58:59], v[14:15], 3, s[10:11]
	v_add_u32_e32 v14, -2, v12
	global_load_dwordx4 v[42:45], v[42:43], off
	v_add_u32_e32 v12, 0x1a0, v12
	global_load_dwordx2 v[58:59], v[58:59], off
	s_waitcnt vmcnt(10)
	v_fmac_f64_e32 v[0:1], v[46:47], v[60:61]
	v_lshl_add_u64 v[46:47], v[14:15], 3, s[8:9]
	v_add_u32_e32 v14, 11, v18
	v_fmac_f64_e32 v[8:9], v[48:49], v[60:61]
	v_lshl_add_u64 v[60:61], v[14:15], 3, s[10:11]
	v_add_u32_e32 v14, 12, v18
	global_load_dwordx4 v[46:49], v[46:47], off
	s_waitcnt vmcnt(7)
	v_fmac_f64_e32 v[0:1], v[22:23], v[50:51]
	global_load_dwordx2 v[18:19], v[60:61], off
	v_lshl_add_u64 v[60:61], v[14:15], 3, s[10:11]
	global_load_dwordx2 v[60:61], v[60:61], off
	v_fmac_f64_e32 v[8:9], v[24:25], v[50:51]
	s_waitcnt vmcnt(8)
	v_fmac_f64_e32 v[0:1], v[30:31], v[52:53]
	v_fmac_f64_e32 v[8:9], v[32:33], v[52:53]
	s_waitcnt vmcnt(7)
	v_fmac_f64_e32 v[0:1], v[34:35], v[54:55]
	;; [unrolled: 3-line block ×6, first 2 shown]
	v_fmac_f64_e32 v[8:9], v[28:29], v[60:61]
	s_andn2_b64 exec, exec, s[16:17]
	s_cbranch_execnz .LBB133_9
; %bb.10:
	s_or_b64 exec, exec, s[16:17]
.LBB133_11:
	s_or_b64 exec, exec, s[14:15]
	s_andn2_b64 vcc, exec, s[4:5]
	s_cbranch_vccz .LBB133_13
	s_branch .LBB133_18
.LBB133_12:
                                        ; implicit-def: $vgpr0_vgpr1
                                        ; implicit-def: $vgpr8_vgpr9
.LBB133_13:
	v_mov_b64_e32 v[0:1], 0
	v_mov_b64_e32 v[8:9], v[0:1]
	s_and_saveexec_b64 s[4:5], s[2:3]
	s_cbranch_execz .LBB133_17
; %bb.14:
	v_mad_u64_u32 v[12:13], s[2:3], v10, 26, 25
	v_mov_b64_e32 v[0:1], 0
	s_mov_b64 s[2:3], 0
	v_mov_b32_e32 v15, 0
	v_mov_b64_e32 v[8:9], v[0:1]
.LBB133_15:                             ; =>This Inner Loop Header: Depth=1
	v_ashrrev_i32_e32 v11, 31, v10
	v_subrev_u32_e32 v14, 25, v12
	v_add_u32_e32 v18, -12, v12
	v_mov_b32_e32 v19, v15
	v_mov_b32_e32 v13, v15
	v_lshl_add_u64 v[26:27], v[10:11], 2, s[6:7]
	v_lshl_add_u64 v[28:29], v[14:15], 3, s[8:9]
	;; [unrolled: 1-line block ×4, first 2 shown]
	global_load_dword v11, v[26:27], off
	global_load_dwordx4 v[22:25], v[28:29], off
	global_load_dwordx2 v[32:33], v[18:19], off
	global_load_dwordx2 v[34:35], v[30:31], off
	v_mov_b32_e32 v17, v15
	v_add_u32_e32 v10, 16, v10
	v_cmp_ge_i32_e32 vcc, v10, v20
	s_or_b64 s[2:3], vcc, s[2:3]
	s_waitcnt vmcnt(3)
	v_subrev_u32_e32 v11, s12, v11
	v_mul_lo_u32 v16, v11, 13
	v_lshl_add_u64 v[18:19], v[16:17], 3, s[10:11]
	global_load_dwordx2 v[18:19], v[18:19], off
	v_add_u32_e32 v14, 1, v16
	v_lshl_add_u64 v[26:27], v[14:15], 3, s[10:11]
	global_load_dwordx2 v[26:27], v[26:27], off
	v_add_u32_e32 v14, -11, v12
	v_lshl_add_u64 v[28:29], v[14:15], 3, s[8:9]
	v_subrev_u32_e32 v14, 23, v12
	global_load_dwordx2 v[28:29], v[28:29], off
	v_lshl_add_u64 v[30:31], v[14:15], 3, s[8:9]
	global_load_dwordx2 v[30:31], v[30:31], off
	v_add_u32_e32 v14, 2, v16
	v_lshl_add_u64 v[36:37], v[14:15], 3, s[10:11]
	v_add_u32_e32 v14, -10, v12
	global_load_dwordx2 v[36:37], v[36:37], off
	v_lshl_add_u64 v[38:39], v[14:15], 3, s[8:9]
	v_subrev_u32_e32 v14, 22, v12
	global_load_dwordx2 v[38:39], v[38:39], off
	v_lshl_add_u64 v[40:41], v[14:15], 3, s[8:9]
	global_load_dwordx2 v[40:41], v[40:41], off
	v_add_u32_e32 v14, 3, v16
	v_lshl_add_u64 v[42:43], v[14:15], 3, s[10:11]
	v_add_u32_e32 v14, -9, v12
	global_load_dwordx2 v[42:43], v[42:43], off
	;; [unrolled: 9-line block ×3, first 2 shown]
	v_lshl_add_u64 v[50:51], v[14:15], 3, s[8:9]
	global_load_dwordx2 v[50:51], v[50:51], off
	v_subrev_u32_e32 v14, 20, v12
	v_lshl_add_u64 v[52:53], v[14:15], 3, s[8:9]
	global_load_dwordx2 v[52:53], v[52:53], off
	v_add_u32_e32 v14, 5, v16
	v_lshl_add_u64 v[54:55], v[14:15], 3, s[10:11]
	v_add_u32_e32 v14, -7, v12
	v_lshl_add_u64 v[56:57], v[14:15], 3, s[8:9]
	v_subrev_u32_e32 v14, 19, v12
	v_lshl_add_u64 v[58:59], v[14:15], 3, s[8:9]
	v_add_u32_e32 v14, 6, v16
	global_load_dwordx2 v[54:55], v[54:55], off
	s_nop 0
	global_load_dwordx2 v[60:61], v[56:57], off
	global_load_dwordx2 v[62:63], v[58:59], off
	v_lshl_add_u64 v[56:57], v[14:15], 3, s[10:11]
	v_add_u32_e32 v14, -6, v12
	v_lshl_add_u64 v[58:59], v[14:15], 3, s[8:9]
	v_subrev_u32_e32 v14, 18, v12
	v_lshl_add_u64 v[64:65], v[14:15], 3, s[8:9]
	v_add_u32_e32 v14, 7, v16
	global_load_dwordx2 v[56:57], v[56:57], off
	s_nop 0
	global_load_dwordx2 v[66:67], v[58:59], off
	global_load_dwordx2 v[68:69], v[64:65], off
	s_waitcnt vmcnt(18)
	v_fmac_f64_e32 v[8:9], v[32:33], v[18:19]
	v_lshl_add_u64 v[32:33], v[14:15], 3, s[10:11]
	v_add_u32_e32 v14, -5, v12
	v_fmac_f64_e32 v[0:1], v[22:23], v[18:19]
	v_lshl_add_u64 v[18:19], v[14:15], 3, s[8:9]
	v_subrev_u32_e32 v14, 17, v12
	v_lshl_add_u64 v[22:23], v[14:15], 3, s[8:9]
	v_add_u32_e32 v14, 8, v16
	global_load_dwordx2 v[32:33], v[32:33], off
	s_waitcnt vmcnt(18)
	v_fmac_f64_e32 v[0:1], v[24:25], v[26:27]
	global_load_dwordx2 v[24:25], v[18:19], off
	global_load_dwordx2 v[58:59], v[22:23], off
	v_lshl_add_u64 v[18:19], v[14:15], 3, s[10:11]
	v_add_u32_e32 v14, -4, v12
	v_lshl_add_u64 v[22:23], v[14:15], 3, s[8:9]
	v_add_u32_e32 v14, -16, v12
	s_waitcnt vmcnt(19)
	v_fmac_f64_e32 v[8:9], v[28:29], v[26:27]
	v_lshl_add_u64 v[26:27], v[14:15], 3, s[8:9]
	v_add_u32_e32 v14, 9, v16
	global_load_dwordx2 v[18:19], v[18:19], off
	s_nop 0
	global_load_dwordx2 v[28:29], v[22:23], off
	global_load_dwordx2 v[64:65], v[26:27], off
	v_lshl_add_u64 v[22:23], v[14:15], 3, s[10:11]
	v_add_u32_e32 v14, -3, v12
	v_lshl_add_u64 v[26:27], v[14:15], 3, s[8:9]
	v_add_u32_e32 v14, -15, v12
	s_waitcnt vmcnt(20)
	v_fmac_f64_e32 v[0:1], v[30:31], v[36:37]
	v_lshl_add_u64 v[30:31], v[14:15], 3, s[8:9]
	v_add_u32_e32 v14, 10, v16
	global_load_dwordx2 v[22:23], v[22:23], off
	s_waitcnt vmcnt(20)
	v_fmac_f64_e32 v[8:9], v[38:39], v[36:37]
	global_load_dwordx2 v[36:37], v[26:27], off
	global_load_dwordx2 v[38:39], v[30:31], off
	v_lshl_add_u64 v[26:27], v[14:15], 3, s[10:11]
	v_add_u32_e32 v14, -2, v12
	v_lshl_add_u64 v[30:31], v[14:15], 3, s[8:9]
	v_add_u32_e32 v14, -14, v12
	s_waitcnt vmcnt(20)
	v_fmac_f64_e32 v[0:1], v[40:41], v[42:43]
	v_lshl_add_u64 v[40:41], v[14:15], 3, s[8:9]
	v_add_u32_e32 v14, 11, v16
	global_load_dwordx2 v[26:27], v[26:27], off
	s_waitcnt vmcnt(20)
	v_fmac_f64_e32 v[8:9], v[44:45], v[42:43]
	;; [unrolled: 13-line block ×3, first 2 shown]
	global_load_dwordx2 v[16:17], v[40:41], off
	global_load_dwordx2 v[48:49], v[46:47], off
	v_lshl_add_u64 v[40:41], v[14:15], 3, s[10:11]
	global_load_dwordx2 v[40:41], v[40:41], off
	s_waitcnt vmcnt(21)
	v_fmac_f64_e32 v[0:1], v[52:53], v[54:55]
	s_waitcnt vmcnt(20)
	v_fmac_f64_e32 v[8:9], v[60:61], v[54:55]
	;; [unrolled: 2-line block ×4, first 2 shown]
	v_add_u32_e32 v12, 0x1a0, v12
	s_waitcnt vmcnt(15)
	v_fmac_f64_e32 v[0:1], v[68:69], v[32:33]
	s_waitcnt vmcnt(14)
	v_fmac_f64_e32 v[8:9], v[24:25], v[32:33]
	;; [unrolled: 2-line block ×11, first 2 shown]
	v_fmac_f64_e32 v[8:9], v[34:35], v[40:41]
	s_andn2_b64 exec, exec, s[2:3]
	s_cbranch_execnz .LBB133_15
; %bb.16:
	s_or_b64 exec, exec, s[2:3]
.LBB133_17:
	s_or_b64 exec, exec, s[4:5]
.LBB133_18:
	v_mov_b32_dpp v10, v0 row_shr:1 row_mask:0xf bank_mask:0xf
	v_mov_b32_dpp v11, v1 row_shr:1 row_mask:0xf bank_mask:0xf
	;; [unrolled: 1-line block ×4, first 2 shown]
	v_add_f64 v[0:1], v[0:1], v[10:11]
	v_add_f64 v[8:9], v[8:9], v[12:13]
	v_cmp_eq_u32_e32 vcc, 15, v7
	v_mov_b32_dpp v10, v0 row_shr:2 row_mask:0xf bank_mask:0xf
	v_mov_b32_dpp v11, v1 row_shr:2 row_mask:0xf bank_mask:0xf
	;; [unrolled: 1-line block ×4, first 2 shown]
	v_add_f64 v[0:1], v[0:1], v[10:11]
	v_add_f64 v[8:9], v[8:9], v[12:13]
	s_nop 0
	v_mov_b32_dpp v10, v0 row_shr:4 row_mask:0xf bank_mask:0xe
	v_mov_b32_dpp v11, v1 row_shr:4 row_mask:0xf bank_mask:0xe
	;; [unrolled: 1-line block ×4, first 2 shown]
	v_add_f64 v[0:1], v[0:1], v[10:11]
	v_add_f64 v[12:13], v[8:9], v[12:13]
	s_nop 0
	v_mov_b32_dpp v10, v0 row_shr:8 row_mask:0xf bank_mask:0xc
	v_mov_b32_dpp v11, v1 row_shr:8 row_mask:0xf bank_mask:0xc
	;; [unrolled: 1-line block ×4, first 2 shown]
	s_and_b64 exec, exec, vcc
	s_cbranch_execz .LBB133_23
; %bb.19:
	s_load_dwordx2 s[0:1], s[0:1], 0x38
	v_add_f64 v[8:9], v[0:1], v[10:11]
	v_add_f64 v[0:1], v[12:13], v[14:15]
	v_cmp_eq_f64_e32 vcc, 0, v[4:5]
	s_and_saveexec_b64 s[2:3], vcc
	s_xor_b64 s[2:3], exec, s[2:3]
	s_cbranch_execz .LBB133_21
; %bb.20:
	v_lshlrev_b32_e32 v6, 1, v6
	v_ashrrev_i32_e32 v7, 31, v6
	v_mul_f64 v[4:5], v[2:3], v[8:9]
	s_waitcnt lgkmcnt(0)
	v_lshl_add_u64 v[8:9], v[6:7], 3, s[0:1]
	v_mul_f64 v[6:7], v[2:3], v[0:1]
	global_store_dwordx4 v[8:9], v[4:7], off
                                        ; implicit-def: $vgpr6
                                        ; implicit-def: $vgpr2_vgpr3
                                        ; implicit-def: $vgpr8_vgpr9
                                        ; implicit-def: $vgpr4_vgpr5
                                        ; implicit-def: $vgpr0_vgpr1
.LBB133_21:
	s_andn2_saveexec_b64 s[2:3], s[2:3]
	s_cbranch_execz .LBB133_23
; %bb.22:
	v_lshlrev_b32_e32 v6, 1, v6
	v_ashrrev_i32_e32 v7, 31, v6
	s_waitcnt lgkmcnt(0)
	v_lshl_add_u64 v[14:15], v[6:7], 3, s[0:1]
	global_load_dwordx4 v[10:13], v[14:15], off
	v_mul_f64 v[6:7], v[2:3], v[8:9]
	v_mul_f64 v[8:9], v[2:3], v[0:1]
	s_waitcnt vmcnt(0)
	v_fmac_f64_e32 v[6:7], v[4:5], v[10:11]
	v_fmac_f64_e32 v[8:9], v[4:5], v[12:13]
	global_store_dwordx4 v[14:15], v[6:9], off
.LBB133_23:
	s_endpgm
	.section	.rodata,"a",@progbits
	.p2align	6, 0x0
	.amdhsa_kernel _ZN9rocsparseL19gebsrmvn_2xn_kernelILj128ELj13ELj16EdEEvi20rocsparse_direction_NS_24const_host_device_scalarIT2_EEPKiS6_PKS3_S8_S4_PS3_21rocsparse_index_base_b
		.amdhsa_group_segment_fixed_size 0
		.amdhsa_private_segment_fixed_size 0
		.amdhsa_kernarg_size 72
		.amdhsa_user_sgpr_count 2
		.amdhsa_user_sgpr_dispatch_ptr 0
		.amdhsa_user_sgpr_queue_ptr 0
		.amdhsa_user_sgpr_kernarg_segment_ptr 1
		.amdhsa_user_sgpr_dispatch_id 0
		.amdhsa_user_sgpr_kernarg_preload_length 0
		.amdhsa_user_sgpr_kernarg_preload_offset 0
		.amdhsa_user_sgpr_private_segment_size 0
		.amdhsa_uses_dynamic_stack 0
		.amdhsa_enable_private_segment 0
		.amdhsa_system_sgpr_workgroup_id_x 1
		.amdhsa_system_sgpr_workgroup_id_y 0
		.amdhsa_system_sgpr_workgroup_id_z 0
		.amdhsa_system_sgpr_workgroup_info 0
		.amdhsa_system_vgpr_workitem_id 0
		.amdhsa_next_free_vgpr 70
		.amdhsa_next_free_sgpr 18
		.amdhsa_accum_offset 72
		.amdhsa_reserve_vcc 1
		.amdhsa_float_round_mode_32 0
		.amdhsa_float_round_mode_16_64 0
		.amdhsa_float_denorm_mode_32 3
		.amdhsa_float_denorm_mode_16_64 3
		.amdhsa_dx10_clamp 1
		.amdhsa_ieee_mode 1
		.amdhsa_fp16_overflow 0
		.amdhsa_tg_split 0
		.amdhsa_exception_fp_ieee_invalid_op 0
		.amdhsa_exception_fp_denorm_src 0
		.amdhsa_exception_fp_ieee_div_zero 0
		.amdhsa_exception_fp_ieee_overflow 0
		.amdhsa_exception_fp_ieee_underflow 0
		.amdhsa_exception_fp_ieee_inexact 0
		.amdhsa_exception_int_div_zero 0
	.end_amdhsa_kernel
	.section	.text._ZN9rocsparseL19gebsrmvn_2xn_kernelILj128ELj13ELj16EdEEvi20rocsparse_direction_NS_24const_host_device_scalarIT2_EEPKiS6_PKS3_S8_S4_PS3_21rocsparse_index_base_b,"axG",@progbits,_ZN9rocsparseL19gebsrmvn_2xn_kernelILj128ELj13ELj16EdEEvi20rocsparse_direction_NS_24const_host_device_scalarIT2_EEPKiS6_PKS3_S8_S4_PS3_21rocsparse_index_base_b,comdat
.Lfunc_end133:
	.size	_ZN9rocsparseL19gebsrmvn_2xn_kernelILj128ELj13ELj16EdEEvi20rocsparse_direction_NS_24const_host_device_scalarIT2_EEPKiS6_PKS3_S8_S4_PS3_21rocsparse_index_base_b, .Lfunc_end133-_ZN9rocsparseL19gebsrmvn_2xn_kernelILj128ELj13ELj16EdEEvi20rocsparse_direction_NS_24const_host_device_scalarIT2_EEPKiS6_PKS3_S8_S4_PS3_21rocsparse_index_base_b
                                        ; -- End function
	.section	.AMDGPU.csdata,"",@progbits
; Kernel info:
; codeLenInByte = 2476
; NumSgprs: 24
; NumVgprs: 70
; NumAgprs: 0
; TotalNumVgprs: 70
; ScratchSize: 0
; MemoryBound: 0
; FloatMode: 240
; IeeeMode: 1
; LDSByteSize: 0 bytes/workgroup (compile time only)
; SGPRBlocks: 2
; VGPRBlocks: 8
; NumSGPRsForWavesPerEU: 24
; NumVGPRsForWavesPerEU: 70
; AccumOffset: 72
; Occupancy: 7
; WaveLimiterHint : 1
; COMPUTE_PGM_RSRC2:SCRATCH_EN: 0
; COMPUTE_PGM_RSRC2:USER_SGPR: 2
; COMPUTE_PGM_RSRC2:TRAP_HANDLER: 0
; COMPUTE_PGM_RSRC2:TGID_X_EN: 1
; COMPUTE_PGM_RSRC2:TGID_Y_EN: 0
; COMPUTE_PGM_RSRC2:TGID_Z_EN: 0
; COMPUTE_PGM_RSRC2:TIDIG_COMP_CNT: 0
; COMPUTE_PGM_RSRC3_GFX90A:ACCUM_OFFSET: 17
; COMPUTE_PGM_RSRC3_GFX90A:TG_SPLIT: 0
	.section	.text._ZN9rocsparseL19gebsrmvn_2xn_kernelILj128ELj13ELj32EdEEvi20rocsparse_direction_NS_24const_host_device_scalarIT2_EEPKiS6_PKS3_S8_S4_PS3_21rocsparse_index_base_b,"axG",@progbits,_ZN9rocsparseL19gebsrmvn_2xn_kernelILj128ELj13ELj32EdEEvi20rocsparse_direction_NS_24const_host_device_scalarIT2_EEPKiS6_PKS3_S8_S4_PS3_21rocsparse_index_base_b,comdat
	.globl	_ZN9rocsparseL19gebsrmvn_2xn_kernelILj128ELj13ELj32EdEEvi20rocsparse_direction_NS_24const_host_device_scalarIT2_EEPKiS6_PKS3_S8_S4_PS3_21rocsparse_index_base_b ; -- Begin function _ZN9rocsparseL19gebsrmvn_2xn_kernelILj128ELj13ELj32EdEEvi20rocsparse_direction_NS_24const_host_device_scalarIT2_EEPKiS6_PKS3_S8_S4_PS3_21rocsparse_index_base_b
	.p2align	8
	.type	_ZN9rocsparseL19gebsrmvn_2xn_kernelILj128ELj13ELj32EdEEvi20rocsparse_direction_NS_24const_host_device_scalarIT2_EEPKiS6_PKS3_S8_S4_PS3_21rocsparse_index_base_b,@function
_ZN9rocsparseL19gebsrmvn_2xn_kernelILj128ELj13ELj32EdEEvi20rocsparse_direction_NS_24const_host_device_scalarIT2_EEPKiS6_PKS3_S8_S4_PS3_21rocsparse_index_base_b: ; @_ZN9rocsparseL19gebsrmvn_2xn_kernelILj128ELj13ELj32EdEEvi20rocsparse_direction_NS_24const_host_device_scalarIT2_EEPKiS6_PKS3_S8_S4_PS3_21rocsparse_index_base_b
; %bb.0:
	s_load_dwordx2 s[12:13], s[0:1], 0x40
	s_load_dwordx2 s[8:9], s[0:1], 0x8
	;; [unrolled: 1-line block ×3, first 2 shown]
	s_waitcnt lgkmcnt(0)
	s_bitcmp1_b32 s13, 0
	s_cselect_b64 s[10:11], -1, 0
	s_xor_b64 s[6:7], s[10:11], -1
	s_and_b64 vcc, exec, s[10:11]
	v_mov_b64_e32 v[2:3], s[8:9]
	s_cbranch_vccnz .LBB134_2
; %bb.1:
	v_mov_b64_e32 v[2:3], s[8:9]
	flat_load_dwordx2 v[2:3], v[2:3]
.LBB134_2:
	s_andn2_b64 vcc, exec, s[6:7]
	v_mov_b64_e32 v[4:5], s[4:5]
	s_cbranch_vccnz .LBB134_4
; %bb.3:
	v_mov_b64_e32 v[4:5], s[4:5]
	flat_load_dwordx2 v[4:5], v[4:5]
.LBB134_4:
	s_waitcnt vmcnt(0) lgkmcnt(0)
	v_cmp_neq_f64_e32 vcc, 0, v[2:3]
	v_cmp_neq_f64_e64 s[4:5], 1.0, v[4:5]
	s_or_b64 s[4:5], vcc, s[4:5]
	s_and_saveexec_b64 s[6:7], s[4:5]
	s_cbranch_execz .LBB134_23
; %bb.5:
	s_load_dwordx2 s[14:15], s[0:1], 0x0
	v_lshrrev_b32_e32 v1, 5, v0
	v_lshl_or_b32 v6, s2, 2, v1
	s_waitcnt lgkmcnt(0)
	v_cmp_gt_i32_e32 vcc, s14, v6
	s_and_b64 exec, exec, vcc
	s_cbranch_execz .LBB134_23
; %bb.6:
	s_load_dwordx8 s[4:11], s[0:1], 0x10
	v_ashrrev_i32_e32 v7, 31, v6
	s_cmp_lg_u32 s15, 0
	s_waitcnt lgkmcnt(0)
	v_lshl_add_u64 v[8:9], v[6:7], 2, s[4:5]
	global_load_dwordx2 v[8:9], v[8:9], off
	v_and_b32_e32 v7, 31, v0
	s_waitcnt vmcnt(0)
	v_subrev_u32_e32 v0, s12, v8
	v_subrev_u32_e32 v20, s12, v9
	v_add_u32_e32 v10, v0, v7
	v_cmp_lt_i32_e64 s[2:3], v10, v20
	s_cbranch_scc0 .LBB134_12
; %bb.7:
	v_mov_b64_e32 v[8:9], 0
	s_mov_b64 s[4:5], 0
	v_mov_b64_e32 v[0:1], v[8:9]
	s_and_saveexec_b64 s[14:15], s[2:3]
	s_cbranch_execz .LBB134_11
; %bb.8:
	v_mad_u64_u32 v[12:13], s[16:17], v10, 26, 24
	v_mov_b64_e32 v[8:9], 0
	s_mov_b64 s[16:17], 0
	v_mov_b32_e32 v15, 0
	v_mov_b32_e32 v16, v10
	v_mov_b64_e32 v[0:1], v[8:9]
.LBB134_9:                              ; =>This Inner Loop Header: Depth=1
	v_ashrrev_i32_e32 v17, 31, v16
	v_subrev_u32_e32 v14, 24, v12
	v_lshl_add_u64 v[26:27], v[16:17], 2, s[6:7]
	v_lshl_add_u64 v[28:29], v[14:15], 3, s[8:9]
	global_load_dword v11, v[26:27], off
	global_load_dwordx4 v[22:25], v[28:29], off
	v_mov_b32_e32 v13, v15
	v_mov_b32_e32 v19, v15
	v_subrev_u32_e32 v14, 22, v12
	v_lshl_add_u64 v[34:35], v[12:13], 3, s[8:9]
	v_lshl_add_u64 v[36:37], v[14:15], 3, s[8:9]
	global_load_dwordx4 v[26:29], v[34:35], off
	global_load_dwordx4 v[30:33], v[36:37], off
	v_add_u32_e32 v16, 32, v16
	v_cmp_ge_i32_e32 vcc, v16, v20
	s_or_b64 s[16:17], vcc, s[16:17]
	s_waitcnt vmcnt(3)
	v_subrev_u32_e32 v11, s12, v11
	v_mul_lo_u32 v18, v11, 13
	v_lshl_add_u64 v[34:35], v[18:19], 3, s[10:11]
	v_add_u32_e32 v14, 1, v18
	global_load_dwordx2 v[50:51], v[34:35], off
	v_lshl_add_u64 v[34:35], v[14:15], 3, s[10:11]
	v_subrev_u32_e32 v14, 20, v12
	global_load_dwordx2 v[52:53], v[34:35], off
	v_lshl_add_u64 v[34:35], v[14:15], 3, s[8:9]
	v_add_u32_e32 v14, 2, v18
	v_lshl_add_u64 v[38:39], v[14:15], 3, s[10:11]
	v_subrev_u32_e32 v14, 18, v12
	global_load_dwordx4 v[34:37], v[34:35], off
	s_waitcnt vmcnt(2)
	v_fmac_f64_e32 v[8:9], v[22:23], v[50:51]
	global_load_dwordx2 v[54:55], v[38:39], off
	v_lshl_add_u64 v[38:39], v[14:15], 3, s[8:9]
	v_add_u32_e32 v14, 3, v18
	v_lshl_add_u64 v[42:43], v[14:15], 3, s[10:11]
	v_add_u32_e32 v14, -16, v12
	global_load_dwordx4 v[38:41], v[38:39], off
	v_fmac_f64_e32 v[0:1], v[24:25], v[50:51]
	global_load_dwordx2 v[56:57], v[42:43], off
	v_lshl_add_u64 v[42:43], v[14:15], 3, s[8:9]
	v_add_u32_e32 v14, 4, v18
	v_lshl_add_u64 v[46:47], v[14:15], 3, s[10:11]
	v_add_u32_e32 v14, -14, v12
	global_load_dwordx4 v[42:45], v[42:43], off
	s_waitcnt vmcnt(5)
	v_fmac_f64_e32 v[8:9], v[30:31], v[52:53]
	global_load_dwordx2 v[58:59], v[46:47], off
	v_lshl_add_u64 v[46:47], v[14:15], 3, s[8:9]
	v_add_u32_e32 v14, 5, v18
	v_lshl_add_u64 v[60:61], v[14:15], 3, s[10:11]
	global_load_dwordx4 v[46:49], v[46:47], off
	v_add_u32_e32 v14, -12, v12
	global_load_dwordx2 v[60:61], v[60:61], off
	v_lshl_add_u64 v[22:23], v[14:15], 3, s[8:9]
	v_add_u32_e32 v14, 6, v18
	v_lshl_add_u64 v[50:51], v[14:15], 3, s[10:11]
	v_add_u32_e32 v14, -10, v12
	v_lshl_add_u64 v[30:31], v[14:15], 3, s[8:9]
	v_add_u32_e32 v14, 7, v18
	v_fmac_f64_e32 v[0:1], v[32:33], v[52:53]
	v_lshl_add_u64 v[52:53], v[14:15], 3, s[10:11]
	v_add_u32_e32 v14, -8, v12
	global_load_dwordx4 v[22:25], v[22:23], off
	s_waitcnt vmcnt(7)
	v_fmac_f64_e32 v[8:9], v[34:35], v[54:55]
	global_load_dwordx4 v[30:33], v[30:31], off
	v_lshl_add_u64 v[34:35], v[14:15], 3, s[8:9]
	v_add_u32_e32 v14, 8, v18
	v_fmac_f64_e32 v[0:1], v[36:37], v[54:55]
	v_lshl_add_u64 v[54:55], v[14:15], 3, s[10:11]
	v_add_u32_e32 v14, -6, v12
	global_load_dwordx4 v[34:37], v[34:35], off
	s_waitcnt vmcnt(7)
	v_fmac_f64_e32 v[8:9], v[38:39], v[56:57]
	v_lshl_add_u64 v[38:39], v[14:15], 3, s[8:9]
	v_add_u32_e32 v14, 9, v18
	global_load_dwordx2 v[50:51], v[50:51], off
	v_fmac_f64_e32 v[0:1], v[40:41], v[56:57]
	global_load_dwordx2 v[52:53], v[52:53], off
	v_lshl_add_u64 v[56:57], v[14:15], 3, s[10:11]
	global_load_dwordx2 v[54:55], v[54:55], off
	v_add_u32_e32 v14, -4, v12
	global_load_dwordx2 v[56:57], v[56:57], off
	s_nop 0
	global_load_dwordx4 v[38:41], v[38:39], off
	s_waitcnt vmcnt(10)
	v_fmac_f64_e32 v[8:9], v[42:43], v[58:59]
	v_lshl_add_u64 v[42:43], v[14:15], 3, s[8:9]
	v_add_u32_e32 v14, 10, v18
	v_fmac_f64_e32 v[0:1], v[44:45], v[58:59]
	v_lshl_add_u64 v[58:59], v[14:15], 3, s[10:11]
	v_add_u32_e32 v14, -2, v12
	global_load_dwordx4 v[42:45], v[42:43], off
	v_add_u32_e32 v12, 0x340, v12
	global_load_dwordx2 v[58:59], v[58:59], off
	s_waitcnt vmcnt(10)
	v_fmac_f64_e32 v[8:9], v[46:47], v[60:61]
	v_lshl_add_u64 v[46:47], v[14:15], 3, s[8:9]
	v_add_u32_e32 v14, 11, v18
	v_fmac_f64_e32 v[0:1], v[48:49], v[60:61]
	v_lshl_add_u64 v[60:61], v[14:15], 3, s[10:11]
	v_add_u32_e32 v14, 12, v18
	global_load_dwordx4 v[46:49], v[46:47], off
	s_waitcnt vmcnt(7)
	v_fmac_f64_e32 v[8:9], v[22:23], v[50:51]
	global_load_dwordx2 v[18:19], v[60:61], off
	v_lshl_add_u64 v[60:61], v[14:15], 3, s[10:11]
	global_load_dwordx2 v[60:61], v[60:61], off
	v_fmac_f64_e32 v[0:1], v[24:25], v[50:51]
	s_waitcnt vmcnt(8)
	v_fmac_f64_e32 v[8:9], v[30:31], v[52:53]
	v_fmac_f64_e32 v[0:1], v[32:33], v[52:53]
	s_waitcnt vmcnt(7)
	v_fmac_f64_e32 v[8:9], v[34:35], v[54:55]
	v_fmac_f64_e32 v[0:1], v[36:37], v[54:55]
	s_waitcnt vmcnt(5)
	v_fmac_f64_e32 v[8:9], v[38:39], v[56:57]
	v_fmac_f64_e32 v[0:1], v[40:41], v[56:57]
	s_waitcnt vmcnt(3)
	v_fmac_f64_e32 v[8:9], v[42:43], v[58:59]
	v_fmac_f64_e32 v[0:1], v[44:45], v[58:59]
	s_waitcnt vmcnt(1)
	v_fmac_f64_e32 v[8:9], v[46:47], v[18:19]
	v_fmac_f64_e32 v[0:1], v[48:49], v[18:19]
	s_waitcnt vmcnt(0)
	v_fmac_f64_e32 v[8:9], v[26:27], v[60:61]
	v_fmac_f64_e32 v[0:1], v[28:29], v[60:61]
	s_andn2_b64 exec, exec, s[16:17]
	s_cbranch_execnz .LBB134_9
; %bb.10:
	s_or_b64 exec, exec, s[16:17]
.LBB134_11:
	s_or_b64 exec, exec, s[14:15]
	s_andn2_b64 vcc, exec, s[4:5]
	s_cbranch_vccz .LBB134_13
	s_branch .LBB134_18
.LBB134_12:
                                        ; implicit-def: $vgpr8_vgpr9
                                        ; implicit-def: $vgpr0_vgpr1
.LBB134_13:
	v_mov_b64_e32 v[8:9], 0
	v_mov_b64_e32 v[0:1], v[8:9]
	s_and_saveexec_b64 s[4:5], s[2:3]
	s_cbranch_execz .LBB134_17
; %bb.14:
	v_mad_u64_u32 v[12:13], s[2:3], v10, 26, 25
	v_mov_b64_e32 v[8:9], 0
	s_mov_b64 s[2:3], 0
	v_mov_b32_e32 v15, 0
	v_mov_b64_e32 v[0:1], v[8:9]
.LBB134_15:                             ; =>This Inner Loop Header: Depth=1
	v_ashrrev_i32_e32 v11, 31, v10
	v_subrev_u32_e32 v14, 25, v12
	v_add_u32_e32 v18, -12, v12
	v_mov_b32_e32 v19, v15
	v_mov_b32_e32 v13, v15
	v_lshl_add_u64 v[26:27], v[10:11], 2, s[6:7]
	v_lshl_add_u64 v[28:29], v[14:15], 3, s[8:9]
	v_lshl_add_u64 v[18:19], v[18:19], 3, s[8:9]
	v_lshl_add_u64 v[30:31], v[12:13], 3, s[8:9]
	global_load_dword v11, v[26:27], off
	global_load_dwordx4 v[22:25], v[28:29], off
	global_load_dwordx2 v[32:33], v[18:19], off
	global_load_dwordx2 v[34:35], v[30:31], off
	v_mov_b32_e32 v17, v15
	v_add_u32_e32 v10, 32, v10
	v_cmp_ge_i32_e32 vcc, v10, v20
	s_or_b64 s[2:3], vcc, s[2:3]
	s_waitcnt vmcnt(3)
	v_subrev_u32_e32 v11, s12, v11
	v_mul_lo_u32 v16, v11, 13
	v_lshl_add_u64 v[18:19], v[16:17], 3, s[10:11]
	global_load_dwordx2 v[18:19], v[18:19], off
	v_add_u32_e32 v14, 1, v16
	v_lshl_add_u64 v[26:27], v[14:15], 3, s[10:11]
	global_load_dwordx2 v[26:27], v[26:27], off
	v_add_u32_e32 v14, -11, v12
	v_lshl_add_u64 v[28:29], v[14:15], 3, s[8:9]
	v_subrev_u32_e32 v14, 23, v12
	global_load_dwordx2 v[28:29], v[28:29], off
	v_lshl_add_u64 v[30:31], v[14:15], 3, s[8:9]
	global_load_dwordx2 v[30:31], v[30:31], off
	v_add_u32_e32 v14, 2, v16
	v_lshl_add_u64 v[36:37], v[14:15], 3, s[10:11]
	v_add_u32_e32 v14, -10, v12
	global_load_dwordx2 v[36:37], v[36:37], off
	v_lshl_add_u64 v[38:39], v[14:15], 3, s[8:9]
	v_subrev_u32_e32 v14, 22, v12
	global_load_dwordx2 v[38:39], v[38:39], off
	v_lshl_add_u64 v[40:41], v[14:15], 3, s[8:9]
	global_load_dwordx2 v[40:41], v[40:41], off
	v_add_u32_e32 v14, 3, v16
	v_lshl_add_u64 v[42:43], v[14:15], 3, s[10:11]
	v_add_u32_e32 v14, -9, v12
	global_load_dwordx2 v[42:43], v[42:43], off
	;; [unrolled: 9-line block ×3, first 2 shown]
	v_lshl_add_u64 v[50:51], v[14:15], 3, s[8:9]
	global_load_dwordx2 v[50:51], v[50:51], off
	v_subrev_u32_e32 v14, 20, v12
	v_lshl_add_u64 v[52:53], v[14:15], 3, s[8:9]
	global_load_dwordx2 v[52:53], v[52:53], off
	v_add_u32_e32 v14, 5, v16
	v_lshl_add_u64 v[54:55], v[14:15], 3, s[10:11]
	v_add_u32_e32 v14, -7, v12
	v_lshl_add_u64 v[56:57], v[14:15], 3, s[8:9]
	v_subrev_u32_e32 v14, 19, v12
	v_lshl_add_u64 v[58:59], v[14:15], 3, s[8:9]
	v_add_u32_e32 v14, 6, v16
	global_load_dwordx2 v[54:55], v[54:55], off
	s_nop 0
	global_load_dwordx2 v[60:61], v[56:57], off
	global_load_dwordx2 v[62:63], v[58:59], off
	v_lshl_add_u64 v[56:57], v[14:15], 3, s[10:11]
	v_add_u32_e32 v14, -6, v12
	v_lshl_add_u64 v[58:59], v[14:15], 3, s[8:9]
	v_subrev_u32_e32 v14, 18, v12
	v_lshl_add_u64 v[64:65], v[14:15], 3, s[8:9]
	v_add_u32_e32 v14, 7, v16
	global_load_dwordx2 v[56:57], v[56:57], off
	s_nop 0
	global_load_dwordx2 v[66:67], v[58:59], off
	global_load_dwordx2 v[68:69], v[64:65], off
	s_waitcnt vmcnt(18)
	v_fmac_f64_e32 v[0:1], v[32:33], v[18:19]
	v_lshl_add_u64 v[32:33], v[14:15], 3, s[10:11]
	v_add_u32_e32 v14, -5, v12
	v_fmac_f64_e32 v[8:9], v[22:23], v[18:19]
	v_lshl_add_u64 v[18:19], v[14:15], 3, s[8:9]
	v_subrev_u32_e32 v14, 17, v12
	v_lshl_add_u64 v[22:23], v[14:15], 3, s[8:9]
	v_add_u32_e32 v14, 8, v16
	global_load_dwordx2 v[32:33], v[32:33], off
	s_waitcnt vmcnt(18)
	v_fmac_f64_e32 v[8:9], v[24:25], v[26:27]
	global_load_dwordx2 v[24:25], v[18:19], off
	global_load_dwordx2 v[58:59], v[22:23], off
	v_lshl_add_u64 v[18:19], v[14:15], 3, s[10:11]
	v_add_u32_e32 v14, -4, v12
	v_lshl_add_u64 v[22:23], v[14:15], 3, s[8:9]
	v_add_u32_e32 v14, -16, v12
	s_waitcnt vmcnt(19)
	v_fmac_f64_e32 v[0:1], v[28:29], v[26:27]
	v_lshl_add_u64 v[26:27], v[14:15], 3, s[8:9]
	v_add_u32_e32 v14, 9, v16
	global_load_dwordx2 v[18:19], v[18:19], off
	s_nop 0
	global_load_dwordx2 v[28:29], v[22:23], off
	global_load_dwordx2 v[64:65], v[26:27], off
	v_lshl_add_u64 v[22:23], v[14:15], 3, s[10:11]
	v_add_u32_e32 v14, -3, v12
	v_lshl_add_u64 v[26:27], v[14:15], 3, s[8:9]
	v_add_u32_e32 v14, -15, v12
	s_waitcnt vmcnt(20)
	v_fmac_f64_e32 v[8:9], v[30:31], v[36:37]
	v_lshl_add_u64 v[30:31], v[14:15], 3, s[8:9]
	v_add_u32_e32 v14, 10, v16
	global_load_dwordx2 v[22:23], v[22:23], off
	s_waitcnt vmcnt(20)
	v_fmac_f64_e32 v[0:1], v[38:39], v[36:37]
	global_load_dwordx2 v[36:37], v[26:27], off
	global_load_dwordx2 v[38:39], v[30:31], off
	v_lshl_add_u64 v[26:27], v[14:15], 3, s[10:11]
	v_add_u32_e32 v14, -2, v12
	v_lshl_add_u64 v[30:31], v[14:15], 3, s[8:9]
	v_add_u32_e32 v14, -14, v12
	s_waitcnt vmcnt(20)
	v_fmac_f64_e32 v[8:9], v[40:41], v[42:43]
	v_lshl_add_u64 v[40:41], v[14:15], 3, s[8:9]
	v_add_u32_e32 v14, 11, v16
	global_load_dwordx2 v[26:27], v[26:27], off
	s_waitcnt vmcnt(20)
	v_fmac_f64_e32 v[0:1], v[44:45], v[42:43]
	;; [unrolled: 13-line block ×3, first 2 shown]
	global_load_dwordx2 v[16:17], v[40:41], off
	global_load_dwordx2 v[48:49], v[46:47], off
	v_lshl_add_u64 v[40:41], v[14:15], 3, s[10:11]
	global_load_dwordx2 v[40:41], v[40:41], off
	s_waitcnt vmcnt(21)
	v_fmac_f64_e32 v[8:9], v[52:53], v[54:55]
	s_waitcnt vmcnt(20)
	v_fmac_f64_e32 v[0:1], v[60:61], v[54:55]
	;; [unrolled: 2-line block ×4, first 2 shown]
	v_add_u32_e32 v12, 0x340, v12
	s_waitcnt vmcnt(15)
	v_fmac_f64_e32 v[8:9], v[68:69], v[32:33]
	s_waitcnt vmcnt(14)
	v_fmac_f64_e32 v[0:1], v[24:25], v[32:33]
	;; [unrolled: 2-line block ×11, first 2 shown]
	v_fmac_f64_e32 v[0:1], v[34:35], v[40:41]
	s_andn2_b64 exec, exec, s[2:3]
	s_cbranch_execnz .LBB134_15
; %bb.16:
	s_or_b64 exec, exec, s[2:3]
.LBB134_17:
	s_or_b64 exec, exec, s[4:5]
.LBB134_18:
	v_mov_b32_dpp v10, v8 row_shr:1 row_mask:0xf bank_mask:0xf
	v_mov_b32_dpp v11, v9 row_shr:1 row_mask:0xf bank_mask:0xf
	;; [unrolled: 1-line block ×4, first 2 shown]
	v_add_f64 v[8:9], v[8:9], v[10:11]
	v_add_f64 v[0:1], v[0:1], v[12:13]
	v_cmp_eq_u32_e32 vcc, 31, v7
	v_mov_b32_dpp v10, v8 row_shr:2 row_mask:0xf bank_mask:0xf
	v_mov_b32_dpp v11, v9 row_shr:2 row_mask:0xf bank_mask:0xf
	v_mov_b32_dpp v12, v0 row_shr:2 row_mask:0xf bank_mask:0xf
	v_mov_b32_dpp v13, v1 row_shr:2 row_mask:0xf bank_mask:0xf
	v_add_f64 v[8:9], v[8:9], v[10:11]
	v_add_f64 v[0:1], v[0:1], v[12:13]
	s_nop 0
	v_mov_b32_dpp v10, v8 row_shr:4 row_mask:0xf bank_mask:0xe
	v_mov_b32_dpp v11, v9 row_shr:4 row_mask:0xf bank_mask:0xe
	v_mov_b32_dpp v12, v0 row_shr:4 row_mask:0xf bank_mask:0xe
	v_mov_b32_dpp v13, v1 row_shr:4 row_mask:0xf bank_mask:0xe
	v_add_f64 v[8:9], v[8:9], v[10:11]
	v_add_f64 v[0:1], v[0:1], v[12:13]
	s_nop 0
	;; [unrolled: 7-line block ×3, first 2 shown]
	v_mov_b32_dpp v10, v8 row_bcast:15 row_mask:0xa bank_mask:0xf
	v_mov_b32_dpp v11, v9 row_bcast:15 row_mask:0xa bank_mask:0xf
	;; [unrolled: 1-line block ×4, first 2 shown]
	s_and_b64 exec, exec, vcc
	s_cbranch_execz .LBB134_23
; %bb.19:
	s_load_dwordx2 s[0:1], s[0:1], 0x38
	v_add_f64 v[8:9], v[8:9], v[10:11]
	v_add_f64 v[0:1], v[0:1], v[12:13]
	v_cmp_eq_f64_e32 vcc, 0, v[4:5]
	s_and_saveexec_b64 s[2:3], vcc
	s_xor_b64 s[2:3], exec, s[2:3]
	s_cbranch_execz .LBB134_21
; %bb.20:
	v_lshlrev_b32_e32 v6, 1, v6
	v_ashrrev_i32_e32 v7, 31, v6
	v_mul_f64 v[4:5], v[2:3], v[8:9]
	s_waitcnt lgkmcnt(0)
	v_lshl_add_u64 v[8:9], v[6:7], 3, s[0:1]
	v_mul_f64 v[6:7], v[2:3], v[0:1]
	global_store_dwordx4 v[8:9], v[4:7], off
                                        ; implicit-def: $vgpr6
                                        ; implicit-def: $vgpr2_vgpr3
                                        ; implicit-def: $vgpr8_vgpr9
                                        ; implicit-def: $vgpr4_vgpr5
                                        ; implicit-def: $vgpr0_vgpr1
.LBB134_21:
	s_andn2_saveexec_b64 s[2:3], s[2:3]
	s_cbranch_execz .LBB134_23
; %bb.22:
	v_lshlrev_b32_e32 v6, 1, v6
	v_ashrrev_i32_e32 v7, 31, v6
	s_waitcnt lgkmcnt(0)
	v_lshl_add_u64 v[14:15], v[6:7], 3, s[0:1]
	global_load_dwordx4 v[10:13], v[14:15], off
	v_mul_f64 v[6:7], v[2:3], v[8:9]
	v_mul_f64 v[8:9], v[2:3], v[0:1]
	s_waitcnt vmcnt(0)
	v_fmac_f64_e32 v[6:7], v[4:5], v[10:11]
	v_fmac_f64_e32 v[8:9], v[4:5], v[12:13]
	global_store_dwordx4 v[14:15], v[6:9], off
.LBB134_23:
	s_endpgm
	.section	.rodata,"a",@progbits
	.p2align	6, 0x0
	.amdhsa_kernel _ZN9rocsparseL19gebsrmvn_2xn_kernelILj128ELj13ELj32EdEEvi20rocsparse_direction_NS_24const_host_device_scalarIT2_EEPKiS6_PKS3_S8_S4_PS3_21rocsparse_index_base_b
		.amdhsa_group_segment_fixed_size 0
		.amdhsa_private_segment_fixed_size 0
		.amdhsa_kernarg_size 72
		.amdhsa_user_sgpr_count 2
		.amdhsa_user_sgpr_dispatch_ptr 0
		.amdhsa_user_sgpr_queue_ptr 0
		.amdhsa_user_sgpr_kernarg_segment_ptr 1
		.amdhsa_user_sgpr_dispatch_id 0
		.amdhsa_user_sgpr_kernarg_preload_length 0
		.amdhsa_user_sgpr_kernarg_preload_offset 0
		.amdhsa_user_sgpr_private_segment_size 0
		.amdhsa_uses_dynamic_stack 0
		.amdhsa_enable_private_segment 0
		.amdhsa_system_sgpr_workgroup_id_x 1
		.amdhsa_system_sgpr_workgroup_id_y 0
		.amdhsa_system_sgpr_workgroup_id_z 0
		.amdhsa_system_sgpr_workgroup_info 0
		.amdhsa_system_vgpr_workitem_id 0
		.amdhsa_next_free_vgpr 70
		.amdhsa_next_free_sgpr 18
		.amdhsa_accum_offset 72
		.amdhsa_reserve_vcc 1
		.amdhsa_float_round_mode_32 0
		.amdhsa_float_round_mode_16_64 0
		.amdhsa_float_denorm_mode_32 3
		.amdhsa_float_denorm_mode_16_64 3
		.amdhsa_dx10_clamp 1
		.amdhsa_ieee_mode 1
		.amdhsa_fp16_overflow 0
		.amdhsa_tg_split 0
		.amdhsa_exception_fp_ieee_invalid_op 0
		.amdhsa_exception_fp_denorm_src 0
		.amdhsa_exception_fp_ieee_div_zero 0
		.amdhsa_exception_fp_ieee_overflow 0
		.amdhsa_exception_fp_ieee_underflow 0
		.amdhsa_exception_fp_ieee_inexact 0
		.amdhsa_exception_int_div_zero 0
	.end_amdhsa_kernel
	.section	.text._ZN9rocsparseL19gebsrmvn_2xn_kernelILj128ELj13ELj32EdEEvi20rocsparse_direction_NS_24const_host_device_scalarIT2_EEPKiS6_PKS3_S8_S4_PS3_21rocsparse_index_base_b,"axG",@progbits,_ZN9rocsparseL19gebsrmvn_2xn_kernelILj128ELj13ELj32EdEEvi20rocsparse_direction_NS_24const_host_device_scalarIT2_EEPKiS6_PKS3_S8_S4_PS3_21rocsparse_index_base_b,comdat
.Lfunc_end134:
	.size	_ZN9rocsparseL19gebsrmvn_2xn_kernelILj128ELj13ELj32EdEEvi20rocsparse_direction_NS_24const_host_device_scalarIT2_EEPKiS6_PKS3_S8_S4_PS3_21rocsparse_index_base_b, .Lfunc_end134-_ZN9rocsparseL19gebsrmvn_2xn_kernelILj128ELj13ELj32EdEEvi20rocsparse_direction_NS_24const_host_device_scalarIT2_EEPKiS6_PKS3_S8_S4_PS3_21rocsparse_index_base_b
                                        ; -- End function
	.section	.AMDGPU.csdata,"",@progbits
; Kernel info:
; codeLenInByte = 2528
; NumSgprs: 24
; NumVgprs: 70
; NumAgprs: 0
; TotalNumVgprs: 70
; ScratchSize: 0
; MemoryBound: 0
; FloatMode: 240
; IeeeMode: 1
; LDSByteSize: 0 bytes/workgroup (compile time only)
; SGPRBlocks: 2
; VGPRBlocks: 8
; NumSGPRsForWavesPerEU: 24
; NumVGPRsForWavesPerEU: 70
; AccumOffset: 72
; Occupancy: 7
; WaveLimiterHint : 1
; COMPUTE_PGM_RSRC2:SCRATCH_EN: 0
; COMPUTE_PGM_RSRC2:USER_SGPR: 2
; COMPUTE_PGM_RSRC2:TRAP_HANDLER: 0
; COMPUTE_PGM_RSRC2:TGID_X_EN: 1
; COMPUTE_PGM_RSRC2:TGID_Y_EN: 0
; COMPUTE_PGM_RSRC2:TGID_Z_EN: 0
; COMPUTE_PGM_RSRC2:TIDIG_COMP_CNT: 0
; COMPUTE_PGM_RSRC3_GFX90A:ACCUM_OFFSET: 17
; COMPUTE_PGM_RSRC3_GFX90A:TG_SPLIT: 0
	.section	.text._ZN9rocsparseL19gebsrmvn_2xn_kernelILj128ELj13ELj64EdEEvi20rocsparse_direction_NS_24const_host_device_scalarIT2_EEPKiS6_PKS3_S8_S4_PS3_21rocsparse_index_base_b,"axG",@progbits,_ZN9rocsparseL19gebsrmvn_2xn_kernelILj128ELj13ELj64EdEEvi20rocsparse_direction_NS_24const_host_device_scalarIT2_EEPKiS6_PKS3_S8_S4_PS3_21rocsparse_index_base_b,comdat
	.globl	_ZN9rocsparseL19gebsrmvn_2xn_kernelILj128ELj13ELj64EdEEvi20rocsparse_direction_NS_24const_host_device_scalarIT2_EEPKiS6_PKS3_S8_S4_PS3_21rocsparse_index_base_b ; -- Begin function _ZN9rocsparseL19gebsrmvn_2xn_kernelILj128ELj13ELj64EdEEvi20rocsparse_direction_NS_24const_host_device_scalarIT2_EEPKiS6_PKS3_S8_S4_PS3_21rocsparse_index_base_b
	.p2align	8
	.type	_ZN9rocsparseL19gebsrmvn_2xn_kernelILj128ELj13ELj64EdEEvi20rocsparse_direction_NS_24const_host_device_scalarIT2_EEPKiS6_PKS3_S8_S4_PS3_21rocsparse_index_base_b,@function
_ZN9rocsparseL19gebsrmvn_2xn_kernelILj128ELj13ELj64EdEEvi20rocsparse_direction_NS_24const_host_device_scalarIT2_EEPKiS6_PKS3_S8_S4_PS3_21rocsparse_index_base_b: ; @_ZN9rocsparseL19gebsrmvn_2xn_kernelILj128ELj13ELj64EdEEvi20rocsparse_direction_NS_24const_host_device_scalarIT2_EEPKiS6_PKS3_S8_S4_PS3_21rocsparse_index_base_b
; %bb.0:
	s_load_dwordx2 s[12:13], s[0:1], 0x40
	s_load_dwordx2 s[8:9], s[0:1], 0x8
	;; [unrolled: 1-line block ×3, first 2 shown]
	s_waitcnt lgkmcnt(0)
	s_bitcmp1_b32 s13, 0
	s_cselect_b64 s[10:11], -1, 0
	s_xor_b64 s[6:7], s[10:11], -1
	s_and_b64 vcc, exec, s[10:11]
	v_mov_b64_e32 v[2:3], s[8:9]
	s_cbranch_vccnz .LBB135_2
; %bb.1:
	v_mov_b64_e32 v[2:3], s[8:9]
	flat_load_dwordx2 v[2:3], v[2:3]
.LBB135_2:
	s_andn2_b64 vcc, exec, s[6:7]
	v_mov_b64_e32 v[4:5], s[4:5]
	s_cbranch_vccnz .LBB135_4
; %bb.3:
	v_mov_b64_e32 v[4:5], s[4:5]
	flat_load_dwordx2 v[4:5], v[4:5]
.LBB135_4:
	s_waitcnt vmcnt(0) lgkmcnt(0)
	v_cmp_neq_f64_e32 vcc, 0, v[2:3]
	v_cmp_neq_f64_e64 s[4:5], 1.0, v[4:5]
	s_or_b64 s[4:5], vcc, s[4:5]
	s_and_saveexec_b64 s[6:7], s[4:5]
	s_cbranch_execz .LBB135_23
; %bb.5:
	s_load_dwordx2 s[14:15], s[0:1], 0x0
	v_lshrrev_b32_e32 v1, 6, v0
	v_lshl_or_b32 v6, s2, 1, v1
	s_waitcnt lgkmcnt(0)
	v_cmp_gt_i32_e32 vcc, s14, v6
	s_and_b64 exec, exec, vcc
	s_cbranch_execz .LBB135_23
; %bb.6:
	s_load_dwordx8 s[4:11], s[0:1], 0x10
	v_ashrrev_i32_e32 v7, 31, v6
	s_cmp_lg_u32 s15, 0
	s_waitcnt lgkmcnt(0)
	v_lshl_add_u64 v[8:9], v[6:7], 2, s[4:5]
	global_load_dwordx2 v[8:9], v[8:9], off
	v_and_b32_e32 v7, 63, v0
	s_waitcnt vmcnt(0)
	v_subrev_u32_e32 v0, s12, v8
	v_subrev_u32_e32 v20, s12, v9
	v_add_u32_e32 v10, v0, v7
	v_cmp_lt_i32_e64 s[2:3], v10, v20
	s_cbranch_scc0 .LBB135_12
; %bb.7:
	v_mov_b64_e32 v[8:9], 0
	s_mov_b64 s[4:5], 0
	v_mov_b64_e32 v[0:1], v[8:9]
	s_and_saveexec_b64 s[14:15], s[2:3]
	s_cbranch_execz .LBB135_11
; %bb.8:
	v_mad_u64_u32 v[12:13], s[16:17], v10, 26, 24
	v_mov_b64_e32 v[8:9], 0
	s_mov_b64 s[16:17], 0
	v_mov_b32_e32 v15, 0
	v_mov_b32_e32 v16, v10
	v_mov_b64_e32 v[0:1], v[8:9]
.LBB135_9:                              ; =>This Inner Loop Header: Depth=1
	v_ashrrev_i32_e32 v17, 31, v16
	v_subrev_u32_e32 v14, 24, v12
	v_lshl_add_u64 v[26:27], v[16:17], 2, s[6:7]
	v_lshl_add_u64 v[28:29], v[14:15], 3, s[8:9]
	global_load_dword v11, v[26:27], off
	global_load_dwordx4 v[22:25], v[28:29], off
	v_mov_b32_e32 v13, v15
	v_mov_b32_e32 v19, v15
	v_subrev_u32_e32 v14, 22, v12
	v_lshl_add_u64 v[34:35], v[12:13], 3, s[8:9]
	v_lshl_add_u64 v[36:37], v[14:15], 3, s[8:9]
	global_load_dwordx4 v[26:29], v[34:35], off
	global_load_dwordx4 v[30:33], v[36:37], off
	v_add_u32_e32 v16, 64, v16
	v_cmp_ge_i32_e32 vcc, v16, v20
	s_or_b64 s[16:17], vcc, s[16:17]
	s_waitcnt vmcnt(3)
	v_subrev_u32_e32 v11, s12, v11
	v_mul_lo_u32 v18, v11, 13
	v_lshl_add_u64 v[34:35], v[18:19], 3, s[10:11]
	v_add_u32_e32 v14, 1, v18
	global_load_dwordx2 v[50:51], v[34:35], off
	v_lshl_add_u64 v[34:35], v[14:15], 3, s[10:11]
	v_subrev_u32_e32 v14, 20, v12
	global_load_dwordx2 v[52:53], v[34:35], off
	v_lshl_add_u64 v[34:35], v[14:15], 3, s[8:9]
	v_add_u32_e32 v14, 2, v18
	v_lshl_add_u64 v[38:39], v[14:15], 3, s[10:11]
	v_subrev_u32_e32 v14, 18, v12
	global_load_dwordx4 v[34:37], v[34:35], off
	s_waitcnt vmcnt(2)
	v_fmac_f64_e32 v[8:9], v[22:23], v[50:51]
	global_load_dwordx2 v[54:55], v[38:39], off
	v_lshl_add_u64 v[38:39], v[14:15], 3, s[8:9]
	v_add_u32_e32 v14, 3, v18
	v_lshl_add_u64 v[42:43], v[14:15], 3, s[10:11]
	v_add_u32_e32 v14, -16, v12
	global_load_dwordx4 v[38:41], v[38:39], off
	v_fmac_f64_e32 v[0:1], v[24:25], v[50:51]
	global_load_dwordx2 v[56:57], v[42:43], off
	v_lshl_add_u64 v[42:43], v[14:15], 3, s[8:9]
	v_add_u32_e32 v14, 4, v18
	v_lshl_add_u64 v[46:47], v[14:15], 3, s[10:11]
	v_add_u32_e32 v14, -14, v12
	global_load_dwordx4 v[42:45], v[42:43], off
	s_waitcnt vmcnt(5)
	v_fmac_f64_e32 v[8:9], v[30:31], v[52:53]
	global_load_dwordx2 v[58:59], v[46:47], off
	v_lshl_add_u64 v[46:47], v[14:15], 3, s[8:9]
	v_add_u32_e32 v14, 5, v18
	v_lshl_add_u64 v[60:61], v[14:15], 3, s[10:11]
	global_load_dwordx4 v[46:49], v[46:47], off
	v_add_u32_e32 v14, -12, v12
	global_load_dwordx2 v[60:61], v[60:61], off
	v_lshl_add_u64 v[22:23], v[14:15], 3, s[8:9]
	v_add_u32_e32 v14, 6, v18
	v_lshl_add_u64 v[50:51], v[14:15], 3, s[10:11]
	v_add_u32_e32 v14, -10, v12
	v_lshl_add_u64 v[30:31], v[14:15], 3, s[8:9]
	v_add_u32_e32 v14, 7, v18
	v_fmac_f64_e32 v[0:1], v[32:33], v[52:53]
	v_lshl_add_u64 v[52:53], v[14:15], 3, s[10:11]
	v_add_u32_e32 v14, -8, v12
	global_load_dwordx4 v[22:25], v[22:23], off
	s_waitcnt vmcnt(7)
	v_fmac_f64_e32 v[8:9], v[34:35], v[54:55]
	global_load_dwordx4 v[30:33], v[30:31], off
	v_lshl_add_u64 v[34:35], v[14:15], 3, s[8:9]
	v_add_u32_e32 v14, 8, v18
	v_fmac_f64_e32 v[0:1], v[36:37], v[54:55]
	v_lshl_add_u64 v[54:55], v[14:15], 3, s[10:11]
	v_add_u32_e32 v14, -6, v12
	global_load_dwordx4 v[34:37], v[34:35], off
	s_waitcnt vmcnt(7)
	v_fmac_f64_e32 v[8:9], v[38:39], v[56:57]
	v_lshl_add_u64 v[38:39], v[14:15], 3, s[8:9]
	v_add_u32_e32 v14, 9, v18
	global_load_dwordx2 v[50:51], v[50:51], off
	v_fmac_f64_e32 v[0:1], v[40:41], v[56:57]
	global_load_dwordx2 v[52:53], v[52:53], off
	v_lshl_add_u64 v[56:57], v[14:15], 3, s[10:11]
	global_load_dwordx2 v[54:55], v[54:55], off
	v_add_u32_e32 v14, -4, v12
	global_load_dwordx2 v[56:57], v[56:57], off
	s_nop 0
	global_load_dwordx4 v[38:41], v[38:39], off
	s_waitcnt vmcnt(10)
	v_fmac_f64_e32 v[8:9], v[42:43], v[58:59]
	v_lshl_add_u64 v[42:43], v[14:15], 3, s[8:9]
	v_add_u32_e32 v14, 10, v18
	v_fmac_f64_e32 v[0:1], v[44:45], v[58:59]
	v_lshl_add_u64 v[58:59], v[14:15], 3, s[10:11]
	v_add_u32_e32 v14, -2, v12
	global_load_dwordx4 v[42:45], v[42:43], off
	v_add_u32_e32 v12, 0x680, v12
	global_load_dwordx2 v[58:59], v[58:59], off
	s_waitcnt vmcnt(10)
	v_fmac_f64_e32 v[8:9], v[46:47], v[60:61]
	v_lshl_add_u64 v[46:47], v[14:15], 3, s[8:9]
	v_add_u32_e32 v14, 11, v18
	v_fmac_f64_e32 v[0:1], v[48:49], v[60:61]
	v_lshl_add_u64 v[60:61], v[14:15], 3, s[10:11]
	v_add_u32_e32 v14, 12, v18
	global_load_dwordx4 v[46:49], v[46:47], off
	s_waitcnt vmcnt(7)
	v_fmac_f64_e32 v[8:9], v[22:23], v[50:51]
	global_load_dwordx2 v[18:19], v[60:61], off
	v_lshl_add_u64 v[60:61], v[14:15], 3, s[10:11]
	global_load_dwordx2 v[60:61], v[60:61], off
	v_fmac_f64_e32 v[0:1], v[24:25], v[50:51]
	s_waitcnt vmcnt(8)
	v_fmac_f64_e32 v[8:9], v[30:31], v[52:53]
	v_fmac_f64_e32 v[0:1], v[32:33], v[52:53]
	s_waitcnt vmcnt(7)
	v_fmac_f64_e32 v[8:9], v[34:35], v[54:55]
	;; [unrolled: 3-line block ×6, first 2 shown]
	v_fmac_f64_e32 v[0:1], v[28:29], v[60:61]
	s_andn2_b64 exec, exec, s[16:17]
	s_cbranch_execnz .LBB135_9
; %bb.10:
	s_or_b64 exec, exec, s[16:17]
.LBB135_11:
	s_or_b64 exec, exec, s[14:15]
	s_andn2_b64 vcc, exec, s[4:5]
	s_cbranch_vccz .LBB135_13
	s_branch .LBB135_18
.LBB135_12:
                                        ; implicit-def: $vgpr8_vgpr9
                                        ; implicit-def: $vgpr0_vgpr1
.LBB135_13:
	v_mov_b64_e32 v[8:9], 0
	v_mov_b64_e32 v[0:1], v[8:9]
	s_and_saveexec_b64 s[4:5], s[2:3]
	s_cbranch_execz .LBB135_17
; %bb.14:
	v_mad_u64_u32 v[12:13], s[2:3], v10, 26, 25
	v_mov_b64_e32 v[8:9], 0
	s_mov_b64 s[2:3], 0
	v_mov_b32_e32 v15, 0
	v_mov_b64_e32 v[0:1], v[8:9]
.LBB135_15:                             ; =>This Inner Loop Header: Depth=1
	v_ashrrev_i32_e32 v11, 31, v10
	v_subrev_u32_e32 v14, 25, v12
	v_add_u32_e32 v18, -12, v12
	v_mov_b32_e32 v19, v15
	v_mov_b32_e32 v13, v15
	v_lshl_add_u64 v[26:27], v[10:11], 2, s[6:7]
	v_lshl_add_u64 v[28:29], v[14:15], 3, s[8:9]
	;; [unrolled: 1-line block ×4, first 2 shown]
	global_load_dword v11, v[26:27], off
	global_load_dwordx4 v[22:25], v[28:29], off
	global_load_dwordx2 v[32:33], v[18:19], off
	global_load_dwordx2 v[34:35], v[30:31], off
	v_mov_b32_e32 v17, v15
	v_add_u32_e32 v10, 64, v10
	v_cmp_ge_i32_e32 vcc, v10, v20
	s_or_b64 s[2:3], vcc, s[2:3]
	s_waitcnt vmcnt(3)
	v_subrev_u32_e32 v11, s12, v11
	v_mul_lo_u32 v16, v11, 13
	v_lshl_add_u64 v[18:19], v[16:17], 3, s[10:11]
	global_load_dwordx2 v[18:19], v[18:19], off
	v_add_u32_e32 v14, 1, v16
	v_lshl_add_u64 v[26:27], v[14:15], 3, s[10:11]
	global_load_dwordx2 v[26:27], v[26:27], off
	v_add_u32_e32 v14, -11, v12
	v_lshl_add_u64 v[28:29], v[14:15], 3, s[8:9]
	v_subrev_u32_e32 v14, 23, v12
	global_load_dwordx2 v[28:29], v[28:29], off
	v_lshl_add_u64 v[30:31], v[14:15], 3, s[8:9]
	global_load_dwordx2 v[30:31], v[30:31], off
	v_add_u32_e32 v14, 2, v16
	v_lshl_add_u64 v[36:37], v[14:15], 3, s[10:11]
	v_add_u32_e32 v14, -10, v12
	global_load_dwordx2 v[36:37], v[36:37], off
	v_lshl_add_u64 v[38:39], v[14:15], 3, s[8:9]
	v_subrev_u32_e32 v14, 22, v12
	global_load_dwordx2 v[38:39], v[38:39], off
	v_lshl_add_u64 v[40:41], v[14:15], 3, s[8:9]
	global_load_dwordx2 v[40:41], v[40:41], off
	v_add_u32_e32 v14, 3, v16
	v_lshl_add_u64 v[42:43], v[14:15], 3, s[10:11]
	v_add_u32_e32 v14, -9, v12
	global_load_dwordx2 v[42:43], v[42:43], off
	;; [unrolled: 9-line block ×3, first 2 shown]
	v_lshl_add_u64 v[50:51], v[14:15], 3, s[8:9]
	global_load_dwordx2 v[50:51], v[50:51], off
	v_subrev_u32_e32 v14, 20, v12
	v_lshl_add_u64 v[52:53], v[14:15], 3, s[8:9]
	global_load_dwordx2 v[52:53], v[52:53], off
	v_add_u32_e32 v14, 5, v16
	v_lshl_add_u64 v[54:55], v[14:15], 3, s[10:11]
	v_add_u32_e32 v14, -7, v12
	v_lshl_add_u64 v[56:57], v[14:15], 3, s[8:9]
	v_subrev_u32_e32 v14, 19, v12
	v_lshl_add_u64 v[58:59], v[14:15], 3, s[8:9]
	v_add_u32_e32 v14, 6, v16
	global_load_dwordx2 v[54:55], v[54:55], off
	s_nop 0
	global_load_dwordx2 v[60:61], v[56:57], off
	global_load_dwordx2 v[62:63], v[58:59], off
	v_lshl_add_u64 v[56:57], v[14:15], 3, s[10:11]
	v_add_u32_e32 v14, -6, v12
	v_lshl_add_u64 v[58:59], v[14:15], 3, s[8:9]
	v_subrev_u32_e32 v14, 18, v12
	v_lshl_add_u64 v[64:65], v[14:15], 3, s[8:9]
	v_add_u32_e32 v14, 7, v16
	global_load_dwordx2 v[56:57], v[56:57], off
	s_nop 0
	global_load_dwordx2 v[66:67], v[58:59], off
	global_load_dwordx2 v[68:69], v[64:65], off
	s_waitcnt vmcnt(18)
	v_fmac_f64_e32 v[0:1], v[32:33], v[18:19]
	v_lshl_add_u64 v[32:33], v[14:15], 3, s[10:11]
	v_add_u32_e32 v14, -5, v12
	v_fmac_f64_e32 v[8:9], v[22:23], v[18:19]
	v_lshl_add_u64 v[18:19], v[14:15], 3, s[8:9]
	v_subrev_u32_e32 v14, 17, v12
	v_lshl_add_u64 v[22:23], v[14:15], 3, s[8:9]
	v_add_u32_e32 v14, 8, v16
	global_load_dwordx2 v[32:33], v[32:33], off
	s_waitcnt vmcnt(18)
	v_fmac_f64_e32 v[8:9], v[24:25], v[26:27]
	global_load_dwordx2 v[24:25], v[18:19], off
	global_load_dwordx2 v[58:59], v[22:23], off
	v_lshl_add_u64 v[18:19], v[14:15], 3, s[10:11]
	v_add_u32_e32 v14, -4, v12
	v_lshl_add_u64 v[22:23], v[14:15], 3, s[8:9]
	v_add_u32_e32 v14, -16, v12
	s_waitcnt vmcnt(19)
	v_fmac_f64_e32 v[0:1], v[28:29], v[26:27]
	v_lshl_add_u64 v[26:27], v[14:15], 3, s[8:9]
	v_add_u32_e32 v14, 9, v16
	global_load_dwordx2 v[18:19], v[18:19], off
	s_nop 0
	global_load_dwordx2 v[28:29], v[22:23], off
	global_load_dwordx2 v[64:65], v[26:27], off
	v_lshl_add_u64 v[22:23], v[14:15], 3, s[10:11]
	v_add_u32_e32 v14, -3, v12
	v_lshl_add_u64 v[26:27], v[14:15], 3, s[8:9]
	v_add_u32_e32 v14, -15, v12
	s_waitcnt vmcnt(20)
	v_fmac_f64_e32 v[8:9], v[30:31], v[36:37]
	v_lshl_add_u64 v[30:31], v[14:15], 3, s[8:9]
	v_add_u32_e32 v14, 10, v16
	global_load_dwordx2 v[22:23], v[22:23], off
	s_waitcnt vmcnt(20)
	v_fmac_f64_e32 v[0:1], v[38:39], v[36:37]
	global_load_dwordx2 v[36:37], v[26:27], off
	global_load_dwordx2 v[38:39], v[30:31], off
	v_lshl_add_u64 v[26:27], v[14:15], 3, s[10:11]
	v_add_u32_e32 v14, -2, v12
	v_lshl_add_u64 v[30:31], v[14:15], 3, s[8:9]
	v_add_u32_e32 v14, -14, v12
	s_waitcnt vmcnt(20)
	v_fmac_f64_e32 v[8:9], v[40:41], v[42:43]
	v_lshl_add_u64 v[40:41], v[14:15], 3, s[8:9]
	v_add_u32_e32 v14, 11, v16
	global_load_dwordx2 v[26:27], v[26:27], off
	s_waitcnt vmcnt(20)
	v_fmac_f64_e32 v[0:1], v[44:45], v[42:43]
	;; [unrolled: 13-line block ×3, first 2 shown]
	global_load_dwordx2 v[16:17], v[40:41], off
	global_load_dwordx2 v[48:49], v[46:47], off
	v_lshl_add_u64 v[40:41], v[14:15], 3, s[10:11]
	global_load_dwordx2 v[40:41], v[40:41], off
	s_waitcnt vmcnt(21)
	v_fmac_f64_e32 v[8:9], v[52:53], v[54:55]
	s_waitcnt vmcnt(20)
	v_fmac_f64_e32 v[0:1], v[60:61], v[54:55]
	;; [unrolled: 2-line block ×4, first 2 shown]
	v_add_u32_e32 v12, 0x680, v12
	s_waitcnt vmcnt(15)
	v_fmac_f64_e32 v[8:9], v[68:69], v[32:33]
	s_waitcnt vmcnt(14)
	v_fmac_f64_e32 v[0:1], v[24:25], v[32:33]
	;; [unrolled: 2-line block ×11, first 2 shown]
	v_fmac_f64_e32 v[0:1], v[34:35], v[40:41]
	s_andn2_b64 exec, exec, s[2:3]
	s_cbranch_execnz .LBB135_15
; %bb.16:
	s_or_b64 exec, exec, s[2:3]
.LBB135_17:
	s_or_b64 exec, exec, s[4:5]
.LBB135_18:
	v_mov_b32_dpp v10, v8 row_shr:1 row_mask:0xf bank_mask:0xf
	v_mov_b32_dpp v11, v9 row_shr:1 row_mask:0xf bank_mask:0xf
	;; [unrolled: 1-line block ×4, first 2 shown]
	v_add_f64 v[8:9], v[8:9], v[10:11]
	v_add_f64 v[0:1], v[0:1], v[12:13]
	v_cmp_eq_u32_e32 vcc, 63, v7
	v_mov_b32_dpp v10, v8 row_shr:2 row_mask:0xf bank_mask:0xf
	v_mov_b32_dpp v11, v9 row_shr:2 row_mask:0xf bank_mask:0xf
	v_mov_b32_dpp v12, v0 row_shr:2 row_mask:0xf bank_mask:0xf
	v_mov_b32_dpp v13, v1 row_shr:2 row_mask:0xf bank_mask:0xf
	v_add_f64 v[8:9], v[8:9], v[10:11]
	v_add_f64 v[0:1], v[0:1], v[12:13]
	s_nop 0
	v_mov_b32_dpp v10, v8 row_shr:4 row_mask:0xf bank_mask:0xe
	v_mov_b32_dpp v11, v9 row_shr:4 row_mask:0xf bank_mask:0xe
	v_mov_b32_dpp v12, v0 row_shr:4 row_mask:0xf bank_mask:0xe
	v_mov_b32_dpp v13, v1 row_shr:4 row_mask:0xf bank_mask:0xe
	v_add_f64 v[8:9], v[8:9], v[10:11]
	v_add_f64 v[0:1], v[0:1], v[12:13]
	s_nop 0
	;; [unrolled: 7-line block ×3, first 2 shown]
	v_mov_b32_dpp v10, v8 row_bcast:15 row_mask:0xa bank_mask:0xf
	v_mov_b32_dpp v11, v9 row_bcast:15 row_mask:0xa bank_mask:0xf
	;; [unrolled: 1-line block ×4, first 2 shown]
	v_add_f64 v[8:9], v[8:9], v[10:11]
	v_add_f64 v[0:1], v[0:1], v[12:13]
	s_nop 0
	v_mov_b32_dpp v10, v8 row_bcast:31 row_mask:0xc bank_mask:0xf
	v_mov_b32_dpp v11, v9 row_bcast:31 row_mask:0xc bank_mask:0xf
	;; [unrolled: 1-line block ×4, first 2 shown]
	s_and_b64 exec, exec, vcc
	s_cbranch_execz .LBB135_23
; %bb.19:
	s_load_dwordx2 s[0:1], s[0:1], 0x38
	v_add_f64 v[8:9], v[8:9], v[10:11]
	v_add_f64 v[0:1], v[0:1], v[12:13]
	v_cmp_eq_f64_e32 vcc, 0, v[4:5]
	s_and_saveexec_b64 s[2:3], vcc
	s_xor_b64 s[2:3], exec, s[2:3]
	s_cbranch_execz .LBB135_21
; %bb.20:
	v_lshlrev_b32_e32 v6, 1, v6
	v_ashrrev_i32_e32 v7, 31, v6
	v_mul_f64 v[4:5], v[2:3], v[8:9]
	s_waitcnt lgkmcnt(0)
	v_lshl_add_u64 v[8:9], v[6:7], 3, s[0:1]
	v_mul_f64 v[6:7], v[2:3], v[0:1]
	global_store_dwordx4 v[8:9], v[4:7], off
                                        ; implicit-def: $vgpr6
                                        ; implicit-def: $vgpr2_vgpr3
                                        ; implicit-def: $vgpr8_vgpr9
                                        ; implicit-def: $vgpr4_vgpr5
                                        ; implicit-def: $vgpr0_vgpr1
.LBB135_21:
	s_andn2_saveexec_b64 s[2:3], s[2:3]
	s_cbranch_execz .LBB135_23
; %bb.22:
	v_lshlrev_b32_e32 v6, 1, v6
	v_ashrrev_i32_e32 v7, 31, v6
	s_waitcnt lgkmcnt(0)
	v_lshl_add_u64 v[14:15], v[6:7], 3, s[0:1]
	global_load_dwordx4 v[10:13], v[14:15], off
	v_mul_f64 v[6:7], v[2:3], v[8:9]
	v_mul_f64 v[8:9], v[2:3], v[0:1]
	s_waitcnt vmcnt(0)
	v_fmac_f64_e32 v[6:7], v[4:5], v[10:11]
	v_fmac_f64_e32 v[8:9], v[4:5], v[12:13]
	global_store_dwordx4 v[14:15], v[6:9], off
.LBB135_23:
	s_endpgm
	.section	.rodata,"a",@progbits
	.p2align	6, 0x0
	.amdhsa_kernel _ZN9rocsparseL19gebsrmvn_2xn_kernelILj128ELj13ELj64EdEEvi20rocsparse_direction_NS_24const_host_device_scalarIT2_EEPKiS6_PKS3_S8_S4_PS3_21rocsparse_index_base_b
		.amdhsa_group_segment_fixed_size 0
		.amdhsa_private_segment_fixed_size 0
		.amdhsa_kernarg_size 72
		.amdhsa_user_sgpr_count 2
		.amdhsa_user_sgpr_dispatch_ptr 0
		.amdhsa_user_sgpr_queue_ptr 0
		.amdhsa_user_sgpr_kernarg_segment_ptr 1
		.amdhsa_user_sgpr_dispatch_id 0
		.amdhsa_user_sgpr_kernarg_preload_length 0
		.amdhsa_user_sgpr_kernarg_preload_offset 0
		.amdhsa_user_sgpr_private_segment_size 0
		.amdhsa_uses_dynamic_stack 0
		.amdhsa_enable_private_segment 0
		.amdhsa_system_sgpr_workgroup_id_x 1
		.amdhsa_system_sgpr_workgroup_id_y 0
		.amdhsa_system_sgpr_workgroup_id_z 0
		.amdhsa_system_sgpr_workgroup_info 0
		.amdhsa_system_vgpr_workitem_id 0
		.amdhsa_next_free_vgpr 70
		.amdhsa_next_free_sgpr 18
		.amdhsa_accum_offset 72
		.amdhsa_reserve_vcc 1
		.amdhsa_float_round_mode_32 0
		.amdhsa_float_round_mode_16_64 0
		.amdhsa_float_denorm_mode_32 3
		.amdhsa_float_denorm_mode_16_64 3
		.amdhsa_dx10_clamp 1
		.amdhsa_ieee_mode 1
		.amdhsa_fp16_overflow 0
		.amdhsa_tg_split 0
		.amdhsa_exception_fp_ieee_invalid_op 0
		.amdhsa_exception_fp_denorm_src 0
		.amdhsa_exception_fp_ieee_div_zero 0
		.amdhsa_exception_fp_ieee_overflow 0
		.amdhsa_exception_fp_ieee_underflow 0
		.amdhsa_exception_fp_ieee_inexact 0
		.amdhsa_exception_int_div_zero 0
	.end_amdhsa_kernel
	.section	.text._ZN9rocsparseL19gebsrmvn_2xn_kernelILj128ELj13ELj64EdEEvi20rocsparse_direction_NS_24const_host_device_scalarIT2_EEPKiS6_PKS3_S8_S4_PS3_21rocsparse_index_base_b,"axG",@progbits,_ZN9rocsparseL19gebsrmvn_2xn_kernelILj128ELj13ELj64EdEEvi20rocsparse_direction_NS_24const_host_device_scalarIT2_EEPKiS6_PKS3_S8_S4_PS3_21rocsparse_index_base_b,comdat
.Lfunc_end135:
	.size	_ZN9rocsparseL19gebsrmvn_2xn_kernelILj128ELj13ELj64EdEEvi20rocsparse_direction_NS_24const_host_device_scalarIT2_EEPKiS6_PKS3_S8_S4_PS3_21rocsparse_index_base_b, .Lfunc_end135-_ZN9rocsparseL19gebsrmvn_2xn_kernelILj128ELj13ELj64EdEEvi20rocsparse_direction_NS_24const_host_device_scalarIT2_EEPKiS6_PKS3_S8_S4_PS3_21rocsparse_index_base_b
                                        ; -- End function
	.section	.AMDGPU.csdata,"",@progbits
; Kernel info:
; codeLenInByte = 2580
; NumSgprs: 24
; NumVgprs: 70
; NumAgprs: 0
; TotalNumVgprs: 70
; ScratchSize: 0
; MemoryBound: 0
; FloatMode: 240
; IeeeMode: 1
; LDSByteSize: 0 bytes/workgroup (compile time only)
; SGPRBlocks: 2
; VGPRBlocks: 8
; NumSGPRsForWavesPerEU: 24
; NumVGPRsForWavesPerEU: 70
; AccumOffset: 72
; Occupancy: 7
; WaveLimiterHint : 1
; COMPUTE_PGM_RSRC2:SCRATCH_EN: 0
; COMPUTE_PGM_RSRC2:USER_SGPR: 2
; COMPUTE_PGM_RSRC2:TRAP_HANDLER: 0
; COMPUTE_PGM_RSRC2:TGID_X_EN: 1
; COMPUTE_PGM_RSRC2:TGID_Y_EN: 0
; COMPUTE_PGM_RSRC2:TGID_Z_EN: 0
; COMPUTE_PGM_RSRC2:TIDIG_COMP_CNT: 0
; COMPUTE_PGM_RSRC3_GFX90A:ACCUM_OFFSET: 17
; COMPUTE_PGM_RSRC3_GFX90A:TG_SPLIT: 0
	.section	.text._ZN9rocsparseL19gebsrmvn_2xn_kernelILj128ELj14ELj4EdEEvi20rocsparse_direction_NS_24const_host_device_scalarIT2_EEPKiS6_PKS3_S8_S4_PS3_21rocsparse_index_base_b,"axG",@progbits,_ZN9rocsparseL19gebsrmvn_2xn_kernelILj128ELj14ELj4EdEEvi20rocsparse_direction_NS_24const_host_device_scalarIT2_EEPKiS6_PKS3_S8_S4_PS3_21rocsparse_index_base_b,comdat
	.globl	_ZN9rocsparseL19gebsrmvn_2xn_kernelILj128ELj14ELj4EdEEvi20rocsparse_direction_NS_24const_host_device_scalarIT2_EEPKiS6_PKS3_S8_S4_PS3_21rocsparse_index_base_b ; -- Begin function _ZN9rocsparseL19gebsrmvn_2xn_kernelILj128ELj14ELj4EdEEvi20rocsparse_direction_NS_24const_host_device_scalarIT2_EEPKiS6_PKS3_S8_S4_PS3_21rocsparse_index_base_b
	.p2align	8
	.type	_ZN9rocsparseL19gebsrmvn_2xn_kernelILj128ELj14ELj4EdEEvi20rocsparse_direction_NS_24const_host_device_scalarIT2_EEPKiS6_PKS3_S8_S4_PS3_21rocsparse_index_base_b,@function
_ZN9rocsparseL19gebsrmvn_2xn_kernelILj128ELj14ELj4EdEEvi20rocsparse_direction_NS_24const_host_device_scalarIT2_EEPKiS6_PKS3_S8_S4_PS3_21rocsparse_index_base_b: ; @_ZN9rocsparseL19gebsrmvn_2xn_kernelILj128ELj14ELj4EdEEvi20rocsparse_direction_NS_24const_host_device_scalarIT2_EEPKiS6_PKS3_S8_S4_PS3_21rocsparse_index_base_b
; %bb.0:
	s_load_dwordx2 s[12:13], s[0:1], 0x40
	s_load_dwordx2 s[8:9], s[0:1], 0x8
	;; [unrolled: 1-line block ×3, first 2 shown]
	s_waitcnt lgkmcnt(0)
	s_bitcmp1_b32 s13, 0
	s_cselect_b64 s[10:11], -1, 0
	s_xor_b64 s[6:7], s[10:11], -1
	s_and_b64 vcc, exec, s[10:11]
	v_mov_b64_e32 v[2:3], s[8:9]
	s_cbranch_vccnz .LBB136_2
; %bb.1:
	v_mov_b64_e32 v[2:3], s[8:9]
	flat_load_dwordx2 v[2:3], v[2:3]
.LBB136_2:
	s_andn2_b64 vcc, exec, s[6:7]
	v_mov_b64_e32 v[4:5], s[4:5]
	s_cbranch_vccnz .LBB136_4
; %bb.3:
	v_mov_b64_e32 v[4:5], s[4:5]
	flat_load_dwordx2 v[4:5], v[4:5]
.LBB136_4:
	s_waitcnt vmcnt(0) lgkmcnt(0)
	v_cmp_neq_f64_e32 vcc, 0, v[2:3]
	v_cmp_neq_f64_e64 s[4:5], 1.0, v[4:5]
	s_or_b64 s[4:5], vcc, s[4:5]
	s_and_saveexec_b64 s[6:7], s[4:5]
	s_cbranch_execz .LBB136_23
; %bb.5:
	s_load_dwordx2 s[14:15], s[0:1], 0x0
	v_lshrrev_b32_e32 v1, 2, v0
	v_lshl_or_b32 v6, s2, 5, v1
	s_waitcnt lgkmcnt(0)
	v_cmp_gt_i32_e32 vcc, s14, v6
	s_and_b64 exec, exec, vcc
	s_cbranch_execz .LBB136_23
; %bb.6:
	s_load_dwordx8 s[4:11], s[0:1], 0x10
	v_ashrrev_i32_e32 v7, 31, v6
	s_cmp_lg_u32 s15, 0
	s_waitcnt lgkmcnt(0)
	v_lshl_add_u64 v[8:9], v[6:7], 2, s[4:5]
	global_load_dwordx2 v[8:9], v[8:9], off
	v_and_b32_e32 v7, 3, v0
	s_waitcnt vmcnt(0)
	v_subrev_u32_e32 v0, s12, v8
	v_subrev_u32_e32 v20, s12, v9
	v_add_u32_e32 v8, v0, v7
	v_cmp_lt_i32_e64 s[2:3], v8, v20
	s_cbranch_scc0 .LBB136_12
; %bb.7:
	v_mov_b64_e32 v[0:1], 0
	s_mov_b64 s[4:5], 0
	v_mov_b64_e32 v[10:11], v[0:1]
	s_and_saveexec_b64 s[14:15], s[2:3]
	s_cbranch_execz .LBB136_11
; %bb.8:
	v_mad_u64_u32 v[12:13], s[16:17], v8, 28, 26
	v_mov_b64_e32 v[0:1], 0
	s_mov_b64 s[16:17], 0
	v_mov_b32_e32 v15, 0
	v_mov_b32_e32 v16, v8
	v_mov_b64_e32 v[10:11], v[0:1]
.LBB136_9:                              ; =>This Inner Loop Header: Depth=1
	v_ashrrev_i32_e32 v17, 31, v16
	v_subrev_u32_e32 v14, 26, v12
	v_lshl_add_u64 v[30:31], v[16:17], 2, s[6:7]
	v_lshl_add_u64 v[32:33], v[14:15], 3, s[8:9]
	global_load_dword v9, v[30:31], off
	global_load_dwordx4 v[22:25], v[32:33], off offset:16
	global_load_dwordx4 v[26:29], v[32:33], off
	v_mov_b32_e32 v19, v15
	v_subrev_u32_e32 v14, 22, v12
	v_lshl_add_u64 v[30:31], v[14:15], 3, s[8:9]
	global_load_dwordx4 v[30:33], v[30:31], off
	v_mov_b32_e32 v13, v15
	v_lshl_add_u64 v[82:83], v[12:13], 3, s[8:9]
	v_add_u32_e32 v16, 4, v16
	v_cmp_ge_i32_e32 vcc, v16, v20
	s_or_b64 s[16:17], vcc, s[16:17]
	s_waitcnt vmcnt(3)
	v_subrev_u32_e32 v9, s12, v9
	v_mul_lo_u32 v18, v9, 14
	v_lshl_add_u64 v[34:35], v[18:19], 3, s[10:11]
	global_load_dwordx4 v[34:37], v[34:35], off
	v_add_u32_e32 v14, 2, v18
	v_lshl_add_u64 v[38:39], v[14:15], 3, s[10:11]
	global_load_dwordx4 v[38:41], v[38:39], off
	v_subrev_u32_e32 v14, 20, v12
	v_lshl_add_u64 v[42:43], v[14:15], 3, s[8:9]
	global_load_dwordx4 v[42:45], v[42:43], off
	v_subrev_u32_e32 v14, 18, v12
	v_lshl_add_u64 v[46:47], v[14:15], 3, s[8:9]
	global_load_dwordx4 v[46:49], v[46:47], off
	v_add_u32_e32 v14, 4, v18
	v_lshl_add_u64 v[50:51], v[14:15], 3, s[10:11]
	v_add_u32_e32 v14, -16, v12
	v_lshl_add_u64 v[62:63], v[14:15], 3, s[8:9]
	v_add_u32_e32 v14, -14, v12
	v_lshl_add_u64 v[64:65], v[14:15], 3, s[8:9]
	v_add_u32_e32 v14, 6, v18
	global_load_dwordx4 v[50:53], v[50:51], off
	s_nop 0
	global_load_dwordx4 v[54:57], v[62:63], off
	global_load_dwordx4 v[58:61], v[64:65], off
	v_lshl_add_u64 v[62:63], v[14:15], 3, s[10:11]
	v_add_u32_e32 v14, -12, v12
	v_lshl_add_u64 v[74:75], v[14:15], 3, s[8:9]
	v_add_u32_e32 v14, -10, v12
	v_lshl_add_u64 v[76:77], v[14:15], 3, s[8:9]
	v_add_u32_e32 v14, 8, v18
	global_load_dwordx4 v[62:65], v[62:63], off
	s_nop 0
	global_load_dwordx4 v[66:69], v[74:75], off
	global_load_dwordx4 v[70:73], v[76:77], off
	v_lshl_add_u64 v[74:75], v[14:15], 3, s[10:11]
	v_add_u32_e32 v14, -8, v12
	v_lshl_add_u64 v[84:85], v[14:15], 3, s[8:9]
	v_add_u32_e32 v14, -6, v12
	global_load_dwordx4 v[74:77], v[74:75], off
	v_lshl_add_u64 v[86:87], v[14:15], 3, s[8:9]
	v_add_u32_e32 v14, 10, v18
	s_waitcnt vmcnt(10)
	v_fmac_f64_e32 v[0:1], v[26:27], v[34:35]
	v_fmac_f64_e32 v[10:11], v[28:29], v[34:35]
	;; [unrolled: 1-line block ×3, first 2 shown]
	v_lshl_add_u64 v[22:23], v[14:15], 3, s[10:11]
	v_add_u32_e32 v14, -4, v12
	global_load_dwordx4 v[26:29], v[84:85], off
	global_load_dwordx4 v[78:81], v[86:87], off
	v_fmac_f64_e32 v[10:11], v[24:25], v[36:37]
	v_lshl_add_u64 v[34:35], v[14:15], 3, s[8:9]
	v_add_u32_e32 v14, -2, v12
	global_load_dwordx4 v[22:25], v[22:23], off
	v_lshl_add_u64 v[84:85], v[14:15], 3, s[8:9]
	v_add_u32_e32 v14, 12, v18
	global_load_dwordx4 v[34:37], v[34:35], off
	s_waitcnt vmcnt(13)
	v_fmac_f64_e32 v[0:1], v[30:31], v[38:39]
	v_fmac_f64_e32 v[10:11], v[32:33], v[38:39]
	global_load_dwordx4 v[30:33], v[84:85], off
	v_lshl_add_u64 v[18:19], v[14:15], 3, s[10:11]
	s_waitcnt vmcnt(13)
	v_fmac_f64_e32 v[0:1], v[42:43], v[40:41]
	v_fmac_f64_e32 v[10:11], v[44:45], v[40:41]
	global_load_dwordx4 v[38:41], v[18:19], off
	global_load_dwordx4 v[42:45], v[82:83], off
	s_waitcnt vmcnt(13)
	v_fmac_f64_e32 v[0:1], v[46:47], v[50:51]
	v_fmac_f64_e32 v[10:11], v[48:49], v[50:51]
	s_waitcnt vmcnt(12)
	v_fmac_f64_e32 v[0:1], v[54:55], v[52:53]
	v_fmac_f64_e32 v[10:11], v[56:57], v[52:53]
	v_add_u32_e32 v12, 0x70, v12
	s_waitcnt vmcnt(10)
	v_fmac_f64_e32 v[0:1], v[58:59], v[62:63]
	v_fmac_f64_e32 v[10:11], v[60:61], v[62:63]
	s_waitcnt vmcnt(9)
	v_fmac_f64_e32 v[0:1], v[66:67], v[64:65]
	v_fmac_f64_e32 v[10:11], v[68:69], v[64:65]
	;; [unrolled: 3-line block ×8, first 2 shown]
	s_andn2_b64 exec, exec, s[16:17]
	s_cbranch_execnz .LBB136_9
; %bb.10:
	s_or_b64 exec, exec, s[16:17]
.LBB136_11:
	s_or_b64 exec, exec, s[14:15]
	s_andn2_b64 vcc, exec, s[4:5]
	s_cbranch_vccz .LBB136_13
	s_branch .LBB136_18
.LBB136_12:
                                        ; implicit-def: $vgpr0_vgpr1
                                        ; implicit-def: $vgpr10_vgpr11
.LBB136_13:
	v_mov_b64_e32 v[0:1], 0
	v_mov_b64_e32 v[10:11], v[0:1]
	s_and_saveexec_b64 s[4:5], s[2:3]
	s_cbranch_execz .LBB136_17
; %bb.14:
	v_mad_u64_u32 v[12:13], s[2:3], v8, 28, 27
	v_mov_b64_e32 v[0:1], 0
	s_mov_b64 s[2:3], 0
	v_mov_b32_e32 v15, 0
	v_mov_b64_e32 v[10:11], v[0:1]
.LBB136_15:                             ; =>This Inner Loop Header: Depth=1
	v_ashrrev_i32_e32 v9, 31, v8
	v_subrev_u32_e32 v14, 27, v12
	v_lshl_add_u64 v[30:31], v[8:9], 2, s[6:7]
	v_lshl_add_u64 v[32:33], v[14:15], 3, s[8:9]
	global_load_dword v9, v[30:31], off
	global_load_dwordx4 v[22:25], v[32:33], off offset:16
	global_load_dwordx4 v[26:29], v[32:33], off
	v_add_u32_e32 v18, -13, v12
	v_mov_b32_e32 v19, v15
	v_mov_b32_e32 v17, v15
	v_lshl_add_u64 v[18:19], v[18:19], 3, s[8:9]
	v_add_u32_e32 v14, -12, v12
	v_lshl_add_u64 v[30:31], v[14:15], 3, s[8:9]
	global_load_dwordx2 v[48:49], v[18:19], off
	global_load_dwordx2 v[50:51], v[30:31], off
	v_mov_b32_e32 v13, v15
	v_lshl_add_u64 v[46:47], v[12:13], 3, s[8:9]
	v_add_u32_e32 v8, 4, v8
	v_cmp_ge_i32_e32 vcc, v8, v20
	s_or_b64 s[2:3], vcc, s[2:3]
	s_waitcnt vmcnt(4)
	v_subrev_u32_e32 v9, s12, v9
	v_mul_lo_u32 v16, v9, 14
	v_lshl_add_u64 v[18:19], v[16:17], 3, s[10:11]
	global_load_dwordx4 v[30:33], v[18:19], off
	v_add_u32_e32 v14, 2, v16
	v_lshl_add_u64 v[18:19], v[14:15], 3, s[10:11]
	v_add_u32_e32 v14, -11, v12
	global_load_dwordx4 v[34:37], v[18:19], off
	v_lshl_add_u64 v[18:19], v[14:15], 3, s[8:9]
	v_add_u32_e32 v14, -10, v12
	global_load_dwordx2 v[18:19], v[18:19], off
	v_lshl_add_u64 v[38:39], v[14:15], 3, s[8:9]
	global_load_dwordx2 v[52:53], v[38:39], off
	v_subrev_u32_e32 v14, 23, v12
	v_lshl_add_u64 v[38:39], v[14:15], 3, s[8:9]
	v_add_u32_e32 v14, 4, v16
	global_load_dwordx2 v[54:55], v[38:39], off
	v_lshl_add_u64 v[38:39], v[14:15], 3, s[10:11]
	v_add_u32_e32 v14, -9, v12
	v_lshl_add_u64 v[42:43], v[14:15], 3, s[8:9]
	global_load_dwordx4 v[38:41], v[38:39], off
	v_subrev_u32_e32 v14, 22, v12
	global_load_dwordx2 v[56:57], v[42:43], off
	v_lshl_add_u64 v[42:43], v[14:15], 3, s[8:9]
	v_add_u32_e32 v14, -8, v12
	v_lshl_add_u64 v[44:45], v[14:15], 3, s[8:9]
	v_subrev_u32_e32 v14, 21, v12
	global_load_dwordx2 v[58:59], v[42:43], off
	v_lshl_add_u64 v[42:43], v[14:15], 3, s[8:9]
	v_add_u32_e32 v14, 6, v16
	global_load_dwordx2 v[60:61], v[44:45], off
	global_load_dwordx2 v[62:63], v[42:43], off
	v_lshl_add_u64 v[42:43], v[14:15], 3, s[10:11]
	v_add_u32_e32 v14, -7, v12
	v_lshl_add_u64 v[64:65], v[14:15], 3, s[8:9]
	v_subrev_u32_e32 v14, 20, v12
	v_lshl_add_u64 v[66:67], v[14:15], 3, s[8:9]
	v_add_u32_e32 v14, -6, v12
	v_lshl_add_u64 v[68:69], v[14:15], 3, s[8:9]
	v_subrev_u32_e32 v14, 19, v12
	v_lshl_add_u64 v[70:71], v[14:15], 3, s[8:9]
	v_add_u32_e32 v14, 8, v16
	v_lshl_add_u64 v[72:73], v[14:15], 3, s[10:11]
	v_add_u32_e32 v14, -5, v12
	v_lshl_add_u64 v[74:75], v[14:15], 3, s[8:9]
	v_subrev_u32_e32 v14, 18, v12
	global_load_dwordx4 v[42:45], v[42:43], off
	s_waitcnt vmcnt(10)
	v_fmac_f64_e32 v[0:1], v[26:27], v[30:31]
	v_fmac_f64_e32 v[10:11], v[48:49], v[30:31]
	v_lshl_add_u64 v[30:31], v[14:15], 3, s[8:9]
	v_add_u32_e32 v14, -4, v12
	v_fmac_f64_e32 v[0:1], v[28:29], v[32:33]
	v_fmac_f64_e32 v[10:11], v[50:51], v[32:33]
	v_lshl_add_u64 v[32:33], v[14:15], 3, s[8:9]
	v_subrev_u32_e32 v14, 17, v12
	v_lshl_add_u64 v[50:51], v[14:15], 3, s[8:9]
	v_add_u32_e32 v14, 10, v16
	global_load_dwordx2 v[64:65], v[64:65], off
	s_waitcnt vmcnt(10)
	v_fmac_f64_e32 v[0:1], v[22:23], v[34:35]
	global_load_dwordx2 v[66:67], v[66:67], off
	s_waitcnt vmcnt(10)
	v_fmac_f64_e32 v[10:11], v[18:19], v[34:35]
	global_load_dwordx2 v[68:69], v[68:69], off
	v_fmac_f64_e32 v[0:1], v[24:25], v[36:37]
	global_load_dwordx4 v[26:29], v[72:73], off
	v_lshl_add_u64 v[72:73], v[14:15], 3, s[10:11]
	v_add_u32_e32 v14, -3, v12
	global_load_dwordx2 v[48:49], v[74:75], off
	v_lshl_add_u64 v[74:75], v[14:15], 3, s[8:9]
	v_add_u32_e32 v14, -16, v12
	global_load_dwordx2 v[70:71], v[70:71], off
	;; [unrolled: 3-line block ×3, first 2 shown]
	s_waitcnt vmcnt(14)
	v_fmac_f64_e32 v[10:11], v[52:53], v[36:37]
	global_load_dwordx2 v[32:33], v[32:33], off
	v_lshl_add_u64 v[36:37], v[14:15], 3, s[8:9]
	v_add_u32_e32 v14, -15, v12
	global_load_dwordx2 v[50:51], v[50:51], off
	s_waitcnt vmcnt(14)
	v_fmac_f64_e32 v[0:1], v[54:55], v[38:39]
	global_load_dwordx4 v[22:25], v[72:73], off
	global_load_dwordx2 v[34:35], v[74:75], off
	global_load_dwordx2 v[52:53], v[18:19], off
	v_lshl_add_u64 v[18:19], v[14:15], 3, s[8:9]
	v_add_u32_e32 v14, 12, v16
	v_lshl_add_u64 v[16:17], v[14:15], 3, s[10:11]
	v_add_u32_e32 v14, -1, v12
	global_load_dwordx2 v[72:73], v[36:37], off
	global_load_dwordx2 v[74:75], v[18:19], off
	v_lshl_add_u64 v[36:37], v[14:15], 3, s[8:9]
	global_load_dwordx4 v[16:19], v[16:17], off
	v_add_u32_e32 v14, -14, v12
	s_waitcnt vmcnt(19)
	v_fmac_f64_e32 v[10:11], v[56:57], v[38:39]
	v_lshl_add_u64 v[38:39], v[14:15], 3, s[8:9]
	global_load_dwordx2 v[54:55], v[36:37], off
	global_load_dwordx2 v[56:57], v[38:39], off
	;; [unrolled: 1-line block ×3, first 2 shown]
	s_waitcnt vmcnt(21)
	v_fmac_f64_e32 v[0:1], v[58:59], v[40:41]
	s_waitcnt vmcnt(20)
	v_fmac_f64_e32 v[10:11], v[60:61], v[40:41]
	;; [unrolled: 2-line block ×3, first 2 shown]
	v_add_u32_e32 v12, 0x70, v12
	s_waitcnt vmcnt(17)
	v_fmac_f64_e32 v[10:11], v[64:65], v[42:43]
	s_waitcnt vmcnt(16)
	v_fmac_f64_e32 v[0:1], v[66:67], v[44:45]
	;; [unrolled: 2-line block ×15, first 2 shown]
	s_andn2_b64 exec, exec, s[2:3]
	s_cbranch_execnz .LBB136_15
; %bb.16:
	s_or_b64 exec, exec, s[2:3]
.LBB136_17:
	s_or_b64 exec, exec, s[4:5]
.LBB136_18:
	v_mov_b32_dpp v8, v0 row_shr:1 row_mask:0xf bank_mask:0xf
	v_mov_b32_dpp v9, v1 row_shr:1 row_mask:0xf bank_mask:0xf
	;; [unrolled: 1-line block ×4, first 2 shown]
	v_add_f64 v[0:1], v[0:1], v[8:9]
	v_add_f64 v[10:11], v[10:11], v[12:13]
	v_cmp_eq_u32_e32 vcc, 3, v7
	v_mov_b32_dpp v8, v0 row_shr:2 row_mask:0xf bank_mask:0xf
	v_mov_b32_dpp v9, v1 row_shr:2 row_mask:0xf bank_mask:0xf
	;; [unrolled: 1-line block ×4, first 2 shown]
	s_and_b64 exec, exec, vcc
	s_cbranch_execz .LBB136_23
; %bb.19:
	s_load_dwordx2 s[0:1], s[0:1], 0x38
	v_add_f64 v[8:9], v[0:1], v[8:9]
	v_add_f64 v[0:1], v[10:11], v[12:13]
	v_cmp_eq_f64_e32 vcc, 0, v[4:5]
	s_and_saveexec_b64 s[2:3], vcc
	s_xor_b64 s[2:3], exec, s[2:3]
	s_cbranch_execz .LBB136_21
; %bb.20:
	v_lshlrev_b32_e32 v6, 1, v6
	v_ashrrev_i32_e32 v7, 31, v6
	v_mul_f64 v[4:5], v[2:3], v[8:9]
	s_waitcnt lgkmcnt(0)
	v_lshl_add_u64 v[8:9], v[6:7], 3, s[0:1]
	v_mul_f64 v[6:7], v[2:3], v[0:1]
	global_store_dwordx4 v[8:9], v[4:7], off
                                        ; implicit-def: $vgpr6
                                        ; implicit-def: $vgpr2_vgpr3
                                        ; implicit-def: $vgpr8_vgpr9
                                        ; implicit-def: $vgpr4_vgpr5
                                        ; implicit-def: $vgpr0_vgpr1
.LBB136_21:
	s_andn2_saveexec_b64 s[2:3], s[2:3]
	s_cbranch_execz .LBB136_23
; %bb.22:
	v_lshlrev_b32_e32 v6, 1, v6
	v_ashrrev_i32_e32 v7, 31, v6
	s_waitcnt lgkmcnt(0)
	v_lshl_add_u64 v[14:15], v[6:7], 3, s[0:1]
	global_load_dwordx4 v[10:13], v[14:15], off
	v_mul_f64 v[6:7], v[2:3], v[8:9]
	v_mul_f64 v[8:9], v[2:3], v[0:1]
	s_waitcnt vmcnt(0)
	v_fmac_f64_e32 v[6:7], v[4:5], v[10:11]
	v_fmac_f64_e32 v[8:9], v[4:5], v[12:13]
	global_store_dwordx4 v[14:15], v[6:9], off
.LBB136_23:
	s_endpgm
	.section	.rodata,"a",@progbits
	.p2align	6, 0x0
	.amdhsa_kernel _ZN9rocsparseL19gebsrmvn_2xn_kernelILj128ELj14ELj4EdEEvi20rocsparse_direction_NS_24const_host_device_scalarIT2_EEPKiS6_PKS3_S8_S4_PS3_21rocsparse_index_base_b
		.amdhsa_group_segment_fixed_size 0
		.amdhsa_private_segment_fixed_size 0
		.amdhsa_kernarg_size 72
		.amdhsa_user_sgpr_count 2
		.amdhsa_user_sgpr_dispatch_ptr 0
		.amdhsa_user_sgpr_queue_ptr 0
		.amdhsa_user_sgpr_kernarg_segment_ptr 1
		.amdhsa_user_sgpr_dispatch_id 0
		.amdhsa_user_sgpr_kernarg_preload_length 0
		.amdhsa_user_sgpr_kernarg_preload_offset 0
		.amdhsa_user_sgpr_private_segment_size 0
		.amdhsa_uses_dynamic_stack 0
		.amdhsa_enable_private_segment 0
		.amdhsa_system_sgpr_workgroup_id_x 1
		.amdhsa_system_sgpr_workgroup_id_y 0
		.amdhsa_system_sgpr_workgroup_id_z 0
		.amdhsa_system_sgpr_workgroup_info 0
		.amdhsa_system_vgpr_workitem_id 0
		.amdhsa_next_free_vgpr 88
		.amdhsa_next_free_sgpr 18
		.amdhsa_accum_offset 88
		.amdhsa_reserve_vcc 1
		.amdhsa_float_round_mode_32 0
		.amdhsa_float_round_mode_16_64 0
		.amdhsa_float_denorm_mode_32 3
		.amdhsa_float_denorm_mode_16_64 3
		.amdhsa_dx10_clamp 1
		.amdhsa_ieee_mode 1
		.amdhsa_fp16_overflow 0
		.amdhsa_tg_split 0
		.amdhsa_exception_fp_ieee_invalid_op 0
		.amdhsa_exception_fp_denorm_src 0
		.amdhsa_exception_fp_ieee_div_zero 0
		.amdhsa_exception_fp_ieee_overflow 0
		.amdhsa_exception_fp_ieee_underflow 0
		.amdhsa_exception_fp_ieee_inexact 0
		.amdhsa_exception_int_div_zero 0
	.end_amdhsa_kernel
	.section	.text._ZN9rocsparseL19gebsrmvn_2xn_kernelILj128ELj14ELj4EdEEvi20rocsparse_direction_NS_24const_host_device_scalarIT2_EEPKiS6_PKS3_S8_S4_PS3_21rocsparse_index_base_b,"axG",@progbits,_ZN9rocsparseL19gebsrmvn_2xn_kernelILj128ELj14ELj4EdEEvi20rocsparse_direction_NS_24const_host_device_scalarIT2_EEPKiS6_PKS3_S8_S4_PS3_21rocsparse_index_base_b,comdat
.Lfunc_end136:
	.size	_ZN9rocsparseL19gebsrmvn_2xn_kernelILj128ELj14ELj4EdEEvi20rocsparse_direction_NS_24const_host_device_scalarIT2_EEPKiS6_PKS3_S8_S4_PS3_21rocsparse_index_base_b, .Lfunc_end136-_ZN9rocsparseL19gebsrmvn_2xn_kernelILj128ELj14ELj4EdEEvi20rocsparse_direction_NS_24const_host_device_scalarIT2_EEPKiS6_PKS3_S8_S4_PS3_21rocsparse_index_base_b
                                        ; -- End function
	.section	.AMDGPU.csdata,"",@progbits
; Kernel info:
; codeLenInByte = 2156
; NumSgprs: 24
; NumVgprs: 88
; NumAgprs: 0
; TotalNumVgprs: 88
; ScratchSize: 0
; MemoryBound: 1
; FloatMode: 240
; IeeeMode: 1
; LDSByteSize: 0 bytes/workgroup (compile time only)
; SGPRBlocks: 2
; VGPRBlocks: 10
; NumSGPRsForWavesPerEU: 24
; NumVGPRsForWavesPerEU: 88
; AccumOffset: 88
; Occupancy: 5
; WaveLimiterHint : 1
; COMPUTE_PGM_RSRC2:SCRATCH_EN: 0
; COMPUTE_PGM_RSRC2:USER_SGPR: 2
; COMPUTE_PGM_RSRC2:TRAP_HANDLER: 0
; COMPUTE_PGM_RSRC2:TGID_X_EN: 1
; COMPUTE_PGM_RSRC2:TGID_Y_EN: 0
; COMPUTE_PGM_RSRC2:TGID_Z_EN: 0
; COMPUTE_PGM_RSRC2:TIDIG_COMP_CNT: 0
; COMPUTE_PGM_RSRC3_GFX90A:ACCUM_OFFSET: 21
; COMPUTE_PGM_RSRC3_GFX90A:TG_SPLIT: 0
	.section	.text._ZN9rocsparseL19gebsrmvn_2xn_kernelILj128ELj14ELj8EdEEvi20rocsparse_direction_NS_24const_host_device_scalarIT2_EEPKiS6_PKS3_S8_S4_PS3_21rocsparse_index_base_b,"axG",@progbits,_ZN9rocsparseL19gebsrmvn_2xn_kernelILj128ELj14ELj8EdEEvi20rocsparse_direction_NS_24const_host_device_scalarIT2_EEPKiS6_PKS3_S8_S4_PS3_21rocsparse_index_base_b,comdat
	.globl	_ZN9rocsparseL19gebsrmvn_2xn_kernelILj128ELj14ELj8EdEEvi20rocsparse_direction_NS_24const_host_device_scalarIT2_EEPKiS6_PKS3_S8_S4_PS3_21rocsparse_index_base_b ; -- Begin function _ZN9rocsparseL19gebsrmvn_2xn_kernelILj128ELj14ELj8EdEEvi20rocsparse_direction_NS_24const_host_device_scalarIT2_EEPKiS6_PKS3_S8_S4_PS3_21rocsparse_index_base_b
	.p2align	8
	.type	_ZN9rocsparseL19gebsrmvn_2xn_kernelILj128ELj14ELj8EdEEvi20rocsparse_direction_NS_24const_host_device_scalarIT2_EEPKiS6_PKS3_S8_S4_PS3_21rocsparse_index_base_b,@function
_ZN9rocsparseL19gebsrmvn_2xn_kernelILj128ELj14ELj8EdEEvi20rocsparse_direction_NS_24const_host_device_scalarIT2_EEPKiS6_PKS3_S8_S4_PS3_21rocsparse_index_base_b: ; @_ZN9rocsparseL19gebsrmvn_2xn_kernelILj128ELj14ELj8EdEEvi20rocsparse_direction_NS_24const_host_device_scalarIT2_EEPKiS6_PKS3_S8_S4_PS3_21rocsparse_index_base_b
; %bb.0:
	s_load_dwordx2 s[12:13], s[0:1], 0x40
	s_load_dwordx2 s[8:9], s[0:1], 0x8
	;; [unrolled: 1-line block ×3, first 2 shown]
	s_waitcnt lgkmcnt(0)
	s_bitcmp1_b32 s13, 0
	s_cselect_b64 s[10:11], -1, 0
	s_xor_b64 s[6:7], s[10:11], -1
	s_and_b64 vcc, exec, s[10:11]
	v_mov_b64_e32 v[2:3], s[8:9]
	s_cbranch_vccnz .LBB137_2
; %bb.1:
	v_mov_b64_e32 v[2:3], s[8:9]
	flat_load_dwordx2 v[2:3], v[2:3]
.LBB137_2:
	s_andn2_b64 vcc, exec, s[6:7]
	v_mov_b64_e32 v[4:5], s[4:5]
	s_cbranch_vccnz .LBB137_4
; %bb.3:
	v_mov_b64_e32 v[4:5], s[4:5]
	flat_load_dwordx2 v[4:5], v[4:5]
.LBB137_4:
	s_waitcnt vmcnt(0) lgkmcnt(0)
	v_cmp_neq_f64_e32 vcc, 0, v[2:3]
	v_cmp_neq_f64_e64 s[4:5], 1.0, v[4:5]
	s_or_b64 s[4:5], vcc, s[4:5]
	s_and_saveexec_b64 s[6:7], s[4:5]
	s_cbranch_execz .LBB137_23
; %bb.5:
	s_load_dwordx2 s[14:15], s[0:1], 0x0
	v_lshrrev_b32_e32 v1, 3, v0
	v_lshl_or_b32 v6, s2, 4, v1
	s_waitcnt lgkmcnt(0)
	v_cmp_gt_i32_e32 vcc, s14, v6
	s_and_b64 exec, exec, vcc
	s_cbranch_execz .LBB137_23
; %bb.6:
	s_load_dwordx8 s[4:11], s[0:1], 0x10
	v_ashrrev_i32_e32 v7, 31, v6
	s_cmp_lg_u32 s15, 0
	s_waitcnt lgkmcnt(0)
	v_lshl_add_u64 v[8:9], v[6:7], 2, s[4:5]
	global_load_dwordx2 v[8:9], v[8:9], off
	v_and_b32_e32 v7, 7, v0
	s_waitcnt vmcnt(0)
	v_subrev_u32_e32 v0, s12, v8
	v_subrev_u32_e32 v20, s12, v9
	v_add_u32_e32 v8, v0, v7
	v_cmp_lt_i32_e64 s[2:3], v8, v20
	s_cbranch_scc0 .LBB137_12
; %bb.7:
	v_mov_b64_e32 v[0:1], 0
	s_mov_b64 s[4:5], 0
	v_mov_b64_e32 v[10:11], v[0:1]
	s_and_saveexec_b64 s[14:15], s[2:3]
	s_cbranch_execz .LBB137_11
; %bb.8:
	v_mad_u64_u32 v[12:13], s[16:17], v8, 28, 26
	v_mov_b64_e32 v[0:1], 0
	s_mov_b64 s[16:17], 0
	v_mov_b32_e32 v15, 0
	v_mov_b32_e32 v16, v8
	v_mov_b64_e32 v[10:11], v[0:1]
.LBB137_9:                              ; =>This Inner Loop Header: Depth=1
	v_ashrrev_i32_e32 v17, 31, v16
	v_subrev_u32_e32 v14, 26, v12
	v_lshl_add_u64 v[30:31], v[16:17], 2, s[6:7]
	v_lshl_add_u64 v[32:33], v[14:15], 3, s[8:9]
	global_load_dword v9, v[30:31], off
	global_load_dwordx4 v[22:25], v[32:33], off offset:16
	global_load_dwordx4 v[26:29], v[32:33], off
	v_mov_b32_e32 v19, v15
	v_subrev_u32_e32 v14, 22, v12
	v_lshl_add_u64 v[30:31], v[14:15], 3, s[8:9]
	global_load_dwordx4 v[30:33], v[30:31], off
	v_mov_b32_e32 v13, v15
	v_lshl_add_u64 v[82:83], v[12:13], 3, s[8:9]
	v_add_u32_e32 v16, 8, v16
	v_cmp_ge_i32_e32 vcc, v16, v20
	s_or_b64 s[16:17], vcc, s[16:17]
	s_waitcnt vmcnt(3)
	v_subrev_u32_e32 v9, s12, v9
	v_mul_lo_u32 v18, v9, 14
	v_lshl_add_u64 v[34:35], v[18:19], 3, s[10:11]
	global_load_dwordx4 v[34:37], v[34:35], off
	v_add_u32_e32 v14, 2, v18
	v_lshl_add_u64 v[38:39], v[14:15], 3, s[10:11]
	global_load_dwordx4 v[38:41], v[38:39], off
	v_subrev_u32_e32 v14, 20, v12
	v_lshl_add_u64 v[42:43], v[14:15], 3, s[8:9]
	global_load_dwordx4 v[42:45], v[42:43], off
	v_subrev_u32_e32 v14, 18, v12
	v_lshl_add_u64 v[46:47], v[14:15], 3, s[8:9]
	global_load_dwordx4 v[46:49], v[46:47], off
	v_add_u32_e32 v14, 4, v18
	v_lshl_add_u64 v[50:51], v[14:15], 3, s[10:11]
	v_add_u32_e32 v14, -16, v12
	v_lshl_add_u64 v[62:63], v[14:15], 3, s[8:9]
	v_add_u32_e32 v14, -14, v12
	v_lshl_add_u64 v[64:65], v[14:15], 3, s[8:9]
	v_add_u32_e32 v14, 6, v18
	global_load_dwordx4 v[50:53], v[50:51], off
	s_nop 0
	global_load_dwordx4 v[54:57], v[62:63], off
	global_load_dwordx4 v[58:61], v[64:65], off
	v_lshl_add_u64 v[62:63], v[14:15], 3, s[10:11]
	v_add_u32_e32 v14, -12, v12
	v_lshl_add_u64 v[74:75], v[14:15], 3, s[8:9]
	v_add_u32_e32 v14, -10, v12
	v_lshl_add_u64 v[76:77], v[14:15], 3, s[8:9]
	v_add_u32_e32 v14, 8, v18
	global_load_dwordx4 v[62:65], v[62:63], off
	s_nop 0
	global_load_dwordx4 v[66:69], v[74:75], off
	global_load_dwordx4 v[70:73], v[76:77], off
	v_lshl_add_u64 v[74:75], v[14:15], 3, s[10:11]
	v_add_u32_e32 v14, -8, v12
	v_lshl_add_u64 v[84:85], v[14:15], 3, s[8:9]
	v_add_u32_e32 v14, -6, v12
	global_load_dwordx4 v[74:77], v[74:75], off
	v_lshl_add_u64 v[86:87], v[14:15], 3, s[8:9]
	v_add_u32_e32 v14, 10, v18
	s_waitcnt vmcnt(10)
	v_fmac_f64_e32 v[0:1], v[26:27], v[34:35]
	v_fmac_f64_e32 v[10:11], v[28:29], v[34:35]
	;; [unrolled: 1-line block ×3, first 2 shown]
	v_lshl_add_u64 v[22:23], v[14:15], 3, s[10:11]
	v_add_u32_e32 v14, -4, v12
	global_load_dwordx4 v[26:29], v[84:85], off
	global_load_dwordx4 v[78:81], v[86:87], off
	v_fmac_f64_e32 v[10:11], v[24:25], v[36:37]
	v_lshl_add_u64 v[34:35], v[14:15], 3, s[8:9]
	v_add_u32_e32 v14, -2, v12
	global_load_dwordx4 v[22:25], v[22:23], off
	v_lshl_add_u64 v[84:85], v[14:15], 3, s[8:9]
	v_add_u32_e32 v14, 12, v18
	global_load_dwordx4 v[34:37], v[34:35], off
	s_waitcnt vmcnt(13)
	v_fmac_f64_e32 v[0:1], v[30:31], v[38:39]
	v_fmac_f64_e32 v[10:11], v[32:33], v[38:39]
	global_load_dwordx4 v[30:33], v[84:85], off
	v_lshl_add_u64 v[18:19], v[14:15], 3, s[10:11]
	s_waitcnt vmcnt(13)
	v_fmac_f64_e32 v[0:1], v[42:43], v[40:41]
	v_fmac_f64_e32 v[10:11], v[44:45], v[40:41]
	global_load_dwordx4 v[38:41], v[18:19], off
	global_load_dwordx4 v[42:45], v[82:83], off
	s_waitcnt vmcnt(13)
	v_fmac_f64_e32 v[0:1], v[46:47], v[50:51]
	v_fmac_f64_e32 v[10:11], v[48:49], v[50:51]
	s_waitcnt vmcnt(12)
	v_fmac_f64_e32 v[0:1], v[54:55], v[52:53]
	v_fmac_f64_e32 v[10:11], v[56:57], v[52:53]
	v_add_u32_e32 v12, 0xe0, v12
	s_waitcnt vmcnt(10)
	v_fmac_f64_e32 v[0:1], v[58:59], v[62:63]
	v_fmac_f64_e32 v[10:11], v[60:61], v[62:63]
	s_waitcnt vmcnt(9)
	v_fmac_f64_e32 v[0:1], v[66:67], v[64:65]
	v_fmac_f64_e32 v[10:11], v[68:69], v[64:65]
	;; [unrolled: 3-line block ×8, first 2 shown]
	s_andn2_b64 exec, exec, s[16:17]
	s_cbranch_execnz .LBB137_9
; %bb.10:
	s_or_b64 exec, exec, s[16:17]
.LBB137_11:
	s_or_b64 exec, exec, s[14:15]
	s_andn2_b64 vcc, exec, s[4:5]
	s_cbranch_vccz .LBB137_13
	s_branch .LBB137_18
.LBB137_12:
                                        ; implicit-def: $vgpr0_vgpr1
                                        ; implicit-def: $vgpr10_vgpr11
.LBB137_13:
	v_mov_b64_e32 v[0:1], 0
	v_mov_b64_e32 v[10:11], v[0:1]
	s_and_saveexec_b64 s[4:5], s[2:3]
	s_cbranch_execz .LBB137_17
; %bb.14:
	v_mad_u64_u32 v[12:13], s[2:3], v8, 28, 27
	v_mov_b64_e32 v[0:1], 0
	s_mov_b64 s[2:3], 0
	v_mov_b32_e32 v15, 0
	v_mov_b64_e32 v[10:11], v[0:1]
.LBB137_15:                             ; =>This Inner Loop Header: Depth=1
	v_ashrrev_i32_e32 v9, 31, v8
	v_subrev_u32_e32 v14, 27, v12
	v_lshl_add_u64 v[30:31], v[8:9], 2, s[6:7]
	v_lshl_add_u64 v[32:33], v[14:15], 3, s[8:9]
	global_load_dword v9, v[30:31], off
	global_load_dwordx4 v[22:25], v[32:33], off offset:16
	global_load_dwordx4 v[26:29], v[32:33], off
	v_add_u32_e32 v18, -13, v12
	v_mov_b32_e32 v19, v15
	v_mov_b32_e32 v17, v15
	v_lshl_add_u64 v[18:19], v[18:19], 3, s[8:9]
	v_add_u32_e32 v14, -12, v12
	v_lshl_add_u64 v[30:31], v[14:15], 3, s[8:9]
	global_load_dwordx2 v[48:49], v[18:19], off
	global_load_dwordx2 v[50:51], v[30:31], off
	v_mov_b32_e32 v13, v15
	v_lshl_add_u64 v[46:47], v[12:13], 3, s[8:9]
	v_add_u32_e32 v8, 8, v8
	v_cmp_ge_i32_e32 vcc, v8, v20
	s_or_b64 s[2:3], vcc, s[2:3]
	s_waitcnt vmcnt(4)
	v_subrev_u32_e32 v9, s12, v9
	v_mul_lo_u32 v16, v9, 14
	v_lshl_add_u64 v[18:19], v[16:17], 3, s[10:11]
	global_load_dwordx4 v[30:33], v[18:19], off
	v_add_u32_e32 v14, 2, v16
	v_lshl_add_u64 v[18:19], v[14:15], 3, s[10:11]
	v_add_u32_e32 v14, -11, v12
	global_load_dwordx4 v[34:37], v[18:19], off
	v_lshl_add_u64 v[18:19], v[14:15], 3, s[8:9]
	v_add_u32_e32 v14, -10, v12
	global_load_dwordx2 v[18:19], v[18:19], off
	v_lshl_add_u64 v[38:39], v[14:15], 3, s[8:9]
	global_load_dwordx2 v[52:53], v[38:39], off
	v_subrev_u32_e32 v14, 23, v12
	v_lshl_add_u64 v[38:39], v[14:15], 3, s[8:9]
	v_add_u32_e32 v14, 4, v16
	global_load_dwordx2 v[54:55], v[38:39], off
	v_lshl_add_u64 v[38:39], v[14:15], 3, s[10:11]
	v_add_u32_e32 v14, -9, v12
	v_lshl_add_u64 v[42:43], v[14:15], 3, s[8:9]
	global_load_dwordx4 v[38:41], v[38:39], off
	v_subrev_u32_e32 v14, 22, v12
	global_load_dwordx2 v[56:57], v[42:43], off
	v_lshl_add_u64 v[42:43], v[14:15], 3, s[8:9]
	v_add_u32_e32 v14, -8, v12
	v_lshl_add_u64 v[44:45], v[14:15], 3, s[8:9]
	v_subrev_u32_e32 v14, 21, v12
	global_load_dwordx2 v[58:59], v[42:43], off
	v_lshl_add_u64 v[42:43], v[14:15], 3, s[8:9]
	v_add_u32_e32 v14, 6, v16
	global_load_dwordx2 v[60:61], v[44:45], off
	global_load_dwordx2 v[62:63], v[42:43], off
	v_lshl_add_u64 v[42:43], v[14:15], 3, s[10:11]
	v_add_u32_e32 v14, -7, v12
	v_lshl_add_u64 v[64:65], v[14:15], 3, s[8:9]
	v_subrev_u32_e32 v14, 20, v12
	v_lshl_add_u64 v[66:67], v[14:15], 3, s[8:9]
	v_add_u32_e32 v14, -6, v12
	v_lshl_add_u64 v[68:69], v[14:15], 3, s[8:9]
	v_subrev_u32_e32 v14, 19, v12
	v_lshl_add_u64 v[70:71], v[14:15], 3, s[8:9]
	v_add_u32_e32 v14, 8, v16
	v_lshl_add_u64 v[72:73], v[14:15], 3, s[10:11]
	v_add_u32_e32 v14, -5, v12
	v_lshl_add_u64 v[74:75], v[14:15], 3, s[8:9]
	v_subrev_u32_e32 v14, 18, v12
	global_load_dwordx4 v[42:45], v[42:43], off
	s_waitcnt vmcnt(10)
	v_fmac_f64_e32 v[0:1], v[26:27], v[30:31]
	v_fmac_f64_e32 v[10:11], v[48:49], v[30:31]
	v_lshl_add_u64 v[30:31], v[14:15], 3, s[8:9]
	v_add_u32_e32 v14, -4, v12
	v_fmac_f64_e32 v[0:1], v[28:29], v[32:33]
	v_fmac_f64_e32 v[10:11], v[50:51], v[32:33]
	v_lshl_add_u64 v[32:33], v[14:15], 3, s[8:9]
	v_subrev_u32_e32 v14, 17, v12
	v_lshl_add_u64 v[50:51], v[14:15], 3, s[8:9]
	v_add_u32_e32 v14, 10, v16
	global_load_dwordx2 v[64:65], v[64:65], off
	s_waitcnt vmcnt(10)
	v_fmac_f64_e32 v[0:1], v[22:23], v[34:35]
	global_load_dwordx2 v[66:67], v[66:67], off
	s_waitcnt vmcnt(10)
	v_fmac_f64_e32 v[10:11], v[18:19], v[34:35]
	global_load_dwordx2 v[68:69], v[68:69], off
	v_fmac_f64_e32 v[0:1], v[24:25], v[36:37]
	global_load_dwordx4 v[26:29], v[72:73], off
	v_lshl_add_u64 v[72:73], v[14:15], 3, s[10:11]
	v_add_u32_e32 v14, -3, v12
	global_load_dwordx2 v[48:49], v[74:75], off
	v_lshl_add_u64 v[74:75], v[14:15], 3, s[8:9]
	v_add_u32_e32 v14, -16, v12
	global_load_dwordx2 v[70:71], v[70:71], off
	;; [unrolled: 3-line block ×3, first 2 shown]
	s_waitcnt vmcnt(14)
	v_fmac_f64_e32 v[10:11], v[52:53], v[36:37]
	global_load_dwordx2 v[32:33], v[32:33], off
	v_lshl_add_u64 v[36:37], v[14:15], 3, s[8:9]
	v_add_u32_e32 v14, -15, v12
	global_load_dwordx2 v[50:51], v[50:51], off
	s_waitcnt vmcnt(14)
	v_fmac_f64_e32 v[0:1], v[54:55], v[38:39]
	global_load_dwordx4 v[22:25], v[72:73], off
	global_load_dwordx2 v[34:35], v[74:75], off
	global_load_dwordx2 v[52:53], v[18:19], off
	v_lshl_add_u64 v[18:19], v[14:15], 3, s[8:9]
	v_add_u32_e32 v14, 12, v16
	v_lshl_add_u64 v[16:17], v[14:15], 3, s[10:11]
	v_add_u32_e32 v14, -1, v12
	global_load_dwordx2 v[72:73], v[36:37], off
	global_load_dwordx2 v[74:75], v[18:19], off
	v_lshl_add_u64 v[36:37], v[14:15], 3, s[8:9]
	global_load_dwordx4 v[16:19], v[16:17], off
	v_add_u32_e32 v14, -14, v12
	s_waitcnt vmcnt(19)
	v_fmac_f64_e32 v[10:11], v[56:57], v[38:39]
	v_lshl_add_u64 v[38:39], v[14:15], 3, s[8:9]
	global_load_dwordx2 v[54:55], v[36:37], off
	global_load_dwordx2 v[56:57], v[38:39], off
	;; [unrolled: 1-line block ×3, first 2 shown]
	s_waitcnt vmcnt(21)
	v_fmac_f64_e32 v[0:1], v[58:59], v[40:41]
	s_waitcnt vmcnt(20)
	v_fmac_f64_e32 v[10:11], v[60:61], v[40:41]
	;; [unrolled: 2-line block ×3, first 2 shown]
	v_add_u32_e32 v12, 0xe0, v12
	s_waitcnt vmcnt(17)
	v_fmac_f64_e32 v[10:11], v[64:65], v[42:43]
	s_waitcnt vmcnt(16)
	v_fmac_f64_e32 v[0:1], v[66:67], v[44:45]
	;; [unrolled: 2-line block ×15, first 2 shown]
	s_andn2_b64 exec, exec, s[2:3]
	s_cbranch_execnz .LBB137_15
; %bb.16:
	s_or_b64 exec, exec, s[2:3]
.LBB137_17:
	s_or_b64 exec, exec, s[4:5]
.LBB137_18:
	v_mov_b32_dpp v8, v0 row_shr:1 row_mask:0xf bank_mask:0xf
	v_mov_b32_dpp v9, v1 row_shr:1 row_mask:0xf bank_mask:0xf
	;; [unrolled: 1-line block ×4, first 2 shown]
	v_add_f64 v[0:1], v[0:1], v[8:9]
	v_add_f64 v[10:11], v[10:11], v[12:13]
	v_cmp_eq_u32_e32 vcc, 7, v7
	v_mov_b32_dpp v8, v0 row_shr:2 row_mask:0xf bank_mask:0xf
	v_mov_b32_dpp v9, v1 row_shr:2 row_mask:0xf bank_mask:0xf
	v_mov_b32_dpp v12, v10 row_shr:2 row_mask:0xf bank_mask:0xf
	v_mov_b32_dpp v13, v11 row_shr:2 row_mask:0xf bank_mask:0xf
	v_add_f64 v[0:1], v[0:1], v[8:9]
	v_add_f64 v[10:11], v[10:11], v[12:13]
	s_nop 0
	v_mov_b32_dpp v8, v0 row_shr:4 row_mask:0xf bank_mask:0xe
	v_mov_b32_dpp v9, v1 row_shr:4 row_mask:0xf bank_mask:0xe
	;; [unrolled: 1-line block ×4, first 2 shown]
	s_and_b64 exec, exec, vcc
	s_cbranch_execz .LBB137_23
; %bb.19:
	s_load_dwordx2 s[0:1], s[0:1], 0x38
	v_add_f64 v[8:9], v[0:1], v[8:9]
	v_add_f64 v[0:1], v[10:11], v[12:13]
	v_cmp_eq_f64_e32 vcc, 0, v[4:5]
	s_and_saveexec_b64 s[2:3], vcc
	s_xor_b64 s[2:3], exec, s[2:3]
	s_cbranch_execz .LBB137_21
; %bb.20:
	v_lshlrev_b32_e32 v6, 1, v6
	v_ashrrev_i32_e32 v7, 31, v6
	v_mul_f64 v[4:5], v[2:3], v[8:9]
	s_waitcnt lgkmcnt(0)
	v_lshl_add_u64 v[8:9], v[6:7], 3, s[0:1]
	v_mul_f64 v[6:7], v[2:3], v[0:1]
	global_store_dwordx4 v[8:9], v[4:7], off
                                        ; implicit-def: $vgpr6
                                        ; implicit-def: $vgpr2_vgpr3
                                        ; implicit-def: $vgpr8_vgpr9
                                        ; implicit-def: $vgpr4_vgpr5
                                        ; implicit-def: $vgpr0_vgpr1
.LBB137_21:
	s_andn2_saveexec_b64 s[2:3], s[2:3]
	s_cbranch_execz .LBB137_23
; %bb.22:
	v_lshlrev_b32_e32 v6, 1, v6
	v_ashrrev_i32_e32 v7, 31, v6
	s_waitcnt lgkmcnt(0)
	v_lshl_add_u64 v[14:15], v[6:7], 3, s[0:1]
	global_load_dwordx4 v[10:13], v[14:15], off
	v_mul_f64 v[6:7], v[2:3], v[8:9]
	v_mul_f64 v[8:9], v[2:3], v[0:1]
	s_waitcnt vmcnt(0)
	v_fmac_f64_e32 v[6:7], v[4:5], v[10:11]
	v_fmac_f64_e32 v[8:9], v[4:5], v[12:13]
	global_store_dwordx4 v[14:15], v[6:9], off
.LBB137_23:
	s_endpgm
	.section	.rodata,"a",@progbits
	.p2align	6, 0x0
	.amdhsa_kernel _ZN9rocsparseL19gebsrmvn_2xn_kernelILj128ELj14ELj8EdEEvi20rocsparse_direction_NS_24const_host_device_scalarIT2_EEPKiS6_PKS3_S8_S4_PS3_21rocsparse_index_base_b
		.amdhsa_group_segment_fixed_size 0
		.amdhsa_private_segment_fixed_size 0
		.amdhsa_kernarg_size 72
		.amdhsa_user_sgpr_count 2
		.amdhsa_user_sgpr_dispatch_ptr 0
		.amdhsa_user_sgpr_queue_ptr 0
		.amdhsa_user_sgpr_kernarg_segment_ptr 1
		.amdhsa_user_sgpr_dispatch_id 0
		.amdhsa_user_sgpr_kernarg_preload_length 0
		.amdhsa_user_sgpr_kernarg_preload_offset 0
		.amdhsa_user_sgpr_private_segment_size 0
		.amdhsa_uses_dynamic_stack 0
		.amdhsa_enable_private_segment 0
		.amdhsa_system_sgpr_workgroup_id_x 1
		.amdhsa_system_sgpr_workgroup_id_y 0
		.amdhsa_system_sgpr_workgroup_id_z 0
		.amdhsa_system_sgpr_workgroup_info 0
		.amdhsa_system_vgpr_workitem_id 0
		.amdhsa_next_free_vgpr 88
		.amdhsa_next_free_sgpr 18
		.amdhsa_accum_offset 88
		.amdhsa_reserve_vcc 1
		.amdhsa_float_round_mode_32 0
		.amdhsa_float_round_mode_16_64 0
		.amdhsa_float_denorm_mode_32 3
		.amdhsa_float_denorm_mode_16_64 3
		.amdhsa_dx10_clamp 1
		.amdhsa_ieee_mode 1
		.amdhsa_fp16_overflow 0
		.amdhsa_tg_split 0
		.amdhsa_exception_fp_ieee_invalid_op 0
		.amdhsa_exception_fp_denorm_src 0
		.amdhsa_exception_fp_ieee_div_zero 0
		.amdhsa_exception_fp_ieee_overflow 0
		.amdhsa_exception_fp_ieee_underflow 0
		.amdhsa_exception_fp_ieee_inexact 0
		.amdhsa_exception_int_div_zero 0
	.end_amdhsa_kernel
	.section	.text._ZN9rocsparseL19gebsrmvn_2xn_kernelILj128ELj14ELj8EdEEvi20rocsparse_direction_NS_24const_host_device_scalarIT2_EEPKiS6_PKS3_S8_S4_PS3_21rocsparse_index_base_b,"axG",@progbits,_ZN9rocsparseL19gebsrmvn_2xn_kernelILj128ELj14ELj8EdEEvi20rocsparse_direction_NS_24const_host_device_scalarIT2_EEPKiS6_PKS3_S8_S4_PS3_21rocsparse_index_base_b,comdat
.Lfunc_end137:
	.size	_ZN9rocsparseL19gebsrmvn_2xn_kernelILj128ELj14ELj8EdEEvi20rocsparse_direction_NS_24const_host_device_scalarIT2_EEPKiS6_PKS3_S8_S4_PS3_21rocsparse_index_base_b, .Lfunc_end137-_ZN9rocsparseL19gebsrmvn_2xn_kernelILj128ELj14ELj8EdEEvi20rocsparse_direction_NS_24const_host_device_scalarIT2_EEPKiS6_PKS3_S8_S4_PS3_21rocsparse_index_base_b
                                        ; -- End function
	.section	.AMDGPU.csdata,"",@progbits
; Kernel info:
; codeLenInByte = 2208
; NumSgprs: 24
; NumVgprs: 88
; NumAgprs: 0
; TotalNumVgprs: 88
; ScratchSize: 0
; MemoryBound: 1
; FloatMode: 240
; IeeeMode: 1
; LDSByteSize: 0 bytes/workgroup (compile time only)
; SGPRBlocks: 2
; VGPRBlocks: 10
; NumSGPRsForWavesPerEU: 24
; NumVGPRsForWavesPerEU: 88
; AccumOffset: 88
; Occupancy: 5
; WaveLimiterHint : 1
; COMPUTE_PGM_RSRC2:SCRATCH_EN: 0
; COMPUTE_PGM_RSRC2:USER_SGPR: 2
; COMPUTE_PGM_RSRC2:TRAP_HANDLER: 0
; COMPUTE_PGM_RSRC2:TGID_X_EN: 1
; COMPUTE_PGM_RSRC2:TGID_Y_EN: 0
; COMPUTE_PGM_RSRC2:TGID_Z_EN: 0
; COMPUTE_PGM_RSRC2:TIDIG_COMP_CNT: 0
; COMPUTE_PGM_RSRC3_GFX90A:ACCUM_OFFSET: 21
; COMPUTE_PGM_RSRC3_GFX90A:TG_SPLIT: 0
	.section	.text._ZN9rocsparseL19gebsrmvn_2xn_kernelILj128ELj14ELj16EdEEvi20rocsparse_direction_NS_24const_host_device_scalarIT2_EEPKiS6_PKS3_S8_S4_PS3_21rocsparse_index_base_b,"axG",@progbits,_ZN9rocsparseL19gebsrmvn_2xn_kernelILj128ELj14ELj16EdEEvi20rocsparse_direction_NS_24const_host_device_scalarIT2_EEPKiS6_PKS3_S8_S4_PS3_21rocsparse_index_base_b,comdat
	.globl	_ZN9rocsparseL19gebsrmvn_2xn_kernelILj128ELj14ELj16EdEEvi20rocsparse_direction_NS_24const_host_device_scalarIT2_EEPKiS6_PKS3_S8_S4_PS3_21rocsparse_index_base_b ; -- Begin function _ZN9rocsparseL19gebsrmvn_2xn_kernelILj128ELj14ELj16EdEEvi20rocsparse_direction_NS_24const_host_device_scalarIT2_EEPKiS6_PKS3_S8_S4_PS3_21rocsparse_index_base_b
	.p2align	8
	.type	_ZN9rocsparseL19gebsrmvn_2xn_kernelILj128ELj14ELj16EdEEvi20rocsparse_direction_NS_24const_host_device_scalarIT2_EEPKiS6_PKS3_S8_S4_PS3_21rocsparse_index_base_b,@function
_ZN9rocsparseL19gebsrmvn_2xn_kernelILj128ELj14ELj16EdEEvi20rocsparse_direction_NS_24const_host_device_scalarIT2_EEPKiS6_PKS3_S8_S4_PS3_21rocsparse_index_base_b: ; @_ZN9rocsparseL19gebsrmvn_2xn_kernelILj128ELj14ELj16EdEEvi20rocsparse_direction_NS_24const_host_device_scalarIT2_EEPKiS6_PKS3_S8_S4_PS3_21rocsparse_index_base_b
; %bb.0:
	s_load_dwordx2 s[12:13], s[0:1], 0x40
	s_load_dwordx2 s[8:9], s[0:1], 0x8
	;; [unrolled: 1-line block ×3, first 2 shown]
	s_waitcnt lgkmcnt(0)
	s_bitcmp1_b32 s13, 0
	s_cselect_b64 s[10:11], -1, 0
	s_xor_b64 s[6:7], s[10:11], -1
	s_and_b64 vcc, exec, s[10:11]
	v_mov_b64_e32 v[2:3], s[8:9]
	s_cbranch_vccnz .LBB138_2
; %bb.1:
	v_mov_b64_e32 v[2:3], s[8:9]
	flat_load_dwordx2 v[2:3], v[2:3]
.LBB138_2:
	s_andn2_b64 vcc, exec, s[6:7]
	v_mov_b64_e32 v[4:5], s[4:5]
	s_cbranch_vccnz .LBB138_4
; %bb.3:
	v_mov_b64_e32 v[4:5], s[4:5]
	flat_load_dwordx2 v[4:5], v[4:5]
.LBB138_4:
	s_waitcnt vmcnt(0) lgkmcnt(0)
	v_cmp_neq_f64_e32 vcc, 0, v[2:3]
	v_cmp_neq_f64_e64 s[4:5], 1.0, v[4:5]
	s_or_b64 s[4:5], vcc, s[4:5]
	s_and_saveexec_b64 s[6:7], s[4:5]
	s_cbranch_execz .LBB138_23
; %bb.5:
	s_load_dwordx2 s[14:15], s[0:1], 0x0
	v_lshrrev_b32_e32 v1, 4, v0
	v_lshl_or_b32 v6, s2, 3, v1
	s_waitcnt lgkmcnt(0)
	v_cmp_gt_i32_e32 vcc, s14, v6
	s_and_b64 exec, exec, vcc
	s_cbranch_execz .LBB138_23
; %bb.6:
	s_load_dwordx8 s[4:11], s[0:1], 0x10
	v_ashrrev_i32_e32 v7, 31, v6
	s_cmp_lg_u32 s15, 0
	s_waitcnt lgkmcnt(0)
	v_lshl_add_u64 v[8:9], v[6:7], 2, s[4:5]
	global_load_dwordx2 v[8:9], v[8:9], off
	v_and_b32_e32 v7, 15, v0
	s_waitcnt vmcnt(0)
	v_subrev_u32_e32 v0, s12, v8
	v_subrev_u32_e32 v20, s12, v9
	v_add_u32_e32 v10, v0, v7
	v_cmp_lt_i32_e64 s[2:3], v10, v20
	s_cbranch_scc0 .LBB138_12
; %bb.7:
	v_mov_b64_e32 v[0:1], 0
	s_mov_b64 s[4:5], 0
	v_mov_b64_e32 v[8:9], v[0:1]
	s_and_saveexec_b64 s[14:15], s[2:3]
	s_cbranch_execz .LBB138_11
; %bb.8:
	v_mad_u64_u32 v[12:13], s[16:17], v10, 28, 26
	v_mov_b64_e32 v[0:1], 0
	s_mov_b64 s[16:17], 0
	v_mov_b32_e32 v15, 0
	v_mov_b32_e32 v16, v10
	v_mov_b64_e32 v[8:9], v[0:1]
.LBB138_9:                              ; =>This Inner Loop Header: Depth=1
	v_ashrrev_i32_e32 v17, 31, v16
	v_subrev_u32_e32 v14, 26, v12
	v_lshl_add_u64 v[30:31], v[16:17], 2, s[6:7]
	v_lshl_add_u64 v[32:33], v[14:15], 3, s[8:9]
	global_load_dword v11, v[30:31], off
	global_load_dwordx4 v[22:25], v[32:33], off offset:16
	global_load_dwordx4 v[26:29], v[32:33], off
	v_mov_b32_e32 v19, v15
	v_subrev_u32_e32 v14, 22, v12
	v_lshl_add_u64 v[30:31], v[14:15], 3, s[8:9]
	global_load_dwordx4 v[30:33], v[30:31], off
	v_mov_b32_e32 v13, v15
	v_lshl_add_u64 v[82:83], v[12:13], 3, s[8:9]
	v_add_u32_e32 v16, 16, v16
	v_cmp_ge_i32_e32 vcc, v16, v20
	s_or_b64 s[16:17], vcc, s[16:17]
	s_waitcnt vmcnt(3)
	v_subrev_u32_e32 v11, s12, v11
	v_mul_lo_u32 v18, v11, 14
	v_lshl_add_u64 v[34:35], v[18:19], 3, s[10:11]
	global_load_dwordx4 v[34:37], v[34:35], off
	v_add_u32_e32 v14, 2, v18
	v_lshl_add_u64 v[38:39], v[14:15], 3, s[10:11]
	global_load_dwordx4 v[38:41], v[38:39], off
	v_subrev_u32_e32 v14, 20, v12
	v_lshl_add_u64 v[42:43], v[14:15], 3, s[8:9]
	global_load_dwordx4 v[42:45], v[42:43], off
	v_subrev_u32_e32 v14, 18, v12
	v_lshl_add_u64 v[46:47], v[14:15], 3, s[8:9]
	global_load_dwordx4 v[46:49], v[46:47], off
	v_add_u32_e32 v14, 4, v18
	v_lshl_add_u64 v[50:51], v[14:15], 3, s[10:11]
	v_add_u32_e32 v14, -16, v12
	v_lshl_add_u64 v[62:63], v[14:15], 3, s[8:9]
	v_add_u32_e32 v14, -14, v12
	v_lshl_add_u64 v[64:65], v[14:15], 3, s[8:9]
	v_add_u32_e32 v14, 6, v18
	global_load_dwordx4 v[50:53], v[50:51], off
	s_nop 0
	global_load_dwordx4 v[54:57], v[62:63], off
	global_load_dwordx4 v[58:61], v[64:65], off
	v_lshl_add_u64 v[62:63], v[14:15], 3, s[10:11]
	v_add_u32_e32 v14, -12, v12
	v_lshl_add_u64 v[74:75], v[14:15], 3, s[8:9]
	v_add_u32_e32 v14, -10, v12
	v_lshl_add_u64 v[76:77], v[14:15], 3, s[8:9]
	v_add_u32_e32 v14, 8, v18
	global_load_dwordx4 v[62:65], v[62:63], off
	s_nop 0
	global_load_dwordx4 v[66:69], v[74:75], off
	global_load_dwordx4 v[70:73], v[76:77], off
	v_lshl_add_u64 v[74:75], v[14:15], 3, s[10:11]
	v_add_u32_e32 v14, -8, v12
	v_lshl_add_u64 v[84:85], v[14:15], 3, s[8:9]
	v_add_u32_e32 v14, -6, v12
	global_load_dwordx4 v[74:77], v[74:75], off
	v_lshl_add_u64 v[86:87], v[14:15], 3, s[8:9]
	v_add_u32_e32 v14, 10, v18
	s_waitcnt vmcnt(10)
	v_fmac_f64_e32 v[0:1], v[26:27], v[34:35]
	v_fmac_f64_e32 v[8:9], v[28:29], v[34:35]
	;; [unrolled: 1-line block ×3, first 2 shown]
	v_lshl_add_u64 v[22:23], v[14:15], 3, s[10:11]
	v_add_u32_e32 v14, -4, v12
	global_load_dwordx4 v[26:29], v[84:85], off
	global_load_dwordx4 v[78:81], v[86:87], off
	v_fmac_f64_e32 v[8:9], v[24:25], v[36:37]
	v_lshl_add_u64 v[34:35], v[14:15], 3, s[8:9]
	v_add_u32_e32 v14, -2, v12
	global_load_dwordx4 v[22:25], v[22:23], off
	v_lshl_add_u64 v[84:85], v[14:15], 3, s[8:9]
	v_add_u32_e32 v14, 12, v18
	global_load_dwordx4 v[34:37], v[34:35], off
	s_waitcnt vmcnt(13)
	v_fmac_f64_e32 v[0:1], v[30:31], v[38:39]
	v_fmac_f64_e32 v[8:9], v[32:33], v[38:39]
	global_load_dwordx4 v[30:33], v[84:85], off
	v_lshl_add_u64 v[18:19], v[14:15], 3, s[10:11]
	s_waitcnt vmcnt(13)
	v_fmac_f64_e32 v[0:1], v[42:43], v[40:41]
	v_fmac_f64_e32 v[8:9], v[44:45], v[40:41]
	global_load_dwordx4 v[38:41], v[18:19], off
	global_load_dwordx4 v[42:45], v[82:83], off
	s_waitcnt vmcnt(13)
	v_fmac_f64_e32 v[0:1], v[46:47], v[50:51]
	v_fmac_f64_e32 v[8:9], v[48:49], v[50:51]
	s_waitcnt vmcnt(12)
	v_fmac_f64_e32 v[0:1], v[54:55], v[52:53]
	v_fmac_f64_e32 v[8:9], v[56:57], v[52:53]
	v_add_u32_e32 v12, 0x1c0, v12
	s_waitcnt vmcnt(10)
	v_fmac_f64_e32 v[0:1], v[58:59], v[62:63]
	v_fmac_f64_e32 v[8:9], v[60:61], v[62:63]
	s_waitcnt vmcnt(9)
	v_fmac_f64_e32 v[0:1], v[66:67], v[64:65]
	v_fmac_f64_e32 v[8:9], v[68:69], v[64:65]
	;; [unrolled: 3-line block ×8, first 2 shown]
	s_andn2_b64 exec, exec, s[16:17]
	s_cbranch_execnz .LBB138_9
; %bb.10:
	s_or_b64 exec, exec, s[16:17]
.LBB138_11:
	s_or_b64 exec, exec, s[14:15]
	s_andn2_b64 vcc, exec, s[4:5]
	s_cbranch_vccz .LBB138_13
	s_branch .LBB138_18
.LBB138_12:
                                        ; implicit-def: $vgpr0_vgpr1
                                        ; implicit-def: $vgpr8_vgpr9
.LBB138_13:
	v_mov_b64_e32 v[0:1], 0
	v_mov_b64_e32 v[8:9], v[0:1]
	s_and_saveexec_b64 s[4:5], s[2:3]
	s_cbranch_execz .LBB138_17
; %bb.14:
	v_mad_u64_u32 v[12:13], s[2:3], v10, 28, 27
	v_mov_b64_e32 v[0:1], 0
	s_mov_b64 s[2:3], 0
	v_mov_b32_e32 v15, 0
	v_mov_b64_e32 v[8:9], v[0:1]
.LBB138_15:                             ; =>This Inner Loop Header: Depth=1
	v_ashrrev_i32_e32 v11, 31, v10
	v_subrev_u32_e32 v14, 27, v12
	v_lshl_add_u64 v[30:31], v[10:11], 2, s[6:7]
	v_lshl_add_u64 v[32:33], v[14:15], 3, s[8:9]
	global_load_dword v11, v[30:31], off
	global_load_dwordx4 v[22:25], v[32:33], off offset:16
	global_load_dwordx4 v[26:29], v[32:33], off
	v_add_u32_e32 v18, -13, v12
	v_mov_b32_e32 v19, v15
	v_mov_b32_e32 v17, v15
	v_lshl_add_u64 v[18:19], v[18:19], 3, s[8:9]
	v_add_u32_e32 v14, -12, v12
	v_lshl_add_u64 v[30:31], v[14:15], 3, s[8:9]
	global_load_dwordx2 v[48:49], v[18:19], off
	global_load_dwordx2 v[50:51], v[30:31], off
	v_mov_b32_e32 v13, v15
	v_lshl_add_u64 v[46:47], v[12:13], 3, s[8:9]
	v_add_u32_e32 v10, 16, v10
	v_cmp_ge_i32_e32 vcc, v10, v20
	s_or_b64 s[2:3], vcc, s[2:3]
	s_waitcnt vmcnt(4)
	v_subrev_u32_e32 v11, s12, v11
	v_mul_lo_u32 v16, v11, 14
	v_lshl_add_u64 v[18:19], v[16:17], 3, s[10:11]
	global_load_dwordx4 v[30:33], v[18:19], off
	v_add_u32_e32 v14, 2, v16
	v_lshl_add_u64 v[18:19], v[14:15], 3, s[10:11]
	v_add_u32_e32 v14, -11, v12
	global_load_dwordx4 v[34:37], v[18:19], off
	v_lshl_add_u64 v[18:19], v[14:15], 3, s[8:9]
	v_add_u32_e32 v14, -10, v12
	global_load_dwordx2 v[18:19], v[18:19], off
	v_lshl_add_u64 v[38:39], v[14:15], 3, s[8:9]
	global_load_dwordx2 v[52:53], v[38:39], off
	v_subrev_u32_e32 v14, 23, v12
	v_lshl_add_u64 v[38:39], v[14:15], 3, s[8:9]
	v_add_u32_e32 v14, 4, v16
	global_load_dwordx2 v[54:55], v[38:39], off
	v_lshl_add_u64 v[38:39], v[14:15], 3, s[10:11]
	v_add_u32_e32 v14, -9, v12
	v_lshl_add_u64 v[42:43], v[14:15], 3, s[8:9]
	global_load_dwordx4 v[38:41], v[38:39], off
	v_subrev_u32_e32 v14, 22, v12
	global_load_dwordx2 v[56:57], v[42:43], off
	v_lshl_add_u64 v[42:43], v[14:15], 3, s[8:9]
	v_add_u32_e32 v14, -8, v12
	v_lshl_add_u64 v[44:45], v[14:15], 3, s[8:9]
	v_subrev_u32_e32 v14, 21, v12
	global_load_dwordx2 v[58:59], v[42:43], off
	v_lshl_add_u64 v[42:43], v[14:15], 3, s[8:9]
	v_add_u32_e32 v14, 6, v16
	global_load_dwordx2 v[60:61], v[44:45], off
	global_load_dwordx2 v[62:63], v[42:43], off
	v_lshl_add_u64 v[42:43], v[14:15], 3, s[10:11]
	v_add_u32_e32 v14, -7, v12
	v_lshl_add_u64 v[64:65], v[14:15], 3, s[8:9]
	v_subrev_u32_e32 v14, 20, v12
	v_lshl_add_u64 v[66:67], v[14:15], 3, s[8:9]
	v_add_u32_e32 v14, -6, v12
	v_lshl_add_u64 v[68:69], v[14:15], 3, s[8:9]
	v_subrev_u32_e32 v14, 19, v12
	v_lshl_add_u64 v[70:71], v[14:15], 3, s[8:9]
	v_add_u32_e32 v14, 8, v16
	v_lshl_add_u64 v[72:73], v[14:15], 3, s[10:11]
	v_add_u32_e32 v14, -5, v12
	v_lshl_add_u64 v[74:75], v[14:15], 3, s[8:9]
	v_subrev_u32_e32 v14, 18, v12
	global_load_dwordx4 v[42:45], v[42:43], off
	s_waitcnt vmcnt(10)
	v_fmac_f64_e32 v[0:1], v[26:27], v[30:31]
	v_fmac_f64_e32 v[8:9], v[48:49], v[30:31]
	v_lshl_add_u64 v[30:31], v[14:15], 3, s[8:9]
	v_add_u32_e32 v14, -4, v12
	v_fmac_f64_e32 v[0:1], v[28:29], v[32:33]
	v_fmac_f64_e32 v[8:9], v[50:51], v[32:33]
	v_lshl_add_u64 v[32:33], v[14:15], 3, s[8:9]
	v_subrev_u32_e32 v14, 17, v12
	v_lshl_add_u64 v[50:51], v[14:15], 3, s[8:9]
	v_add_u32_e32 v14, 10, v16
	global_load_dwordx2 v[64:65], v[64:65], off
	s_waitcnt vmcnt(10)
	v_fmac_f64_e32 v[0:1], v[22:23], v[34:35]
	global_load_dwordx2 v[66:67], v[66:67], off
	s_waitcnt vmcnt(10)
	v_fmac_f64_e32 v[8:9], v[18:19], v[34:35]
	global_load_dwordx2 v[68:69], v[68:69], off
	v_fmac_f64_e32 v[0:1], v[24:25], v[36:37]
	global_load_dwordx4 v[26:29], v[72:73], off
	v_lshl_add_u64 v[72:73], v[14:15], 3, s[10:11]
	v_add_u32_e32 v14, -3, v12
	global_load_dwordx2 v[48:49], v[74:75], off
	v_lshl_add_u64 v[74:75], v[14:15], 3, s[8:9]
	v_add_u32_e32 v14, -16, v12
	global_load_dwordx2 v[70:71], v[70:71], off
	;; [unrolled: 3-line block ×3, first 2 shown]
	s_waitcnt vmcnt(14)
	v_fmac_f64_e32 v[8:9], v[52:53], v[36:37]
	global_load_dwordx2 v[32:33], v[32:33], off
	v_lshl_add_u64 v[36:37], v[14:15], 3, s[8:9]
	v_add_u32_e32 v14, -15, v12
	global_load_dwordx2 v[50:51], v[50:51], off
	s_waitcnt vmcnt(14)
	v_fmac_f64_e32 v[0:1], v[54:55], v[38:39]
	global_load_dwordx4 v[22:25], v[72:73], off
	global_load_dwordx2 v[34:35], v[74:75], off
	global_load_dwordx2 v[52:53], v[18:19], off
	v_lshl_add_u64 v[18:19], v[14:15], 3, s[8:9]
	v_add_u32_e32 v14, 12, v16
	v_lshl_add_u64 v[16:17], v[14:15], 3, s[10:11]
	v_add_u32_e32 v14, -1, v12
	global_load_dwordx2 v[72:73], v[36:37], off
	global_load_dwordx2 v[74:75], v[18:19], off
	v_lshl_add_u64 v[36:37], v[14:15], 3, s[8:9]
	global_load_dwordx4 v[16:19], v[16:17], off
	v_add_u32_e32 v14, -14, v12
	s_waitcnt vmcnt(19)
	v_fmac_f64_e32 v[8:9], v[56:57], v[38:39]
	v_lshl_add_u64 v[38:39], v[14:15], 3, s[8:9]
	global_load_dwordx2 v[54:55], v[36:37], off
	global_load_dwordx2 v[56:57], v[38:39], off
	;; [unrolled: 1-line block ×3, first 2 shown]
	s_waitcnt vmcnt(21)
	v_fmac_f64_e32 v[0:1], v[58:59], v[40:41]
	s_waitcnt vmcnt(20)
	v_fmac_f64_e32 v[8:9], v[60:61], v[40:41]
	;; [unrolled: 2-line block ×3, first 2 shown]
	v_add_u32_e32 v12, 0x1c0, v12
	s_waitcnt vmcnt(17)
	v_fmac_f64_e32 v[8:9], v[64:65], v[42:43]
	s_waitcnt vmcnt(16)
	v_fmac_f64_e32 v[0:1], v[66:67], v[44:45]
	;; [unrolled: 2-line block ×15, first 2 shown]
	s_andn2_b64 exec, exec, s[2:3]
	s_cbranch_execnz .LBB138_15
; %bb.16:
	s_or_b64 exec, exec, s[2:3]
.LBB138_17:
	s_or_b64 exec, exec, s[4:5]
.LBB138_18:
	v_mov_b32_dpp v10, v0 row_shr:1 row_mask:0xf bank_mask:0xf
	v_mov_b32_dpp v11, v1 row_shr:1 row_mask:0xf bank_mask:0xf
	;; [unrolled: 1-line block ×4, first 2 shown]
	v_add_f64 v[0:1], v[0:1], v[10:11]
	v_add_f64 v[8:9], v[8:9], v[12:13]
	v_cmp_eq_u32_e32 vcc, 15, v7
	v_mov_b32_dpp v10, v0 row_shr:2 row_mask:0xf bank_mask:0xf
	v_mov_b32_dpp v11, v1 row_shr:2 row_mask:0xf bank_mask:0xf
	v_mov_b32_dpp v12, v8 row_shr:2 row_mask:0xf bank_mask:0xf
	v_mov_b32_dpp v13, v9 row_shr:2 row_mask:0xf bank_mask:0xf
	v_add_f64 v[0:1], v[0:1], v[10:11]
	v_add_f64 v[8:9], v[8:9], v[12:13]
	s_nop 0
	v_mov_b32_dpp v10, v0 row_shr:4 row_mask:0xf bank_mask:0xe
	v_mov_b32_dpp v11, v1 row_shr:4 row_mask:0xf bank_mask:0xe
	;; [unrolled: 1-line block ×4, first 2 shown]
	v_add_f64 v[0:1], v[0:1], v[10:11]
	v_add_f64 v[12:13], v[8:9], v[12:13]
	s_nop 0
	v_mov_b32_dpp v10, v0 row_shr:8 row_mask:0xf bank_mask:0xc
	v_mov_b32_dpp v11, v1 row_shr:8 row_mask:0xf bank_mask:0xc
	;; [unrolled: 1-line block ×4, first 2 shown]
	s_and_b64 exec, exec, vcc
	s_cbranch_execz .LBB138_23
; %bb.19:
	s_load_dwordx2 s[0:1], s[0:1], 0x38
	v_add_f64 v[8:9], v[0:1], v[10:11]
	v_add_f64 v[0:1], v[12:13], v[14:15]
	v_cmp_eq_f64_e32 vcc, 0, v[4:5]
	s_and_saveexec_b64 s[2:3], vcc
	s_xor_b64 s[2:3], exec, s[2:3]
	s_cbranch_execz .LBB138_21
; %bb.20:
	v_lshlrev_b32_e32 v6, 1, v6
	v_ashrrev_i32_e32 v7, 31, v6
	v_mul_f64 v[4:5], v[2:3], v[8:9]
	s_waitcnt lgkmcnt(0)
	v_lshl_add_u64 v[8:9], v[6:7], 3, s[0:1]
	v_mul_f64 v[6:7], v[2:3], v[0:1]
	global_store_dwordx4 v[8:9], v[4:7], off
                                        ; implicit-def: $vgpr6
                                        ; implicit-def: $vgpr2_vgpr3
                                        ; implicit-def: $vgpr8_vgpr9
                                        ; implicit-def: $vgpr4_vgpr5
                                        ; implicit-def: $vgpr0_vgpr1
.LBB138_21:
	s_andn2_saveexec_b64 s[2:3], s[2:3]
	s_cbranch_execz .LBB138_23
; %bb.22:
	v_lshlrev_b32_e32 v6, 1, v6
	v_ashrrev_i32_e32 v7, 31, v6
	s_waitcnt lgkmcnt(0)
	v_lshl_add_u64 v[14:15], v[6:7], 3, s[0:1]
	global_load_dwordx4 v[10:13], v[14:15], off
	v_mul_f64 v[6:7], v[2:3], v[8:9]
	v_mul_f64 v[8:9], v[2:3], v[0:1]
	s_waitcnt vmcnt(0)
	v_fmac_f64_e32 v[6:7], v[4:5], v[10:11]
	v_fmac_f64_e32 v[8:9], v[4:5], v[12:13]
	global_store_dwordx4 v[14:15], v[6:9], off
.LBB138_23:
	s_endpgm
	.section	.rodata,"a",@progbits
	.p2align	6, 0x0
	.amdhsa_kernel _ZN9rocsparseL19gebsrmvn_2xn_kernelILj128ELj14ELj16EdEEvi20rocsparse_direction_NS_24const_host_device_scalarIT2_EEPKiS6_PKS3_S8_S4_PS3_21rocsparse_index_base_b
		.amdhsa_group_segment_fixed_size 0
		.amdhsa_private_segment_fixed_size 0
		.amdhsa_kernarg_size 72
		.amdhsa_user_sgpr_count 2
		.amdhsa_user_sgpr_dispatch_ptr 0
		.amdhsa_user_sgpr_queue_ptr 0
		.amdhsa_user_sgpr_kernarg_segment_ptr 1
		.amdhsa_user_sgpr_dispatch_id 0
		.amdhsa_user_sgpr_kernarg_preload_length 0
		.amdhsa_user_sgpr_kernarg_preload_offset 0
		.amdhsa_user_sgpr_private_segment_size 0
		.amdhsa_uses_dynamic_stack 0
		.amdhsa_enable_private_segment 0
		.amdhsa_system_sgpr_workgroup_id_x 1
		.amdhsa_system_sgpr_workgroup_id_y 0
		.amdhsa_system_sgpr_workgroup_id_z 0
		.amdhsa_system_sgpr_workgroup_info 0
		.amdhsa_system_vgpr_workitem_id 0
		.amdhsa_next_free_vgpr 88
		.amdhsa_next_free_sgpr 18
		.amdhsa_accum_offset 88
		.amdhsa_reserve_vcc 1
		.amdhsa_float_round_mode_32 0
		.amdhsa_float_round_mode_16_64 0
		.amdhsa_float_denorm_mode_32 3
		.amdhsa_float_denorm_mode_16_64 3
		.amdhsa_dx10_clamp 1
		.amdhsa_ieee_mode 1
		.amdhsa_fp16_overflow 0
		.amdhsa_tg_split 0
		.amdhsa_exception_fp_ieee_invalid_op 0
		.amdhsa_exception_fp_denorm_src 0
		.amdhsa_exception_fp_ieee_div_zero 0
		.amdhsa_exception_fp_ieee_overflow 0
		.amdhsa_exception_fp_ieee_underflow 0
		.amdhsa_exception_fp_ieee_inexact 0
		.amdhsa_exception_int_div_zero 0
	.end_amdhsa_kernel
	.section	.text._ZN9rocsparseL19gebsrmvn_2xn_kernelILj128ELj14ELj16EdEEvi20rocsparse_direction_NS_24const_host_device_scalarIT2_EEPKiS6_PKS3_S8_S4_PS3_21rocsparse_index_base_b,"axG",@progbits,_ZN9rocsparseL19gebsrmvn_2xn_kernelILj128ELj14ELj16EdEEvi20rocsparse_direction_NS_24const_host_device_scalarIT2_EEPKiS6_PKS3_S8_S4_PS3_21rocsparse_index_base_b,comdat
.Lfunc_end138:
	.size	_ZN9rocsparseL19gebsrmvn_2xn_kernelILj128ELj14ELj16EdEEvi20rocsparse_direction_NS_24const_host_device_scalarIT2_EEPKiS6_PKS3_S8_S4_PS3_21rocsparse_index_base_b, .Lfunc_end138-_ZN9rocsparseL19gebsrmvn_2xn_kernelILj128ELj14ELj16EdEEvi20rocsparse_direction_NS_24const_host_device_scalarIT2_EEPKiS6_PKS3_S8_S4_PS3_21rocsparse_index_base_b
                                        ; -- End function
	.section	.AMDGPU.csdata,"",@progbits
; Kernel info:
; codeLenInByte = 2260
; NumSgprs: 24
; NumVgprs: 88
; NumAgprs: 0
; TotalNumVgprs: 88
; ScratchSize: 0
; MemoryBound: 1
; FloatMode: 240
; IeeeMode: 1
; LDSByteSize: 0 bytes/workgroup (compile time only)
; SGPRBlocks: 2
; VGPRBlocks: 10
; NumSGPRsForWavesPerEU: 24
; NumVGPRsForWavesPerEU: 88
; AccumOffset: 88
; Occupancy: 5
; WaveLimiterHint : 1
; COMPUTE_PGM_RSRC2:SCRATCH_EN: 0
; COMPUTE_PGM_RSRC2:USER_SGPR: 2
; COMPUTE_PGM_RSRC2:TRAP_HANDLER: 0
; COMPUTE_PGM_RSRC2:TGID_X_EN: 1
; COMPUTE_PGM_RSRC2:TGID_Y_EN: 0
; COMPUTE_PGM_RSRC2:TGID_Z_EN: 0
; COMPUTE_PGM_RSRC2:TIDIG_COMP_CNT: 0
; COMPUTE_PGM_RSRC3_GFX90A:ACCUM_OFFSET: 21
; COMPUTE_PGM_RSRC3_GFX90A:TG_SPLIT: 0
	.section	.text._ZN9rocsparseL19gebsrmvn_2xn_kernelILj128ELj14ELj32EdEEvi20rocsparse_direction_NS_24const_host_device_scalarIT2_EEPKiS6_PKS3_S8_S4_PS3_21rocsparse_index_base_b,"axG",@progbits,_ZN9rocsparseL19gebsrmvn_2xn_kernelILj128ELj14ELj32EdEEvi20rocsparse_direction_NS_24const_host_device_scalarIT2_EEPKiS6_PKS3_S8_S4_PS3_21rocsparse_index_base_b,comdat
	.globl	_ZN9rocsparseL19gebsrmvn_2xn_kernelILj128ELj14ELj32EdEEvi20rocsparse_direction_NS_24const_host_device_scalarIT2_EEPKiS6_PKS3_S8_S4_PS3_21rocsparse_index_base_b ; -- Begin function _ZN9rocsparseL19gebsrmvn_2xn_kernelILj128ELj14ELj32EdEEvi20rocsparse_direction_NS_24const_host_device_scalarIT2_EEPKiS6_PKS3_S8_S4_PS3_21rocsparse_index_base_b
	.p2align	8
	.type	_ZN9rocsparseL19gebsrmvn_2xn_kernelILj128ELj14ELj32EdEEvi20rocsparse_direction_NS_24const_host_device_scalarIT2_EEPKiS6_PKS3_S8_S4_PS3_21rocsparse_index_base_b,@function
_ZN9rocsparseL19gebsrmvn_2xn_kernelILj128ELj14ELj32EdEEvi20rocsparse_direction_NS_24const_host_device_scalarIT2_EEPKiS6_PKS3_S8_S4_PS3_21rocsparse_index_base_b: ; @_ZN9rocsparseL19gebsrmvn_2xn_kernelILj128ELj14ELj32EdEEvi20rocsparse_direction_NS_24const_host_device_scalarIT2_EEPKiS6_PKS3_S8_S4_PS3_21rocsparse_index_base_b
; %bb.0:
	s_load_dwordx2 s[12:13], s[0:1], 0x40
	s_load_dwordx2 s[8:9], s[0:1], 0x8
	;; [unrolled: 1-line block ×3, first 2 shown]
	s_waitcnt lgkmcnt(0)
	s_bitcmp1_b32 s13, 0
	s_cselect_b64 s[10:11], -1, 0
	s_xor_b64 s[6:7], s[10:11], -1
	s_and_b64 vcc, exec, s[10:11]
	v_mov_b64_e32 v[2:3], s[8:9]
	s_cbranch_vccnz .LBB139_2
; %bb.1:
	v_mov_b64_e32 v[2:3], s[8:9]
	flat_load_dwordx2 v[2:3], v[2:3]
.LBB139_2:
	s_andn2_b64 vcc, exec, s[6:7]
	v_mov_b64_e32 v[4:5], s[4:5]
	s_cbranch_vccnz .LBB139_4
; %bb.3:
	v_mov_b64_e32 v[4:5], s[4:5]
	flat_load_dwordx2 v[4:5], v[4:5]
.LBB139_4:
	s_waitcnt vmcnt(0) lgkmcnt(0)
	v_cmp_neq_f64_e32 vcc, 0, v[2:3]
	v_cmp_neq_f64_e64 s[4:5], 1.0, v[4:5]
	s_or_b64 s[4:5], vcc, s[4:5]
	s_and_saveexec_b64 s[6:7], s[4:5]
	s_cbranch_execz .LBB139_23
; %bb.5:
	s_load_dwordx2 s[14:15], s[0:1], 0x0
	v_lshrrev_b32_e32 v1, 5, v0
	v_lshl_or_b32 v6, s2, 2, v1
	s_waitcnt lgkmcnt(0)
	v_cmp_gt_i32_e32 vcc, s14, v6
	s_and_b64 exec, exec, vcc
	s_cbranch_execz .LBB139_23
; %bb.6:
	s_load_dwordx8 s[4:11], s[0:1], 0x10
	v_ashrrev_i32_e32 v7, 31, v6
	s_cmp_lg_u32 s15, 0
	s_waitcnt lgkmcnt(0)
	v_lshl_add_u64 v[8:9], v[6:7], 2, s[4:5]
	global_load_dwordx2 v[8:9], v[8:9], off
	v_and_b32_e32 v7, 31, v0
	s_waitcnt vmcnt(0)
	v_subrev_u32_e32 v0, s12, v8
	v_subrev_u32_e32 v20, s12, v9
	v_add_u32_e32 v10, v0, v7
	v_cmp_lt_i32_e64 s[2:3], v10, v20
	s_cbranch_scc0 .LBB139_12
; %bb.7:
	v_mov_b64_e32 v[8:9], 0
	s_mov_b64 s[4:5], 0
	v_mov_b64_e32 v[0:1], v[8:9]
	s_and_saveexec_b64 s[14:15], s[2:3]
	s_cbranch_execz .LBB139_11
; %bb.8:
	v_mad_u64_u32 v[12:13], s[16:17], v10, 28, 26
	v_mov_b64_e32 v[8:9], 0
	s_mov_b64 s[16:17], 0
	v_mov_b32_e32 v15, 0
	v_mov_b32_e32 v16, v10
	v_mov_b64_e32 v[0:1], v[8:9]
.LBB139_9:                              ; =>This Inner Loop Header: Depth=1
	v_ashrrev_i32_e32 v17, 31, v16
	v_subrev_u32_e32 v14, 26, v12
	v_lshl_add_u64 v[30:31], v[16:17], 2, s[6:7]
	v_lshl_add_u64 v[32:33], v[14:15], 3, s[8:9]
	global_load_dword v11, v[30:31], off
	global_load_dwordx4 v[22:25], v[32:33], off offset:16
	global_load_dwordx4 v[26:29], v[32:33], off
	v_mov_b32_e32 v19, v15
	v_subrev_u32_e32 v14, 22, v12
	v_lshl_add_u64 v[30:31], v[14:15], 3, s[8:9]
	global_load_dwordx4 v[30:33], v[30:31], off
	v_mov_b32_e32 v13, v15
	v_lshl_add_u64 v[82:83], v[12:13], 3, s[8:9]
	v_add_u32_e32 v16, 32, v16
	v_cmp_ge_i32_e32 vcc, v16, v20
	s_or_b64 s[16:17], vcc, s[16:17]
	s_waitcnt vmcnt(3)
	v_subrev_u32_e32 v11, s12, v11
	v_mul_lo_u32 v18, v11, 14
	v_lshl_add_u64 v[34:35], v[18:19], 3, s[10:11]
	global_load_dwordx4 v[34:37], v[34:35], off
	v_add_u32_e32 v14, 2, v18
	v_lshl_add_u64 v[38:39], v[14:15], 3, s[10:11]
	global_load_dwordx4 v[38:41], v[38:39], off
	v_subrev_u32_e32 v14, 20, v12
	v_lshl_add_u64 v[42:43], v[14:15], 3, s[8:9]
	global_load_dwordx4 v[42:45], v[42:43], off
	v_subrev_u32_e32 v14, 18, v12
	v_lshl_add_u64 v[46:47], v[14:15], 3, s[8:9]
	global_load_dwordx4 v[46:49], v[46:47], off
	v_add_u32_e32 v14, 4, v18
	v_lshl_add_u64 v[50:51], v[14:15], 3, s[10:11]
	v_add_u32_e32 v14, -16, v12
	v_lshl_add_u64 v[62:63], v[14:15], 3, s[8:9]
	v_add_u32_e32 v14, -14, v12
	v_lshl_add_u64 v[64:65], v[14:15], 3, s[8:9]
	v_add_u32_e32 v14, 6, v18
	global_load_dwordx4 v[50:53], v[50:51], off
	s_nop 0
	global_load_dwordx4 v[54:57], v[62:63], off
	global_load_dwordx4 v[58:61], v[64:65], off
	v_lshl_add_u64 v[62:63], v[14:15], 3, s[10:11]
	v_add_u32_e32 v14, -12, v12
	v_lshl_add_u64 v[74:75], v[14:15], 3, s[8:9]
	v_add_u32_e32 v14, -10, v12
	v_lshl_add_u64 v[76:77], v[14:15], 3, s[8:9]
	v_add_u32_e32 v14, 8, v18
	global_load_dwordx4 v[62:65], v[62:63], off
	s_nop 0
	global_load_dwordx4 v[66:69], v[74:75], off
	global_load_dwordx4 v[70:73], v[76:77], off
	v_lshl_add_u64 v[74:75], v[14:15], 3, s[10:11]
	v_add_u32_e32 v14, -8, v12
	v_lshl_add_u64 v[84:85], v[14:15], 3, s[8:9]
	v_add_u32_e32 v14, -6, v12
	global_load_dwordx4 v[74:77], v[74:75], off
	v_lshl_add_u64 v[86:87], v[14:15], 3, s[8:9]
	v_add_u32_e32 v14, 10, v18
	s_waitcnt vmcnt(10)
	v_fmac_f64_e32 v[8:9], v[26:27], v[34:35]
	v_fmac_f64_e32 v[0:1], v[28:29], v[34:35]
	;; [unrolled: 1-line block ×3, first 2 shown]
	v_lshl_add_u64 v[22:23], v[14:15], 3, s[10:11]
	v_add_u32_e32 v14, -4, v12
	global_load_dwordx4 v[26:29], v[84:85], off
	global_load_dwordx4 v[78:81], v[86:87], off
	v_fmac_f64_e32 v[0:1], v[24:25], v[36:37]
	v_lshl_add_u64 v[34:35], v[14:15], 3, s[8:9]
	v_add_u32_e32 v14, -2, v12
	global_load_dwordx4 v[22:25], v[22:23], off
	v_lshl_add_u64 v[84:85], v[14:15], 3, s[8:9]
	v_add_u32_e32 v14, 12, v18
	global_load_dwordx4 v[34:37], v[34:35], off
	s_waitcnt vmcnt(13)
	v_fmac_f64_e32 v[8:9], v[30:31], v[38:39]
	v_fmac_f64_e32 v[0:1], v[32:33], v[38:39]
	global_load_dwordx4 v[30:33], v[84:85], off
	v_lshl_add_u64 v[18:19], v[14:15], 3, s[10:11]
	s_waitcnt vmcnt(13)
	v_fmac_f64_e32 v[8:9], v[42:43], v[40:41]
	v_fmac_f64_e32 v[0:1], v[44:45], v[40:41]
	global_load_dwordx4 v[38:41], v[18:19], off
	global_load_dwordx4 v[42:45], v[82:83], off
	s_waitcnt vmcnt(13)
	v_fmac_f64_e32 v[8:9], v[46:47], v[50:51]
	v_fmac_f64_e32 v[0:1], v[48:49], v[50:51]
	s_waitcnt vmcnt(12)
	v_fmac_f64_e32 v[8:9], v[54:55], v[52:53]
	v_fmac_f64_e32 v[0:1], v[56:57], v[52:53]
	v_add_u32_e32 v12, 0x380, v12
	s_waitcnt vmcnt(10)
	v_fmac_f64_e32 v[8:9], v[58:59], v[62:63]
	v_fmac_f64_e32 v[0:1], v[60:61], v[62:63]
	s_waitcnt vmcnt(9)
	v_fmac_f64_e32 v[8:9], v[66:67], v[64:65]
	v_fmac_f64_e32 v[0:1], v[68:69], v[64:65]
	;; [unrolled: 3-line block ×8, first 2 shown]
	s_andn2_b64 exec, exec, s[16:17]
	s_cbranch_execnz .LBB139_9
; %bb.10:
	s_or_b64 exec, exec, s[16:17]
.LBB139_11:
	s_or_b64 exec, exec, s[14:15]
	s_andn2_b64 vcc, exec, s[4:5]
	s_cbranch_vccz .LBB139_13
	s_branch .LBB139_18
.LBB139_12:
                                        ; implicit-def: $vgpr8_vgpr9
                                        ; implicit-def: $vgpr0_vgpr1
.LBB139_13:
	v_mov_b64_e32 v[8:9], 0
	v_mov_b64_e32 v[0:1], v[8:9]
	s_and_saveexec_b64 s[4:5], s[2:3]
	s_cbranch_execz .LBB139_17
; %bb.14:
	v_mad_u64_u32 v[12:13], s[2:3], v10, 28, 27
	v_mov_b64_e32 v[8:9], 0
	s_mov_b64 s[2:3], 0
	v_mov_b32_e32 v15, 0
	v_mov_b64_e32 v[0:1], v[8:9]
.LBB139_15:                             ; =>This Inner Loop Header: Depth=1
	v_ashrrev_i32_e32 v11, 31, v10
	v_subrev_u32_e32 v14, 27, v12
	v_lshl_add_u64 v[30:31], v[10:11], 2, s[6:7]
	v_lshl_add_u64 v[32:33], v[14:15], 3, s[8:9]
	global_load_dword v11, v[30:31], off
	global_load_dwordx4 v[22:25], v[32:33], off offset:16
	global_load_dwordx4 v[26:29], v[32:33], off
	v_add_u32_e32 v18, -13, v12
	v_mov_b32_e32 v19, v15
	v_mov_b32_e32 v17, v15
	v_lshl_add_u64 v[18:19], v[18:19], 3, s[8:9]
	v_add_u32_e32 v14, -12, v12
	v_lshl_add_u64 v[30:31], v[14:15], 3, s[8:9]
	global_load_dwordx2 v[48:49], v[18:19], off
	global_load_dwordx2 v[50:51], v[30:31], off
	v_mov_b32_e32 v13, v15
	v_lshl_add_u64 v[46:47], v[12:13], 3, s[8:9]
	v_add_u32_e32 v10, 32, v10
	v_cmp_ge_i32_e32 vcc, v10, v20
	s_or_b64 s[2:3], vcc, s[2:3]
	s_waitcnt vmcnt(4)
	v_subrev_u32_e32 v11, s12, v11
	v_mul_lo_u32 v16, v11, 14
	v_lshl_add_u64 v[18:19], v[16:17], 3, s[10:11]
	global_load_dwordx4 v[30:33], v[18:19], off
	v_add_u32_e32 v14, 2, v16
	v_lshl_add_u64 v[18:19], v[14:15], 3, s[10:11]
	v_add_u32_e32 v14, -11, v12
	global_load_dwordx4 v[34:37], v[18:19], off
	v_lshl_add_u64 v[18:19], v[14:15], 3, s[8:9]
	v_add_u32_e32 v14, -10, v12
	global_load_dwordx2 v[18:19], v[18:19], off
	v_lshl_add_u64 v[38:39], v[14:15], 3, s[8:9]
	global_load_dwordx2 v[52:53], v[38:39], off
	v_subrev_u32_e32 v14, 23, v12
	v_lshl_add_u64 v[38:39], v[14:15], 3, s[8:9]
	v_add_u32_e32 v14, 4, v16
	global_load_dwordx2 v[54:55], v[38:39], off
	v_lshl_add_u64 v[38:39], v[14:15], 3, s[10:11]
	v_add_u32_e32 v14, -9, v12
	v_lshl_add_u64 v[42:43], v[14:15], 3, s[8:9]
	global_load_dwordx4 v[38:41], v[38:39], off
	v_subrev_u32_e32 v14, 22, v12
	global_load_dwordx2 v[56:57], v[42:43], off
	v_lshl_add_u64 v[42:43], v[14:15], 3, s[8:9]
	v_add_u32_e32 v14, -8, v12
	v_lshl_add_u64 v[44:45], v[14:15], 3, s[8:9]
	v_subrev_u32_e32 v14, 21, v12
	global_load_dwordx2 v[58:59], v[42:43], off
	v_lshl_add_u64 v[42:43], v[14:15], 3, s[8:9]
	v_add_u32_e32 v14, 6, v16
	global_load_dwordx2 v[60:61], v[44:45], off
	global_load_dwordx2 v[62:63], v[42:43], off
	v_lshl_add_u64 v[42:43], v[14:15], 3, s[10:11]
	v_add_u32_e32 v14, -7, v12
	v_lshl_add_u64 v[64:65], v[14:15], 3, s[8:9]
	v_subrev_u32_e32 v14, 20, v12
	v_lshl_add_u64 v[66:67], v[14:15], 3, s[8:9]
	v_add_u32_e32 v14, -6, v12
	v_lshl_add_u64 v[68:69], v[14:15], 3, s[8:9]
	v_subrev_u32_e32 v14, 19, v12
	v_lshl_add_u64 v[70:71], v[14:15], 3, s[8:9]
	v_add_u32_e32 v14, 8, v16
	v_lshl_add_u64 v[72:73], v[14:15], 3, s[10:11]
	v_add_u32_e32 v14, -5, v12
	v_lshl_add_u64 v[74:75], v[14:15], 3, s[8:9]
	v_subrev_u32_e32 v14, 18, v12
	global_load_dwordx4 v[42:45], v[42:43], off
	s_waitcnt vmcnt(10)
	v_fmac_f64_e32 v[8:9], v[26:27], v[30:31]
	v_fmac_f64_e32 v[0:1], v[48:49], v[30:31]
	v_lshl_add_u64 v[30:31], v[14:15], 3, s[8:9]
	v_add_u32_e32 v14, -4, v12
	v_fmac_f64_e32 v[8:9], v[28:29], v[32:33]
	v_fmac_f64_e32 v[0:1], v[50:51], v[32:33]
	v_lshl_add_u64 v[32:33], v[14:15], 3, s[8:9]
	v_subrev_u32_e32 v14, 17, v12
	v_lshl_add_u64 v[50:51], v[14:15], 3, s[8:9]
	v_add_u32_e32 v14, 10, v16
	global_load_dwordx2 v[64:65], v[64:65], off
	s_waitcnt vmcnt(10)
	v_fmac_f64_e32 v[8:9], v[22:23], v[34:35]
	global_load_dwordx2 v[66:67], v[66:67], off
	s_waitcnt vmcnt(10)
	v_fmac_f64_e32 v[0:1], v[18:19], v[34:35]
	global_load_dwordx2 v[68:69], v[68:69], off
	v_fmac_f64_e32 v[8:9], v[24:25], v[36:37]
	global_load_dwordx4 v[26:29], v[72:73], off
	v_lshl_add_u64 v[72:73], v[14:15], 3, s[10:11]
	v_add_u32_e32 v14, -3, v12
	global_load_dwordx2 v[48:49], v[74:75], off
	v_lshl_add_u64 v[74:75], v[14:15], 3, s[8:9]
	v_add_u32_e32 v14, -16, v12
	global_load_dwordx2 v[70:71], v[70:71], off
	;; [unrolled: 3-line block ×3, first 2 shown]
	s_waitcnt vmcnt(14)
	v_fmac_f64_e32 v[0:1], v[52:53], v[36:37]
	global_load_dwordx2 v[32:33], v[32:33], off
	v_lshl_add_u64 v[36:37], v[14:15], 3, s[8:9]
	v_add_u32_e32 v14, -15, v12
	global_load_dwordx2 v[50:51], v[50:51], off
	s_waitcnt vmcnt(14)
	v_fmac_f64_e32 v[8:9], v[54:55], v[38:39]
	global_load_dwordx4 v[22:25], v[72:73], off
	global_load_dwordx2 v[34:35], v[74:75], off
	global_load_dwordx2 v[52:53], v[18:19], off
	v_lshl_add_u64 v[18:19], v[14:15], 3, s[8:9]
	v_add_u32_e32 v14, 12, v16
	v_lshl_add_u64 v[16:17], v[14:15], 3, s[10:11]
	v_add_u32_e32 v14, -1, v12
	global_load_dwordx2 v[72:73], v[36:37], off
	global_load_dwordx2 v[74:75], v[18:19], off
	v_lshl_add_u64 v[36:37], v[14:15], 3, s[8:9]
	global_load_dwordx4 v[16:19], v[16:17], off
	v_add_u32_e32 v14, -14, v12
	s_waitcnt vmcnt(19)
	v_fmac_f64_e32 v[0:1], v[56:57], v[38:39]
	v_lshl_add_u64 v[38:39], v[14:15], 3, s[8:9]
	global_load_dwordx2 v[54:55], v[36:37], off
	global_load_dwordx2 v[56:57], v[38:39], off
	;; [unrolled: 1-line block ×3, first 2 shown]
	s_waitcnt vmcnt(21)
	v_fmac_f64_e32 v[8:9], v[58:59], v[40:41]
	s_waitcnt vmcnt(20)
	v_fmac_f64_e32 v[0:1], v[60:61], v[40:41]
	;; [unrolled: 2-line block ×3, first 2 shown]
	v_add_u32_e32 v12, 0x380, v12
	s_waitcnt vmcnt(17)
	v_fmac_f64_e32 v[0:1], v[64:65], v[42:43]
	s_waitcnt vmcnt(16)
	v_fmac_f64_e32 v[8:9], v[66:67], v[44:45]
	;; [unrolled: 2-line block ×15, first 2 shown]
	s_andn2_b64 exec, exec, s[2:3]
	s_cbranch_execnz .LBB139_15
; %bb.16:
	s_or_b64 exec, exec, s[2:3]
.LBB139_17:
	s_or_b64 exec, exec, s[4:5]
.LBB139_18:
	v_mov_b32_dpp v10, v8 row_shr:1 row_mask:0xf bank_mask:0xf
	v_mov_b32_dpp v11, v9 row_shr:1 row_mask:0xf bank_mask:0xf
	;; [unrolled: 1-line block ×4, first 2 shown]
	v_add_f64 v[8:9], v[8:9], v[10:11]
	v_add_f64 v[0:1], v[0:1], v[12:13]
	v_cmp_eq_u32_e32 vcc, 31, v7
	v_mov_b32_dpp v10, v8 row_shr:2 row_mask:0xf bank_mask:0xf
	v_mov_b32_dpp v11, v9 row_shr:2 row_mask:0xf bank_mask:0xf
	v_mov_b32_dpp v12, v0 row_shr:2 row_mask:0xf bank_mask:0xf
	v_mov_b32_dpp v13, v1 row_shr:2 row_mask:0xf bank_mask:0xf
	v_add_f64 v[8:9], v[8:9], v[10:11]
	v_add_f64 v[0:1], v[0:1], v[12:13]
	s_nop 0
	v_mov_b32_dpp v10, v8 row_shr:4 row_mask:0xf bank_mask:0xe
	v_mov_b32_dpp v11, v9 row_shr:4 row_mask:0xf bank_mask:0xe
	v_mov_b32_dpp v12, v0 row_shr:4 row_mask:0xf bank_mask:0xe
	v_mov_b32_dpp v13, v1 row_shr:4 row_mask:0xf bank_mask:0xe
	v_add_f64 v[8:9], v[8:9], v[10:11]
	v_add_f64 v[0:1], v[0:1], v[12:13]
	s_nop 0
	v_mov_b32_dpp v10, v8 row_shr:8 row_mask:0xf bank_mask:0xc
	v_mov_b32_dpp v11, v9 row_shr:8 row_mask:0xf bank_mask:0xc
	v_mov_b32_dpp v12, v0 row_shr:8 row_mask:0xf bank_mask:0xc
	v_mov_b32_dpp v13, v1 row_shr:8 row_mask:0xf bank_mask:0xc
	v_add_f64 v[8:9], v[8:9], v[10:11]
	v_add_f64 v[0:1], v[0:1], v[12:13]
	s_nop 0
	v_mov_b32_dpp v10, v8 row_bcast:15 row_mask:0xa bank_mask:0xf
	v_mov_b32_dpp v11, v9 row_bcast:15 row_mask:0xa bank_mask:0xf
	;; [unrolled: 1-line block ×4, first 2 shown]
	s_and_b64 exec, exec, vcc
	s_cbranch_execz .LBB139_23
; %bb.19:
	s_load_dwordx2 s[0:1], s[0:1], 0x38
	v_add_f64 v[8:9], v[8:9], v[10:11]
	v_add_f64 v[0:1], v[0:1], v[12:13]
	v_cmp_eq_f64_e32 vcc, 0, v[4:5]
	s_and_saveexec_b64 s[2:3], vcc
	s_xor_b64 s[2:3], exec, s[2:3]
	s_cbranch_execz .LBB139_21
; %bb.20:
	v_lshlrev_b32_e32 v6, 1, v6
	v_ashrrev_i32_e32 v7, 31, v6
	v_mul_f64 v[4:5], v[2:3], v[8:9]
	s_waitcnt lgkmcnt(0)
	v_lshl_add_u64 v[8:9], v[6:7], 3, s[0:1]
	v_mul_f64 v[6:7], v[2:3], v[0:1]
	global_store_dwordx4 v[8:9], v[4:7], off
                                        ; implicit-def: $vgpr6
                                        ; implicit-def: $vgpr2_vgpr3
                                        ; implicit-def: $vgpr8_vgpr9
                                        ; implicit-def: $vgpr4_vgpr5
                                        ; implicit-def: $vgpr0_vgpr1
.LBB139_21:
	s_andn2_saveexec_b64 s[2:3], s[2:3]
	s_cbranch_execz .LBB139_23
; %bb.22:
	v_lshlrev_b32_e32 v6, 1, v6
	v_ashrrev_i32_e32 v7, 31, v6
	s_waitcnt lgkmcnt(0)
	v_lshl_add_u64 v[14:15], v[6:7], 3, s[0:1]
	global_load_dwordx4 v[10:13], v[14:15], off
	v_mul_f64 v[6:7], v[2:3], v[8:9]
	v_mul_f64 v[8:9], v[2:3], v[0:1]
	s_waitcnt vmcnt(0)
	v_fmac_f64_e32 v[6:7], v[4:5], v[10:11]
	v_fmac_f64_e32 v[8:9], v[4:5], v[12:13]
	global_store_dwordx4 v[14:15], v[6:9], off
.LBB139_23:
	s_endpgm
	.section	.rodata,"a",@progbits
	.p2align	6, 0x0
	.amdhsa_kernel _ZN9rocsparseL19gebsrmvn_2xn_kernelILj128ELj14ELj32EdEEvi20rocsparse_direction_NS_24const_host_device_scalarIT2_EEPKiS6_PKS3_S8_S4_PS3_21rocsparse_index_base_b
		.amdhsa_group_segment_fixed_size 0
		.amdhsa_private_segment_fixed_size 0
		.amdhsa_kernarg_size 72
		.amdhsa_user_sgpr_count 2
		.amdhsa_user_sgpr_dispatch_ptr 0
		.amdhsa_user_sgpr_queue_ptr 0
		.amdhsa_user_sgpr_kernarg_segment_ptr 1
		.amdhsa_user_sgpr_dispatch_id 0
		.amdhsa_user_sgpr_kernarg_preload_length 0
		.amdhsa_user_sgpr_kernarg_preload_offset 0
		.amdhsa_user_sgpr_private_segment_size 0
		.amdhsa_uses_dynamic_stack 0
		.amdhsa_enable_private_segment 0
		.amdhsa_system_sgpr_workgroup_id_x 1
		.amdhsa_system_sgpr_workgroup_id_y 0
		.amdhsa_system_sgpr_workgroup_id_z 0
		.amdhsa_system_sgpr_workgroup_info 0
		.amdhsa_system_vgpr_workitem_id 0
		.amdhsa_next_free_vgpr 88
		.amdhsa_next_free_sgpr 18
		.amdhsa_accum_offset 88
		.amdhsa_reserve_vcc 1
		.amdhsa_float_round_mode_32 0
		.amdhsa_float_round_mode_16_64 0
		.amdhsa_float_denorm_mode_32 3
		.amdhsa_float_denorm_mode_16_64 3
		.amdhsa_dx10_clamp 1
		.amdhsa_ieee_mode 1
		.amdhsa_fp16_overflow 0
		.amdhsa_tg_split 0
		.amdhsa_exception_fp_ieee_invalid_op 0
		.amdhsa_exception_fp_denorm_src 0
		.amdhsa_exception_fp_ieee_div_zero 0
		.amdhsa_exception_fp_ieee_overflow 0
		.amdhsa_exception_fp_ieee_underflow 0
		.amdhsa_exception_fp_ieee_inexact 0
		.amdhsa_exception_int_div_zero 0
	.end_amdhsa_kernel
	.section	.text._ZN9rocsparseL19gebsrmvn_2xn_kernelILj128ELj14ELj32EdEEvi20rocsparse_direction_NS_24const_host_device_scalarIT2_EEPKiS6_PKS3_S8_S4_PS3_21rocsparse_index_base_b,"axG",@progbits,_ZN9rocsparseL19gebsrmvn_2xn_kernelILj128ELj14ELj32EdEEvi20rocsparse_direction_NS_24const_host_device_scalarIT2_EEPKiS6_PKS3_S8_S4_PS3_21rocsparse_index_base_b,comdat
.Lfunc_end139:
	.size	_ZN9rocsparseL19gebsrmvn_2xn_kernelILj128ELj14ELj32EdEEvi20rocsparse_direction_NS_24const_host_device_scalarIT2_EEPKiS6_PKS3_S8_S4_PS3_21rocsparse_index_base_b, .Lfunc_end139-_ZN9rocsparseL19gebsrmvn_2xn_kernelILj128ELj14ELj32EdEEvi20rocsparse_direction_NS_24const_host_device_scalarIT2_EEPKiS6_PKS3_S8_S4_PS3_21rocsparse_index_base_b
                                        ; -- End function
	.section	.AMDGPU.csdata,"",@progbits
; Kernel info:
; codeLenInByte = 2312
; NumSgprs: 24
; NumVgprs: 88
; NumAgprs: 0
; TotalNumVgprs: 88
; ScratchSize: 0
; MemoryBound: 1
; FloatMode: 240
; IeeeMode: 1
; LDSByteSize: 0 bytes/workgroup (compile time only)
; SGPRBlocks: 2
; VGPRBlocks: 10
; NumSGPRsForWavesPerEU: 24
; NumVGPRsForWavesPerEU: 88
; AccumOffset: 88
; Occupancy: 5
; WaveLimiterHint : 1
; COMPUTE_PGM_RSRC2:SCRATCH_EN: 0
; COMPUTE_PGM_RSRC2:USER_SGPR: 2
; COMPUTE_PGM_RSRC2:TRAP_HANDLER: 0
; COMPUTE_PGM_RSRC2:TGID_X_EN: 1
; COMPUTE_PGM_RSRC2:TGID_Y_EN: 0
; COMPUTE_PGM_RSRC2:TGID_Z_EN: 0
; COMPUTE_PGM_RSRC2:TIDIG_COMP_CNT: 0
; COMPUTE_PGM_RSRC3_GFX90A:ACCUM_OFFSET: 21
; COMPUTE_PGM_RSRC3_GFX90A:TG_SPLIT: 0
	.section	.text._ZN9rocsparseL19gebsrmvn_2xn_kernelILj128ELj14ELj64EdEEvi20rocsparse_direction_NS_24const_host_device_scalarIT2_EEPKiS6_PKS3_S8_S4_PS3_21rocsparse_index_base_b,"axG",@progbits,_ZN9rocsparseL19gebsrmvn_2xn_kernelILj128ELj14ELj64EdEEvi20rocsparse_direction_NS_24const_host_device_scalarIT2_EEPKiS6_PKS3_S8_S4_PS3_21rocsparse_index_base_b,comdat
	.globl	_ZN9rocsparseL19gebsrmvn_2xn_kernelILj128ELj14ELj64EdEEvi20rocsparse_direction_NS_24const_host_device_scalarIT2_EEPKiS6_PKS3_S8_S4_PS3_21rocsparse_index_base_b ; -- Begin function _ZN9rocsparseL19gebsrmvn_2xn_kernelILj128ELj14ELj64EdEEvi20rocsparse_direction_NS_24const_host_device_scalarIT2_EEPKiS6_PKS3_S8_S4_PS3_21rocsparse_index_base_b
	.p2align	8
	.type	_ZN9rocsparseL19gebsrmvn_2xn_kernelILj128ELj14ELj64EdEEvi20rocsparse_direction_NS_24const_host_device_scalarIT2_EEPKiS6_PKS3_S8_S4_PS3_21rocsparse_index_base_b,@function
_ZN9rocsparseL19gebsrmvn_2xn_kernelILj128ELj14ELj64EdEEvi20rocsparse_direction_NS_24const_host_device_scalarIT2_EEPKiS6_PKS3_S8_S4_PS3_21rocsparse_index_base_b: ; @_ZN9rocsparseL19gebsrmvn_2xn_kernelILj128ELj14ELj64EdEEvi20rocsparse_direction_NS_24const_host_device_scalarIT2_EEPKiS6_PKS3_S8_S4_PS3_21rocsparse_index_base_b
; %bb.0:
	s_load_dwordx2 s[12:13], s[0:1], 0x40
	s_load_dwordx2 s[8:9], s[0:1], 0x8
	;; [unrolled: 1-line block ×3, first 2 shown]
	s_waitcnt lgkmcnt(0)
	s_bitcmp1_b32 s13, 0
	s_cselect_b64 s[10:11], -1, 0
	s_xor_b64 s[6:7], s[10:11], -1
	s_and_b64 vcc, exec, s[10:11]
	v_mov_b64_e32 v[2:3], s[8:9]
	s_cbranch_vccnz .LBB140_2
; %bb.1:
	v_mov_b64_e32 v[2:3], s[8:9]
	flat_load_dwordx2 v[2:3], v[2:3]
.LBB140_2:
	s_andn2_b64 vcc, exec, s[6:7]
	v_mov_b64_e32 v[4:5], s[4:5]
	s_cbranch_vccnz .LBB140_4
; %bb.3:
	v_mov_b64_e32 v[4:5], s[4:5]
	flat_load_dwordx2 v[4:5], v[4:5]
.LBB140_4:
	s_waitcnt vmcnt(0) lgkmcnt(0)
	v_cmp_neq_f64_e32 vcc, 0, v[2:3]
	v_cmp_neq_f64_e64 s[4:5], 1.0, v[4:5]
	s_or_b64 s[4:5], vcc, s[4:5]
	s_and_saveexec_b64 s[6:7], s[4:5]
	s_cbranch_execz .LBB140_23
; %bb.5:
	s_load_dwordx2 s[14:15], s[0:1], 0x0
	v_lshrrev_b32_e32 v1, 6, v0
	v_lshl_or_b32 v6, s2, 1, v1
	s_waitcnt lgkmcnt(0)
	v_cmp_gt_i32_e32 vcc, s14, v6
	s_and_b64 exec, exec, vcc
	s_cbranch_execz .LBB140_23
; %bb.6:
	s_load_dwordx8 s[4:11], s[0:1], 0x10
	v_ashrrev_i32_e32 v7, 31, v6
	s_cmp_lg_u32 s15, 0
	s_waitcnt lgkmcnt(0)
	v_lshl_add_u64 v[8:9], v[6:7], 2, s[4:5]
	global_load_dwordx2 v[8:9], v[8:9], off
	v_and_b32_e32 v7, 63, v0
	s_waitcnt vmcnt(0)
	v_subrev_u32_e32 v0, s12, v8
	v_subrev_u32_e32 v20, s12, v9
	v_add_u32_e32 v10, v0, v7
	v_cmp_lt_i32_e64 s[2:3], v10, v20
	s_cbranch_scc0 .LBB140_12
; %bb.7:
	v_mov_b64_e32 v[8:9], 0
	s_mov_b64 s[4:5], 0
	v_mov_b64_e32 v[0:1], v[8:9]
	s_and_saveexec_b64 s[14:15], s[2:3]
	s_cbranch_execz .LBB140_11
; %bb.8:
	v_mad_u64_u32 v[12:13], s[16:17], v10, 28, 26
	v_mov_b64_e32 v[8:9], 0
	s_mov_b64 s[16:17], 0
	v_mov_b32_e32 v15, 0
	v_mov_b32_e32 v16, v10
	v_mov_b64_e32 v[0:1], v[8:9]
.LBB140_9:                              ; =>This Inner Loop Header: Depth=1
	v_ashrrev_i32_e32 v17, 31, v16
	v_subrev_u32_e32 v14, 26, v12
	v_lshl_add_u64 v[30:31], v[16:17], 2, s[6:7]
	v_lshl_add_u64 v[32:33], v[14:15], 3, s[8:9]
	global_load_dword v11, v[30:31], off
	global_load_dwordx4 v[22:25], v[32:33], off offset:16
	global_load_dwordx4 v[26:29], v[32:33], off
	v_mov_b32_e32 v19, v15
	v_subrev_u32_e32 v14, 22, v12
	v_lshl_add_u64 v[30:31], v[14:15], 3, s[8:9]
	global_load_dwordx4 v[30:33], v[30:31], off
	v_mov_b32_e32 v13, v15
	v_lshl_add_u64 v[82:83], v[12:13], 3, s[8:9]
	v_add_u32_e32 v16, 64, v16
	v_cmp_ge_i32_e32 vcc, v16, v20
	s_or_b64 s[16:17], vcc, s[16:17]
	s_waitcnt vmcnt(3)
	v_subrev_u32_e32 v11, s12, v11
	v_mul_lo_u32 v18, v11, 14
	v_lshl_add_u64 v[34:35], v[18:19], 3, s[10:11]
	global_load_dwordx4 v[34:37], v[34:35], off
	v_add_u32_e32 v14, 2, v18
	v_lshl_add_u64 v[38:39], v[14:15], 3, s[10:11]
	global_load_dwordx4 v[38:41], v[38:39], off
	v_subrev_u32_e32 v14, 20, v12
	v_lshl_add_u64 v[42:43], v[14:15], 3, s[8:9]
	global_load_dwordx4 v[42:45], v[42:43], off
	v_subrev_u32_e32 v14, 18, v12
	v_lshl_add_u64 v[46:47], v[14:15], 3, s[8:9]
	global_load_dwordx4 v[46:49], v[46:47], off
	v_add_u32_e32 v14, 4, v18
	v_lshl_add_u64 v[50:51], v[14:15], 3, s[10:11]
	v_add_u32_e32 v14, -16, v12
	v_lshl_add_u64 v[62:63], v[14:15], 3, s[8:9]
	v_add_u32_e32 v14, -14, v12
	v_lshl_add_u64 v[64:65], v[14:15], 3, s[8:9]
	v_add_u32_e32 v14, 6, v18
	global_load_dwordx4 v[50:53], v[50:51], off
	s_nop 0
	global_load_dwordx4 v[54:57], v[62:63], off
	global_load_dwordx4 v[58:61], v[64:65], off
	v_lshl_add_u64 v[62:63], v[14:15], 3, s[10:11]
	v_add_u32_e32 v14, -12, v12
	v_lshl_add_u64 v[74:75], v[14:15], 3, s[8:9]
	v_add_u32_e32 v14, -10, v12
	v_lshl_add_u64 v[76:77], v[14:15], 3, s[8:9]
	v_add_u32_e32 v14, 8, v18
	global_load_dwordx4 v[62:65], v[62:63], off
	s_nop 0
	global_load_dwordx4 v[66:69], v[74:75], off
	global_load_dwordx4 v[70:73], v[76:77], off
	v_lshl_add_u64 v[74:75], v[14:15], 3, s[10:11]
	v_add_u32_e32 v14, -8, v12
	v_lshl_add_u64 v[84:85], v[14:15], 3, s[8:9]
	v_add_u32_e32 v14, -6, v12
	global_load_dwordx4 v[74:77], v[74:75], off
	v_lshl_add_u64 v[86:87], v[14:15], 3, s[8:9]
	v_add_u32_e32 v14, 10, v18
	s_waitcnt vmcnt(10)
	v_fmac_f64_e32 v[8:9], v[26:27], v[34:35]
	v_fmac_f64_e32 v[0:1], v[28:29], v[34:35]
	;; [unrolled: 1-line block ×3, first 2 shown]
	v_lshl_add_u64 v[22:23], v[14:15], 3, s[10:11]
	v_add_u32_e32 v14, -4, v12
	global_load_dwordx4 v[26:29], v[84:85], off
	global_load_dwordx4 v[78:81], v[86:87], off
	v_fmac_f64_e32 v[0:1], v[24:25], v[36:37]
	v_lshl_add_u64 v[34:35], v[14:15], 3, s[8:9]
	v_add_u32_e32 v14, -2, v12
	global_load_dwordx4 v[22:25], v[22:23], off
	v_lshl_add_u64 v[84:85], v[14:15], 3, s[8:9]
	v_add_u32_e32 v14, 12, v18
	global_load_dwordx4 v[34:37], v[34:35], off
	s_waitcnt vmcnt(13)
	v_fmac_f64_e32 v[8:9], v[30:31], v[38:39]
	v_fmac_f64_e32 v[0:1], v[32:33], v[38:39]
	global_load_dwordx4 v[30:33], v[84:85], off
	v_lshl_add_u64 v[18:19], v[14:15], 3, s[10:11]
	s_waitcnt vmcnt(13)
	v_fmac_f64_e32 v[8:9], v[42:43], v[40:41]
	v_fmac_f64_e32 v[0:1], v[44:45], v[40:41]
	global_load_dwordx4 v[38:41], v[18:19], off
	global_load_dwordx4 v[42:45], v[82:83], off
	s_waitcnt vmcnt(13)
	v_fmac_f64_e32 v[8:9], v[46:47], v[50:51]
	v_fmac_f64_e32 v[0:1], v[48:49], v[50:51]
	s_waitcnt vmcnt(12)
	v_fmac_f64_e32 v[8:9], v[54:55], v[52:53]
	v_fmac_f64_e32 v[0:1], v[56:57], v[52:53]
	v_add_u32_e32 v12, 0x700, v12
	s_waitcnt vmcnt(10)
	v_fmac_f64_e32 v[8:9], v[58:59], v[62:63]
	v_fmac_f64_e32 v[0:1], v[60:61], v[62:63]
	s_waitcnt vmcnt(9)
	v_fmac_f64_e32 v[8:9], v[66:67], v[64:65]
	v_fmac_f64_e32 v[0:1], v[68:69], v[64:65]
	;; [unrolled: 3-line block ×8, first 2 shown]
	s_andn2_b64 exec, exec, s[16:17]
	s_cbranch_execnz .LBB140_9
; %bb.10:
	s_or_b64 exec, exec, s[16:17]
.LBB140_11:
	s_or_b64 exec, exec, s[14:15]
	s_andn2_b64 vcc, exec, s[4:5]
	s_cbranch_vccz .LBB140_13
	s_branch .LBB140_18
.LBB140_12:
                                        ; implicit-def: $vgpr8_vgpr9
                                        ; implicit-def: $vgpr0_vgpr1
.LBB140_13:
	v_mov_b64_e32 v[8:9], 0
	v_mov_b64_e32 v[0:1], v[8:9]
	s_and_saveexec_b64 s[4:5], s[2:3]
	s_cbranch_execz .LBB140_17
; %bb.14:
	v_mad_u64_u32 v[12:13], s[2:3], v10, 28, 27
	v_mov_b64_e32 v[8:9], 0
	s_mov_b64 s[2:3], 0
	v_mov_b32_e32 v15, 0
	v_mov_b64_e32 v[0:1], v[8:9]
.LBB140_15:                             ; =>This Inner Loop Header: Depth=1
	v_ashrrev_i32_e32 v11, 31, v10
	v_subrev_u32_e32 v14, 27, v12
	v_lshl_add_u64 v[30:31], v[10:11], 2, s[6:7]
	v_lshl_add_u64 v[32:33], v[14:15], 3, s[8:9]
	global_load_dword v11, v[30:31], off
	global_load_dwordx4 v[22:25], v[32:33], off offset:16
	global_load_dwordx4 v[26:29], v[32:33], off
	v_add_u32_e32 v18, -13, v12
	v_mov_b32_e32 v19, v15
	v_mov_b32_e32 v17, v15
	v_lshl_add_u64 v[18:19], v[18:19], 3, s[8:9]
	v_add_u32_e32 v14, -12, v12
	v_lshl_add_u64 v[30:31], v[14:15], 3, s[8:9]
	global_load_dwordx2 v[48:49], v[18:19], off
	global_load_dwordx2 v[50:51], v[30:31], off
	v_mov_b32_e32 v13, v15
	v_lshl_add_u64 v[46:47], v[12:13], 3, s[8:9]
	v_add_u32_e32 v10, 64, v10
	v_cmp_ge_i32_e32 vcc, v10, v20
	s_or_b64 s[2:3], vcc, s[2:3]
	s_waitcnt vmcnt(4)
	v_subrev_u32_e32 v11, s12, v11
	v_mul_lo_u32 v16, v11, 14
	v_lshl_add_u64 v[18:19], v[16:17], 3, s[10:11]
	global_load_dwordx4 v[30:33], v[18:19], off
	v_add_u32_e32 v14, 2, v16
	v_lshl_add_u64 v[18:19], v[14:15], 3, s[10:11]
	v_add_u32_e32 v14, -11, v12
	global_load_dwordx4 v[34:37], v[18:19], off
	v_lshl_add_u64 v[18:19], v[14:15], 3, s[8:9]
	v_add_u32_e32 v14, -10, v12
	global_load_dwordx2 v[18:19], v[18:19], off
	v_lshl_add_u64 v[38:39], v[14:15], 3, s[8:9]
	global_load_dwordx2 v[52:53], v[38:39], off
	v_subrev_u32_e32 v14, 23, v12
	v_lshl_add_u64 v[38:39], v[14:15], 3, s[8:9]
	v_add_u32_e32 v14, 4, v16
	global_load_dwordx2 v[54:55], v[38:39], off
	v_lshl_add_u64 v[38:39], v[14:15], 3, s[10:11]
	v_add_u32_e32 v14, -9, v12
	v_lshl_add_u64 v[42:43], v[14:15], 3, s[8:9]
	global_load_dwordx4 v[38:41], v[38:39], off
	v_subrev_u32_e32 v14, 22, v12
	global_load_dwordx2 v[56:57], v[42:43], off
	v_lshl_add_u64 v[42:43], v[14:15], 3, s[8:9]
	v_add_u32_e32 v14, -8, v12
	v_lshl_add_u64 v[44:45], v[14:15], 3, s[8:9]
	v_subrev_u32_e32 v14, 21, v12
	global_load_dwordx2 v[58:59], v[42:43], off
	v_lshl_add_u64 v[42:43], v[14:15], 3, s[8:9]
	v_add_u32_e32 v14, 6, v16
	global_load_dwordx2 v[60:61], v[44:45], off
	global_load_dwordx2 v[62:63], v[42:43], off
	v_lshl_add_u64 v[42:43], v[14:15], 3, s[10:11]
	v_add_u32_e32 v14, -7, v12
	v_lshl_add_u64 v[64:65], v[14:15], 3, s[8:9]
	v_subrev_u32_e32 v14, 20, v12
	v_lshl_add_u64 v[66:67], v[14:15], 3, s[8:9]
	v_add_u32_e32 v14, -6, v12
	v_lshl_add_u64 v[68:69], v[14:15], 3, s[8:9]
	v_subrev_u32_e32 v14, 19, v12
	v_lshl_add_u64 v[70:71], v[14:15], 3, s[8:9]
	v_add_u32_e32 v14, 8, v16
	v_lshl_add_u64 v[72:73], v[14:15], 3, s[10:11]
	v_add_u32_e32 v14, -5, v12
	v_lshl_add_u64 v[74:75], v[14:15], 3, s[8:9]
	v_subrev_u32_e32 v14, 18, v12
	global_load_dwordx4 v[42:45], v[42:43], off
	s_waitcnt vmcnt(10)
	v_fmac_f64_e32 v[8:9], v[26:27], v[30:31]
	v_fmac_f64_e32 v[0:1], v[48:49], v[30:31]
	v_lshl_add_u64 v[30:31], v[14:15], 3, s[8:9]
	v_add_u32_e32 v14, -4, v12
	v_fmac_f64_e32 v[8:9], v[28:29], v[32:33]
	v_fmac_f64_e32 v[0:1], v[50:51], v[32:33]
	v_lshl_add_u64 v[32:33], v[14:15], 3, s[8:9]
	v_subrev_u32_e32 v14, 17, v12
	v_lshl_add_u64 v[50:51], v[14:15], 3, s[8:9]
	v_add_u32_e32 v14, 10, v16
	global_load_dwordx2 v[64:65], v[64:65], off
	s_waitcnt vmcnt(10)
	v_fmac_f64_e32 v[8:9], v[22:23], v[34:35]
	global_load_dwordx2 v[66:67], v[66:67], off
	s_waitcnt vmcnt(10)
	v_fmac_f64_e32 v[0:1], v[18:19], v[34:35]
	global_load_dwordx2 v[68:69], v[68:69], off
	v_fmac_f64_e32 v[8:9], v[24:25], v[36:37]
	global_load_dwordx4 v[26:29], v[72:73], off
	v_lshl_add_u64 v[72:73], v[14:15], 3, s[10:11]
	v_add_u32_e32 v14, -3, v12
	global_load_dwordx2 v[48:49], v[74:75], off
	v_lshl_add_u64 v[74:75], v[14:15], 3, s[8:9]
	v_add_u32_e32 v14, -16, v12
	global_load_dwordx2 v[70:71], v[70:71], off
	;; [unrolled: 3-line block ×3, first 2 shown]
	s_waitcnt vmcnt(14)
	v_fmac_f64_e32 v[0:1], v[52:53], v[36:37]
	global_load_dwordx2 v[32:33], v[32:33], off
	v_lshl_add_u64 v[36:37], v[14:15], 3, s[8:9]
	v_add_u32_e32 v14, -15, v12
	global_load_dwordx2 v[50:51], v[50:51], off
	s_waitcnt vmcnt(14)
	v_fmac_f64_e32 v[8:9], v[54:55], v[38:39]
	global_load_dwordx4 v[22:25], v[72:73], off
	global_load_dwordx2 v[34:35], v[74:75], off
	global_load_dwordx2 v[52:53], v[18:19], off
	v_lshl_add_u64 v[18:19], v[14:15], 3, s[8:9]
	v_add_u32_e32 v14, 12, v16
	v_lshl_add_u64 v[16:17], v[14:15], 3, s[10:11]
	v_add_u32_e32 v14, -1, v12
	global_load_dwordx2 v[72:73], v[36:37], off
	global_load_dwordx2 v[74:75], v[18:19], off
	v_lshl_add_u64 v[36:37], v[14:15], 3, s[8:9]
	global_load_dwordx4 v[16:19], v[16:17], off
	v_add_u32_e32 v14, -14, v12
	s_waitcnt vmcnt(19)
	v_fmac_f64_e32 v[0:1], v[56:57], v[38:39]
	v_lshl_add_u64 v[38:39], v[14:15], 3, s[8:9]
	global_load_dwordx2 v[54:55], v[36:37], off
	global_load_dwordx2 v[56:57], v[38:39], off
	;; [unrolled: 1-line block ×3, first 2 shown]
	s_waitcnt vmcnt(21)
	v_fmac_f64_e32 v[8:9], v[58:59], v[40:41]
	s_waitcnt vmcnt(20)
	v_fmac_f64_e32 v[0:1], v[60:61], v[40:41]
	;; [unrolled: 2-line block ×3, first 2 shown]
	v_add_u32_e32 v12, 0x700, v12
	s_waitcnt vmcnt(17)
	v_fmac_f64_e32 v[0:1], v[64:65], v[42:43]
	s_waitcnt vmcnt(16)
	v_fmac_f64_e32 v[8:9], v[66:67], v[44:45]
	;; [unrolled: 2-line block ×15, first 2 shown]
	s_andn2_b64 exec, exec, s[2:3]
	s_cbranch_execnz .LBB140_15
; %bb.16:
	s_or_b64 exec, exec, s[2:3]
.LBB140_17:
	s_or_b64 exec, exec, s[4:5]
.LBB140_18:
	v_mov_b32_dpp v10, v8 row_shr:1 row_mask:0xf bank_mask:0xf
	v_mov_b32_dpp v11, v9 row_shr:1 row_mask:0xf bank_mask:0xf
	;; [unrolled: 1-line block ×4, first 2 shown]
	v_add_f64 v[8:9], v[8:9], v[10:11]
	v_add_f64 v[0:1], v[0:1], v[12:13]
	v_cmp_eq_u32_e32 vcc, 63, v7
	v_mov_b32_dpp v10, v8 row_shr:2 row_mask:0xf bank_mask:0xf
	v_mov_b32_dpp v11, v9 row_shr:2 row_mask:0xf bank_mask:0xf
	v_mov_b32_dpp v12, v0 row_shr:2 row_mask:0xf bank_mask:0xf
	v_mov_b32_dpp v13, v1 row_shr:2 row_mask:0xf bank_mask:0xf
	v_add_f64 v[8:9], v[8:9], v[10:11]
	v_add_f64 v[0:1], v[0:1], v[12:13]
	s_nop 0
	v_mov_b32_dpp v10, v8 row_shr:4 row_mask:0xf bank_mask:0xe
	v_mov_b32_dpp v11, v9 row_shr:4 row_mask:0xf bank_mask:0xe
	v_mov_b32_dpp v12, v0 row_shr:4 row_mask:0xf bank_mask:0xe
	v_mov_b32_dpp v13, v1 row_shr:4 row_mask:0xf bank_mask:0xe
	v_add_f64 v[8:9], v[8:9], v[10:11]
	v_add_f64 v[0:1], v[0:1], v[12:13]
	s_nop 0
	;; [unrolled: 7-line block ×3, first 2 shown]
	v_mov_b32_dpp v10, v8 row_bcast:15 row_mask:0xa bank_mask:0xf
	v_mov_b32_dpp v11, v9 row_bcast:15 row_mask:0xa bank_mask:0xf
	;; [unrolled: 1-line block ×4, first 2 shown]
	v_add_f64 v[8:9], v[8:9], v[10:11]
	v_add_f64 v[0:1], v[0:1], v[12:13]
	s_nop 0
	v_mov_b32_dpp v10, v8 row_bcast:31 row_mask:0xc bank_mask:0xf
	v_mov_b32_dpp v11, v9 row_bcast:31 row_mask:0xc bank_mask:0xf
	;; [unrolled: 1-line block ×4, first 2 shown]
	s_and_b64 exec, exec, vcc
	s_cbranch_execz .LBB140_23
; %bb.19:
	s_load_dwordx2 s[0:1], s[0:1], 0x38
	v_add_f64 v[8:9], v[8:9], v[10:11]
	v_add_f64 v[0:1], v[0:1], v[12:13]
	v_cmp_eq_f64_e32 vcc, 0, v[4:5]
	s_and_saveexec_b64 s[2:3], vcc
	s_xor_b64 s[2:3], exec, s[2:3]
	s_cbranch_execz .LBB140_21
; %bb.20:
	v_lshlrev_b32_e32 v6, 1, v6
	v_ashrrev_i32_e32 v7, 31, v6
	v_mul_f64 v[4:5], v[2:3], v[8:9]
	s_waitcnt lgkmcnt(0)
	v_lshl_add_u64 v[8:9], v[6:7], 3, s[0:1]
	v_mul_f64 v[6:7], v[2:3], v[0:1]
	global_store_dwordx4 v[8:9], v[4:7], off
                                        ; implicit-def: $vgpr6
                                        ; implicit-def: $vgpr2_vgpr3
                                        ; implicit-def: $vgpr8_vgpr9
                                        ; implicit-def: $vgpr4_vgpr5
                                        ; implicit-def: $vgpr0_vgpr1
.LBB140_21:
	s_andn2_saveexec_b64 s[2:3], s[2:3]
	s_cbranch_execz .LBB140_23
; %bb.22:
	v_lshlrev_b32_e32 v6, 1, v6
	v_ashrrev_i32_e32 v7, 31, v6
	s_waitcnt lgkmcnt(0)
	v_lshl_add_u64 v[14:15], v[6:7], 3, s[0:1]
	global_load_dwordx4 v[10:13], v[14:15], off
	v_mul_f64 v[6:7], v[2:3], v[8:9]
	v_mul_f64 v[8:9], v[2:3], v[0:1]
	s_waitcnt vmcnt(0)
	v_fmac_f64_e32 v[6:7], v[4:5], v[10:11]
	v_fmac_f64_e32 v[8:9], v[4:5], v[12:13]
	global_store_dwordx4 v[14:15], v[6:9], off
.LBB140_23:
	s_endpgm
	.section	.rodata,"a",@progbits
	.p2align	6, 0x0
	.amdhsa_kernel _ZN9rocsparseL19gebsrmvn_2xn_kernelILj128ELj14ELj64EdEEvi20rocsparse_direction_NS_24const_host_device_scalarIT2_EEPKiS6_PKS3_S8_S4_PS3_21rocsparse_index_base_b
		.amdhsa_group_segment_fixed_size 0
		.amdhsa_private_segment_fixed_size 0
		.amdhsa_kernarg_size 72
		.amdhsa_user_sgpr_count 2
		.amdhsa_user_sgpr_dispatch_ptr 0
		.amdhsa_user_sgpr_queue_ptr 0
		.amdhsa_user_sgpr_kernarg_segment_ptr 1
		.amdhsa_user_sgpr_dispatch_id 0
		.amdhsa_user_sgpr_kernarg_preload_length 0
		.amdhsa_user_sgpr_kernarg_preload_offset 0
		.amdhsa_user_sgpr_private_segment_size 0
		.amdhsa_uses_dynamic_stack 0
		.amdhsa_enable_private_segment 0
		.amdhsa_system_sgpr_workgroup_id_x 1
		.amdhsa_system_sgpr_workgroup_id_y 0
		.amdhsa_system_sgpr_workgroup_id_z 0
		.amdhsa_system_sgpr_workgroup_info 0
		.amdhsa_system_vgpr_workitem_id 0
		.amdhsa_next_free_vgpr 88
		.amdhsa_next_free_sgpr 18
		.amdhsa_accum_offset 88
		.amdhsa_reserve_vcc 1
		.amdhsa_float_round_mode_32 0
		.amdhsa_float_round_mode_16_64 0
		.amdhsa_float_denorm_mode_32 3
		.amdhsa_float_denorm_mode_16_64 3
		.amdhsa_dx10_clamp 1
		.amdhsa_ieee_mode 1
		.amdhsa_fp16_overflow 0
		.amdhsa_tg_split 0
		.amdhsa_exception_fp_ieee_invalid_op 0
		.amdhsa_exception_fp_denorm_src 0
		.amdhsa_exception_fp_ieee_div_zero 0
		.amdhsa_exception_fp_ieee_overflow 0
		.amdhsa_exception_fp_ieee_underflow 0
		.amdhsa_exception_fp_ieee_inexact 0
		.amdhsa_exception_int_div_zero 0
	.end_amdhsa_kernel
	.section	.text._ZN9rocsparseL19gebsrmvn_2xn_kernelILj128ELj14ELj64EdEEvi20rocsparse_direction_NS_24const_host_device_scalarIT2_EEPKiS6_PKS3_S8_S4_PS3_21rocsparse_index_base_b,"axG",@progbits,_ZN9rocsparseL19gebsrmvn_2xn_kernelILj128ELj14ELj64EdEEvi20rocsparse_direction_NS_24const_host_device_scalarIT2_EEPKiS6_PKS3_S8_S4_PS3_21rocsparse_index_base_b,comdat
.Lfunc_end140:
	.size	_ZN9rocsparseL19gebsrmvn_2xn_kernelILj128ELj14ELj64EdEEvi20rocsparse_direction_NS_24const_host_device_scalarIT2_EEPKiS6_PKS3_S8_S4_PS3_21rocsparse_index_base_b, .Lfunc_end140-_ZN9rocsparseL19gebsrmvn_2xn_kernelILj128ELj14ELj64EdEEvi20rocsparse_direction_NS_24const_host_device_scalarIT2_EEPKiS6_PKS3_S8_S4_PS3_21rocsparse_index_base_b
                                        ; -- End function
	.section	.AMDGPU.csdata,"",@progbits
; Kernel info:
; codeLenInByte = 2364
; NumSgprs: 24
; NumVgprs: 88
; NumAgprs: 0
; TotalNumVgprs: 88
; ScratchSize: 0
; MemoryBound: 1
; FloatMode: 240
; IeeeMode: 1
; LDSByteSize: 0 bytes/workgroup (compile time only)
; SGPRBlocks: 2
; VGPRBlocks: 10
; NumSGPRsForWavesPerEU: 24
; NumVGPRsForWavesPerEU: 88
; AccumOffset: 88
; Occupancy: 5
; WaveLimiterHint : 1
; COMPUTE_PGM_RSRC2:SCRATCH_EN: 0
; COMPUTE_PGM_RSRC2:USER_SGPR: 2
; COMPUTE_PGM_RSRC2:TRAP_HANDLER: 0
; COMPUTE_PGM_RSRC2:TGID_X_EN: 1
; COMPUTE_PGM_RSRC2:TGID_Y_EN: 0
; COMPUTE_PGM_RSRC2:TGID_Z_EN: 0
; COMPUTE_PGM_RSRC2:TIDIG_COMP_CNT: 0
; COMPUTE_PGM_RSRC3_GFX90A:ACCUM_OFFSET: 21
; COMPUTE_PGM_RSRC3_GFX90A:TG_SPLIT: 0
	.section	.text._ZN9rocsparseL19gebsrmvn_2xn_kernelILj128ELj15ELj4EdEEvi20rocsparse_direction_NS_24const_host_device_scalarIT2_EEPKiS6_PKS3_S8_S4_PS3_21rocsparse_index_base_b,"axG",@progbits,_ZN9rocsparseL19gebsrmvn_2xn_kernelILj128ELj15ELj4EdEEvi20rocsparse_direction_NS_24const_host_device_scalarIT2_EEPKiS6_PKS3_S8_S4_PS3_21rocsparse_index_base_b,comdat
	.globl	_ZN9rocsparseL19gebsrmvn_2xn_kernelILj128ELj15ELj4EdEEvi20rocsparse_direction_NS_24const_host_device_scalarIT2_EEPKiS6_PKS3_S8_S4_PS3_21rocsparse_index_base_b ; -- Begin function _ZN9rocsparseL19gebsrmvn_2xn_kernelILj128ELj15ELj4EdEEvi20rocsparse_direction_NS_24const_host_device_scalarIT2_EEPKiS6_PKS3_S8_S4_PS3_21rocsparse_index_base_b
	.p2align	8
	.type	_ZN9rocsparseL19gebsrmvn_2xn_kernelILj128ELj15ELj4EdEEvi20rocsparse_direction_NS_24const_host_device_scalarIT2_EEPKiS6_PKS3_S8_S4_PS3_21rocsparse_index_base_b,@function
_ZN9rocsparseL19gebsrmvn_2xn_kernelILj128ELj15ELj4EdEEvi20rocsparse_direction_NS_24const_host_device_scalarIT2_EEPKiS6_PKS3_S8_S4_PS3_21rocsparse_index_base_b: ; @_ZN9rocsparseL19gebsrmvn_2xn_kernelILj128ELj15ELj4EdEEvi20rocsparse_direction_NS_24const_host_device_scalarIT2_EEPKiS6_PKS3_S8_S4_PS3_21rocsparse_index_base_b
; %bb.0:
	s_load_dwordx2 s[12:13], s[0:1], 0x40
	s_load_dwordx2 s[8:9], s[0:1], 0x8
	;; [unrolled: 1-line block ×3, first 2 shown]
	s_waitcnt lgkmcnt(0)
	s_bitcmp1_b32 s13, 0
	s_cselect_b64 s[10:11], -1, 0
	s_xor_b64 s[6:7], s[10:11], -1
	s_and_b64 vcc, exec, s[10:11]
	v_mov_b64_e32 v[2:3], s[8:9]
	s_cbranch_vccnz .LBB141_2
; %bb.1:
	v_mov_b64_e32 v[2:3], s[8:9]
	flat_load_dwordx2 v[2:3], v[2:3]
.LBB141_2:
	s_andn2_b64 vcc, exec, s[6:7]
	v_mov_b64_e32 v[4:5], s[4:5]
	s_cbranch_vccnz .LBB141_4
; %bb.3:
	v_mov_b64_e32 v[4:5], s[4:5]
	flat_load_dwordx2 v[4:5], v[4:5]
.LBB141_4:
	s_waitcnt vmcnt(0) lgkmcnt(0)
	v_cmp_neq_f64_e32 vcc, 0, v[2:3]
	v_cmp_neq_f64_e64 s[4:5], 1.0, v[4:5]
	s_or_b64 s[4:5], vcc, s[4:5]
	s_and_saveexec_b64 s[6:7], s[4:5]
	s_cbranch_execz .LBB141_23
; %bb.5:
	s_load_dwordx2 s[14:15], s[0:1], 0x0
	v_lshrrev_b32_e32 v1, 2, v0
	v_lshl_or_b32 v6, s2, 5, v1
	s_waitcnt lgkmcnt(0)
	v_cmp_gt_i32_e32 vcc, s14, v6
	s_and_b64 exec, exec, vcc
	s_cbranch_execz .LBB141_23
; %bb.6:
	s_load_dwordx8 s[4:11], s[0:1], 0x10
	v_ashrrev_i32_e32 v7, 31, v6
	s_cmp_lg_u32 s15, 0
	s_waitcnt lgkmcnt(0)
	v_lshl_add_u64 v[8:9], v[6:7], 2, s[4:5]
	global_load_dwordx2 v[8:9], v[8:9], off
	v_and_b32_e32 v7, 3, v0
	s_waitcnt vmcnt(0)
	v_subrev_u32_e32 v0, s12, v8
	v_subrev_u32_e32 v20, s12, v9
	v_add_u32_e32 v8, v0, v7
	v_cmp_lt_i32_e64 s[2:3], v8, v20
	s_cbranch_scc0 .LBB141_12
; %bb.7:
	v_mov_b64_e32 v[0:1], 0
	s_mov_b64 s[4:5], 0
	v_mov_b64_e32 v[10:11], v[0:1]
	s_and_saveexec_b64 s[14:15], s[2:3]
	s_cbranch_execz .LBB141_11
; %bb.8:
	v_mad_u64_u32 v[12:13], s[16:17], v8, 30, 28
	v_mov_b64_e32 v[0:1], 0
	s_mov_b64 s[16:17], 0
	v_mov_b32_e32 v15, 0
	v_mov_b32_e32 v16, v8
	v_mov_b64_e32 v[10:11], v[0:1]
.LBB141_9:                              ; =>This Inner Loop Header: Depth=1
	v_ashrrev_i32_e32 v17, 31, v16
	v_subrev_u32_e32 v14, 28, v12
	v_lshl_add_u64 v[26:27], v[16:17], 2, s[6:7]
	v_lshl_add_u64 v[28:29], v[14:15], 3, s[8:9]
	global_load_dword v9, v[26:27], off
	global_load_dwordx4 v[22:25], v[28:29], off
	v_mov_b32_e32 v13, v15
	v_mov_b32_e32 v19, v15
	v_subrev_u32_e32 v14, 26, v12
	v_lshl_add_u64 v[34:35], v[12:13], 3, s[8:9]
	v_lshl_add_u64 v[36:37], v[14:15], 3, s[8:9]
	global_load_dwordx4 v[26:29], v[34:35], off
	global_load_dwordx4 v[30:33], v[36:37], off
	v_add_u32_e32 v16, 4, v16
	v_cmp_ge_i32_e32 vcc, v16, v20
	s_or_b64 s[16:17], vcc, s[16:17]
	s_waitcnt vmcnt(3)
	v_subrev_u32_e32 v9, s12, v9
	v_mul_lo_u32 v18, v9, 15
	v_lshl_add_u64 v[34:35], v[18:19], 3, s[10:11]
	v_add_u32_e32 v14, 1, v18
	global_load_dwordx2 v[50:51], v[34:35], off
	v_lshl_add_u64 v[34:35], v[14:15], 3, s[10:11]
	global_load_dwordx2 v[52:53], v[34:35], off
	v_subrev_u32_e32 v14, 24, v12
	v_lshl_add_u64 v[34:35], v[14:15], 3, s[8:9]
	v_add_u32_e32 v14, 2, v18
	v_lshl_add_u64 v[38:39], v[14:15], 3, s[10:11]
	v_subrev_u32_e32 v14, 22, v12
	global_load_dwordx4 v[34:37], v[34:35], off
	s_waitcnt vmcnt(2)
	v_fmac_f64_e32 v[0:1], v[22:23], v[50:51]
	global_load_dwordx2 v[54:55], v[38:39], off
	v_lshl_add_u64 v[38:39], v[14:15], 3, s[8:9]
	v_add_u32_e32 v14, 3, v18
	v_lshl_add_u64 v[42:43], v[14:15], 3, s[10:11]
	v_subrev_u32_e32 v14, 20, v12
	global_load_dwordx4 v[38:41], v[38:39], off
	v_fmac_f64_e32 v[10:11], v[24:25], v[50:51]
	global_load_dwordx2 v[56:57], v[42:43], off
	v_lshl_add_u64 v[42:43], v[14:15], 3, s[8:9]
	v_add_u32_e32 v14, 4, v18
	v_lshl_add_u64 v[46:47], v[14:15], 3, s[10:11]
	v_subrev_u32_e32 v14, 18, v12
	global_load_dwordx4 v[42:45], v[42:43], off
	s_waitcnt vmcnt(5)
	v_fmac_f64_e32 v[0:1], v[30:31], v[52:53]
	global_load_dwordx2 v[58:59], v[46:47], off
	v_lshl_add_u64 v[46:47], v[14:15], 3, s[8:9]
	v_add_u32_e32 v14, 5, v18
	v_lshl_add_u64 v[60:61], v[14:15], 3, s[10:11]
	v_add_u32_e32 v14, -16, v12
	global_load_dwordx4 v[46:49], v[46:47], off
	v_lshl_add_u64 v[22:23], v[14:15], 3, s[8:9]
	global_load_dwordx2 v[60:61], v[60:61], off
	v_add_u32_e32 v14, 6, v18
	v_lshl_add_u64 v[50:51], v[14:15], 3, s[10:11]
	v_add_u32_e32 v14, -14, v12
	global_load_dwordx4 v[22:25], v[22:23], off
	v_lshl_add_u64 v[30:31], v[14:15], 3, s[8:9]
	global_load_dwordx2 v[50:51], v[50:51], off
	v_add_u32_e32 v14, 7, v18
	v_fmac_f64_e32 v[10:11], v[32:33], v[52:53]
	v_lshl_add_u64 v[52:53], v[14:15], 3, s[10:11]
	global_load_dwordx2 v[52:53], v[52:53], off
	v_add_u32_e32 v14, -12, v12
	global_load_dwordx4 v[30:33], v[30:31], off
	s_waitcnt vmcnt(10)
	v_fmac_f64_e32 v[0:1], v[34:35], v[54:55]
	v_lshl_add_u64 v[34:35], v[14:15], 3, s[8:9]
	v_add_u32_e32 v14, 8, v18
	v_fmac_f64_e32 v[10:11], v[36:37], v[54:55]
	v_lshl_add_u64 v[54:55], v[14:15], 3, s[10:11]
	global_load_dwordx2 v[54:55], v[54:55], off
	v_add_u32_e32 v14, -10, v12
	global_load_dwordx4 v[34:37], v[34:35], off
	s_waitcnt vmcnt(10)
	v_fmac_f64_e32 v[0:1], v[38:39], v[56:57]
	v_lshl_add_u64 v[38:39], v[14:15], 3, s[8:9]
	v_add_u32_e32 v14, 9, v18
	v_fmac_f64_e32 v[10:11], v[40:41], v[56:57]
	v_lshl_add_u64 v[56:57], v[14:15], 3, s[10:11]
	v_add_u32_e32 v14, -8, v12
	global_load_dwordx4 v[38:41], v[38:39], off
	s_waitcnt vmcnt(9)
	v_fmac_f64_e32 v[0:1], v[42:43], v[58:59]
	v_lshl_add_u64 v[42:43], v[14:15], 3, s[8:9]
	v_add_u32_e32 v14, 10, v18
	v_fmac_f64_e32 v[10:11], v[44:45], v[58:59]
	v_lshl_add_u64 v[58:59], v[14:15], 3, s[10:11]
	v_add_u32_e32 v14, -6, v12
	global_load_dwordx4 v[42:45], v[42:43], off
	s_waitcnt vmcnt(8)
	v_fmac_f64_e32 v[0:1], v[46:47], v[60:61]
	v_lshl_add_u64 v[46:47], v[14:15], 3, s[8:9]
	v_add_u32_e32 v14, 11, v18
	v_fmac_f64_e32 v[10:11], v[48:49], v[60:61]
	v_lshl_add_u64 v[60:61], v[14:15], 3, s[10:11]
	v_add_u32_e32 v14, -4, v12
	global_load_dwordx2 v[56:57], v[56:57], off
	s_waitcnt vmcnt(7)
	v_fmac_f64_e32 v[0:1], v[22:23], v[50:51]
	global_load_dwordx2 v[60:61], v[60:61], off
	v_lshl_add_u64 v[22:23], v[14:15], 3, s[8:9]
	v_add_u32_e32 v14, 12, v18
	global_load_dwordx2 v[58:59], v[58:59], off
	v_fmac_f64_e32 v[10:11], v[24:25], v[50:51]
	v_lshl_add_u64 v[50:51], v[14:15], 3, s[10:11]
	v_add_u32_e32 v14, -2, v12
	global_load_dwordx4 v[46:49], v[46:47], off
	s_waitcnt vmcnt(8)
	v_fmac_f64_e32 v[0:1], v[30:31], v[52:53]
	v_lshl_add_u64 v[30:31], v[14:15], 3, s[8:9]
	v_add_u32_e32 v14, 13, v18
	global_load_dwordx4 v[22:25], v[22:23], off
	v_fmac_f64_e32 v[10:11], v[32:33], v[52:53]
	global_load_dwordx4 v[30:33], v[30:31], off
	v_lshl_add_u64 v[52:53], v[14:15], 3, s[10:11]
	global_load_dwordx2 v[50:51], v[50:51], off
	v_add_u32_e32 v14, 14, v18
	global_load_dwordx2 v[18:19], v[52:53], off
	v_lshl_add_u64 v[52:53], v[14:15], 3, s[10:11]
	global_load_dwordx2 v[52:53], v[52:53], off
	v_add_u32_e32 v12, 0x78, v12
	s_waitcnt vmcnt(11)
	v_fmac_f64_e32 v[0:1], v[34:35], v[54:55]
	v_fmac_f64_e32 v[10:11], v[36:37], v[54:55]
	s_waitcnt vmcnt(8)
	v_fmac_f64_e32 v[0:1], v[38:39], v[56:57]
	v_fmac_f64_e32 v[10:11], v[40:41], v[56:57]
	;; [unrolled: 3-line block ×7, first 2 shown]
	s_andn2_b64 exec, exec, s[16:17]
	s_cbranch_execnz .LBB141_9
; %bb.10:
	s_or_b64 exec, exec, s[16:17]
.LBB141_11:
	s_or_b64 exec, exec, s[14:15]
	s_andn2_b64 vcc, exec, s[4:5]
	s_cbranch_vccz .LBB141_13
	s_branch .LBB141_18
.LBB141_12:
                                        ; implicit-def: $vgpr0_vgpr1
                                        ; implicit-def: $vgpr10_vgpr11
.LBB141_13:
	v_mov_b64_e32 v[0:1], 0
	v_mov_b64_e32 v[10:11], v[0:1]
	s_and_saveexec_b64 s[4:5], s[2:3]
	s_cbranch_execz .LBB141_17
; %bb.14:
	v_mad_u64_u32 v[12:13], s[2:3], v8, 30, 29
	v_mov_b64_e32 v[0:1], 0
	s_mov_b64 s[2:3], 0
	v_mov_b32_e32 v15, 0
	v_mov_b64_e32 v[10:11], v[0:1]
.LBB141_15:                             ; =>This Inner Loop Header: Depth=1
	v_ashrrev_i32_e32 v9, 31, v8
	v_subrev_u32_e32 v14, 29, v12
	v_add_u32_e32 v18, -14, v12
	v_mov_b32_e32 v19, v15
	v_mov_b32_e32 v13, v15
	v_lshl_add_u64 v[26:27], v[8:9], 2, s[6:7]
	v_lshl_add_u64 v[28:29], v[14:15], 3, s[8:9]
	;; [unrolled: 1-line block ×4, first 2 shown]
	global_load_dword v9, v[26:27], off
	global_load_dwordx4 v[22:25], v[28:29], off
	global_load_dwordx2 v[32:33], v[18:19], off
	global_load_dwordx2 v[34:35], v[30:31], off
	v_mov_b32_e32 v17, v15
	v_add_u32_e32 v8, 4, v8
	v_cmp_ge_i32_e32 vcc, v8, v20
	s_or_b64 s[2:3], vcc, s[2:3]
	s_waitcnt vmcnt(3)
	v_subrev_u32_e32 v9, s12, v9
	v_mul_lo_u32 v16, v9, 15
	v_lshl_add_u64 v[18:19], v[16:17], 3, s[10:11]
	global_load_dwordx2 v[18:19], v[18:19], off
	v_add_u32_e32 v14, 1, v16
	v_lshl_add_u64 v[26:27], v[14:15], 3, s[10:11]
	global_load_dwordx2 v[26:27], v[26:27], off
	v_add_u32_e32 v14, -13, v12
	v_lshl_add_u64 v[28:29], v[14:15], 3, s[8:9]
	v_subrev_u32_e32 v14, 27, v12
	global_load_dwordx2 v[28:29], v[28:29], off
	v_lshl_add_u64 v[30:31], v[14:15], 3, s[8:9]
	global_load_dwordx2 v[30:31], v[30:31], off
	v_add_u32_e32 v14, 2, v16
	v_lshl_add_u64 v[36:37], v[14:15], 3, s[10:11]
	v_add_u32_e32 v14, -12, v12
	global_load_dwordx2 v[36:37], v[36:37], off
	v_lshl_add_u64 v[38:39], v[14:15], 3, s[8:9]
	v_subrev_u32_e32 v14, 26, v12
	global_load_dwordx2 v[38:39], v[38:39], off
	v_lshl_add_u64 v[40:41], v[14:15], 3, s[8:9]
	global_load_dwordx2 v[40:41], v[40:41], off
	v_add_u32_e32 v14, 3, v16
	v_lshl_add_u64 v[42:43], v[14:15], 3, s[10:11]
	v_add_u32_e32 v14, -11, v12
	global_load_dwordx2 v[42:43], v[42:43], off
	;; [unrolled: 9-line block ×5, first 2 shown]
	v_lshl_add_u64 v[62:63], v[14:15], 3, s[8:9]
	global_load_dwordx2 v[62:63], v[62:63], off
	v_subrev_u32_e32 v14, 22, v12
	v_lshl_add_u64 v[64:65], v[14:15], 3, s[8:9]
	global_load_dwordx2 v[64:65], v[64:65], off
	v_add_u32_e32 v14, 7, v16
	s_waitcnt vmcnt(18)
	v_fmac_f64_e32 v[10:11], v[32:33], v[18:19]
	v_lshl_add_u64 v[32:33], v[14:15], 3, s[10:11]
	v_add_u32_e32 v14, -7, v12
	v_fmac_f64_e32 v[0:1], v[22:23], v[18:19]
	v_lshl_add_u64 v[18:19], v[14:15], 3, s[8:9]
	v_subrev_u32_e32 v14, 21, v12
	v_lshl_add_u64 v[22:23], v[14:15], 3, s[8:9]
	v_add_u32_e32 v14, 8, v16
	global_load_dwordx2 v[32:33], v[32:33], off
	s_waitcnt vmcnt(18)
	v_fmac_f64_e32 v[0:1], v[24:25], v[26:27]
	global_load_dwordx2 v[24:25], v[18:19], off
	global_load_dwordx2 v[66:67], v[22:23], off
	v_lshl_add_u64 v[18:19], v[14:15], 3, s[10:11]
	v_add_u32_e32 v14, -6, v12
	v_lshl_add_u64 v[22:23], v[14:15], 3, s[8:9]
	v_subrev_u32_e32 v14, 20, v12
	s_waitcnt vmcnt(19)
	v_fmac_f64_e32 v[10:11], v[28:29], v[26:27]
	v_lshl_add_u64 v[26:27], v[14:15], 3, s[8:9]
	v_add_u32_e32 v14, 9, v16
	global_load_dwordx2 v[18:19], v[18:19], off
	s_nop 0
	global_load_dwordx2 v[28:29], v[22:23], off
	global_load_dwordx2 v[68:69], v[26:27], off
	v_lshl_add_u64 v[22:23], v[14:15], 3, s[10:11]
	v_add_u32_e32 v14, -5, v12
	v_lshl_add_u64 v[26:27], v[14:15], 3, s[8:9]
	v_subrev_u32_e32 v14, 19, v12
	s_waitcnt vmcnt(20)
	v_fmac_f64_e32 v[0:1], v[30:31], v[36:37]
	v_lshl_add_u64 v[30:31], v[14:15], 3, s[8:9]
	v_add_u32_e32 v14, 10, v16
	global_load_dwordx2 v[22:23], v[22:23], off
	s_waitcnt vmcnt(20)
	v_fmac_f64_e32 v[10:11], v[38:39], v[36:37]
	global_load_dwordx2 v[36:37], v[26:27], off
	global_load_dwordx2 v[38:39], v[30:31], off
	v_lshl_add_u64 v[26:27], v[14:15], 3, s[10:11]
	v_add_u32_e32 v14, -4, v12
	v_lshl_add_u64 v[30:31], v[14:15], 3, s[8:9]
	v_subrev_u32_e32 v14, 18, v12
	s_waitcnt vmcnt(20)
	v_fmac_f64_e32 v[0:1], v[40:41], v[42:43]
	v_lshl_add_u64 v[40:41], v[14:15], 3, s[8:9]
	v_add_u32_e32 v14, 11, v16
	global_load_dwordx2 v[26:27], v[26:27], off
	s_waitcnt vmcnt(20)
	v_fmac_f64_e32 v[10:11], v[44:45], v[42:43]
	;; [unrolled: 13-line block ×3, first 2 shown]
	global_load_dwordx2 v[48:49], v[40:41], off
	global_load_dwordx2 v[50:51], v[46:47], off
	v_lshl_add_u64 v[40:41], v[14:15], 3, s[10:11]
	v_add_u32_e32 v14, -2, v12
	v_lshl_add_u64 v[46:47], v[14:15], 3, s[8:9]
	v_add_u32_e32 v14, -16, v12
	s_waitcnt vmcnt(20)
	v_fmac_f64_e32 v[0:1], v[52:53], v[54:55]
	v_lshl_add_u64 v[52:53], v[14:15], 3, s[8:9]
	v_add_u32_e32 v14, 13, v16
	global_load_dwordx2 v[40:41], v[40:41], off
	s_waitcnt vmcnt(20)
	v_fmac_f64_e32 v[10:11], v[56:57], v[54:55]
	global_load_dwordx2 v[54:55], v[46:47], off
	global_load_dwordx2 v[56:57], v[52:53], off
	v_lshl_add_u64 v[46:47], v[14:15], 3, s[10:11]
	v_add_u32_e32 v14, -1, v12
	v_lshl_add_u64 v[52:53], v[14:15], 3, s[8:9]
	v_add_u32_e32 v14, -15, v12
	s_waitcnt vmcnt(20)
	v_fmac_f64_e32 v[0:1], v[58:59], v[60:61]
	v_lshl_add_u64 v[58:59], v[14:15], 3, s[8:9]
	v_add_u32_e32 v14, 14, v16
	global_load_dwordx2 v[46:47], v[46:47], off
	s_waitcnt vmcnt(20)
	v_fmac_f64_e32 v[10:11], v[62:63], v[60:61]
	global_load_dwordx2 v[16:17], v[52:53], off
	global_load_dwordx2 v[60:61], v[58:59], off
	v_lshl_add_u64 v[52:53], v[14:15], 3, s[10:11]
	global_load_dwordx2 v[52:53], v[52:53], off
	v_add_u32_e32 v12, 0x78, v12
	s_waitcnt vmcnt(21)
	v_fmac_f64_e32 v[0:1], v[64:65], v[32:33]
	s_waitcnt vmcnt(20)
	v_fmac_f64_e32 v[10:11], v[24:25], v[32:33]
	;; [unrolled: 2-line block ×15, first 2 shown]
	v_fmac_f64_e32 v[10:11], v[34:35], v[52:53]
	s_andn2_b64 exec, exec, s[2:3]
	s_cbranch_execnz .LBB141_15
; %bb.16:
	s_or_b64 exec, exec, s[2:3]
.LBB141_17:
	s_or_b64 exec, exec, s[4:5]
.LBB141_18:
	v_mov_b32_dpp v8, v0 row_shr:1 row_mask:0xf bank_mask:0xf
	v_mov_b32_dpp v9, v1 row_shr:1 row_mask:0xf bank_mask:0xf
	;; [unrolled: 1-line block ×4, first 2 shown]
	v_add_f64 v[0:1], v[0:1], v[8:9]
	v_add_f64 v[10:11], v[10:11], v[12:13]
	v_cmp_eq_u32_e32 vcc, 3, v7
	v_mov_b32_dpp v8, v0 row_shr:2 row_mask:0xf bank_mask:0xf
	v_mov_b32_dpp v9, v1 row_shr:2 row_mask:0xf bank_mask:0xf
	;; [unrolled: 1-line block ×4, first 2 shown]
	s_and_b64 exec, exec, vcc
	s_cbranch_execz .LBB141_23
; %bb.19:
	s_load_dwordx2 s[0:1], s[0:1], 0x38
	v_add_f64 v[8:9], v[0:1], v[8:9]
	v_add_f64 v[0:1], v[10:11], v[12:13]
	v_cmp_eq_f64_e32 vcc, 0, v[4:5]
	s_and_saveexec_b64 s[2:3], vcc
	s_xor_b64 s[2:3], exec, s[2:3]
	s_cbranch_execz .LBB141_21
; %bb.20:
	v_lshlrev_b32_e32 v6, 1, v6
	v_ashrrev_i32_e32 v7, 31, v6
	v_mul_f64 v[4:5], v[2:3], v[8:9]
	s_waitcnt lgkmcnt(0)
	v_lshl_add_u64 v[8:9], v[6:7], 3, s[0:1]
	v_mul_f64 v[6:7], v[2:3], v[0:1]
	global_store_dwordx4 v[8:9], v[4:7], off
                                        ; implicit-def: $vgpr6
                                        ; implicit-def: $vgpr2_vgpr3
                                        ; implicit-def: $vgpr8_vgpr9
                                        ; implicit-def: $vgpr4_vgpr5
                                        ; implicit-def: $vgpr0_vgpr1
.LBB141_21:
	s_andn2_saveexec_b64 s[2:3], s[2:3]
	s_cbranch_execz .LBB141_23
; %bb.22:
	v_lshlrev_b32_e32 v6, 1, v6
	v_ashrrev_i32_e32 v7, 31, v6
	s_waitcnt lgkmcnt(0)
	v_lshl_add_u64 v[14:15], v[6:7], 3, s[0:1]
	global_load_dwordx4 v[10:13], v[14:15], off
	v_mul_f64 v[6:7], v[2:3], v[8:9]
	v_mul_f64 v[8:9], v[2:3], v[0:1]
	s_waitcnt vmcnt(0)
	v_fmac_f64_e32 v[6:7], v[4:5], v[10:11]
	v_fmac_f64_e32 v[8:9], v[4:5], v[12:13]
	global_store_dwordx4 v[14:15], v[6:9], off
.LBB141_23:
	s_endpgm
	.section	.rodata,"a",@progbits
	.p2align	6, 0x0
	.amdhsa_kernel _ZN9rocsparseL19gebsrmvn_2xn_kernelILj128ELj15ELj4EdEEvi20rocsparse_direction_NS_24const_host_device_scalarIT2_EEPKiS6_PKS3_S8_S4_PS3_21rocsparse_index_base_b
		.amdhsa_group_segment_fixed_size 0
		.amdhsa_private_segment_fixed_size 0
		.amdhsa_kernarg_size 72
		.amdhsa_user_sgpr_count 2
		.amdhsa_user_sgpr_dispatch_ptr 0
		.amdhsa_user_sgpr_queue_ptr 0
		.amdhsa_user_sgpr_kernarg_segment_ptr 1
		.amdhsa_user_sgpr_dispatch_id 0
		.amdhsa_user_sgpr_kernarg_preload_length 0
		.amdhsa_user_sgpr_kernarg_preload_offset 0
		.amdhsa_user_sgpr_private_segment_size 0
		.amdhsa_uses_dynamic_stack 0
		.amdhsa_enable_private_segment 0
		.amdhsa_system_sgpr_workgroup_id_x 1
		.amdhsa_system_sgpr_workgroup_id_y 0
		.amdhsa_system_sgpr_workgroup_id_z 0
		.amdhsa_system_sgpr_workgroup_info 0
		.amdhsa_system_vgpr_workitem_id 0
		.amdhsa_next_free_vgpr 70
		.amdhsa_next_free_sgpr 18
		.amdhsa_accum_offset 72
		.amdhsa_reserve_vcc 1
		.amdhsa_float_round_mode_32 0
		.amdhsa_float_round_mode_16_64 0
		.amdhsa_float_denorm_mode_32 3
		.amdhsa_float_denorm_mode_16_64 3
		.amdhsa_dx10_clamp 1
		.amdhsa_ieee_mode 1
		.amdhsa_fp16_overflow 0
		.amdhsa_tg_split 0
		.amdhsa_exception_fp_ieee_invalid_op 0
		.amdhsa_exception_fp_denorm_src 0
		.amdhsa_exception_fp_ieee_div_zero 0
		.amdhsa_exception_fp_ieee_overflow 0
		.amdhsa_exception_fp_ieee_underflow 0
		.amdhsa_exception_fp_ieee_inexact 0
		.amdhsa_exception_int_div_zero 0
	.end_amdhsa_kernel
	.section	.text._ZN9rocsparseL19gebsrmvn_2xn_kernelILj128ELj15ELj4EdEEvi20rocsparse_direction_NS_24const_host_device_scalarIT2_EEPKiS6_PKS3_S8_S4_PS3_21rocsparse_index_base_b,"axG",@progbits,_ZN9rocsparseL19gebsrmvn_2xn_kernelILj128ELj15ELj4EdEEvi20rocsparse_direction_NS_24const_host_device_scalarIT2_EEPKiS6_PKS3_S8_S4_PS3_21rocsparse_index_base_b,comdat
.Lfunc_end141:
	.size	_ZN9rocsparseL19gebsrmvn_2xn_kernelILj128ELj15ELj4EdEEvi20rocsparse_direction_NS_24const_host_device_scalarIT2_EEPKiS6_PKS3_S8_S4_PS3_21rocsparse_index_base_b, .Lfunc_end141-_ZN9rocsparseL19gebsrmvn_2xn_kernelILj128ELj15ELj4EdEEvi20rocsparse_direction_NS_24const_host_device_scalarIT2_EEPKiS6_PKS3_S8_S4_PS3_21rocsparse_index_base_b
                                        ; -- End function
	.section	.AMDGPU.csdata,"",@progbits
; Kernel info:
; codeLenInByte = 2616
; NumSgprs: 24
; NumVgprs: 70
; NumAgprs: 0
; TotalNumVgprs: 70
; ScratchSize: 0
; MemoryBound: 0
; FloatMode: 240
; IeeeMode: 1
; LDSByteSize: 0 bytes/workgroup (compile time only)
; SGPRBlocks: 2
; VGPRBlocks: 8
; NumSGPRsForWavesPerEU: 24
; NumVGPRsForWavesPerEU: 70
; AccumOffset: 72
; Occupancy: 7
; WaveLimiterHint : 1
; COMPUTE_PGM_RSRC2:SCRATCH_EN: 0
; COMPUTE_PGM_RSRC2:USER_SGPR: 2
; COMPUTE_PGM_RSRC2:TRAP_HANDLER: 0
; COMPUTE_PGM_RSRC2:TGID_X_EN: 1
; COMPUTE_PGM_RSRC2:TGID_Y_EN: 0
; COMPUTE_PGM_RSRC2:TGID_Z_EN: 0
; COMPUTE_PGM_RSRC2:TIDIG_COMP_CNT: 0
; COMPUTE_PGM_RSRC3_GFX90A:ACCUM_OFFSET: 17
; COMPUTE_PGM_RSRC3_GFX90A:TG_SPLIT: 0
	.section	.text._ZN9rocsparseL19gebsrmvn_2xn_kernelILj128ELj15ELj8EdEEvi20rocsparse_direction_NS_24const_host_device_scalarIT2_EEPKiS6_PKS3_S8_S4_PS3_21rocsparse_index_base_b,"axG",@progbits,_ZN9rocsparseL19gebsrmvn_2xn_kernelILj128ELj15ELj8EdEEvi20rocsparse_direction_NS_24const_host_device_scalarIT2_EEPKiS6_PKS3_S8_S4_PS3_21rocsparse_index_base_b,comdat
	.globl	_ZN9rocsparseL19gebsrmvn_2xn_kernelILj128ELj15ELj8EdEEvi20rocsparse_direction_NS_24const_host_device_scalarIT2_EEPKiS6_PKS3_S8_S4_PS3_21rocsparse_index_base_b ; -- Begin function _ZN9rocsparseL19gebsrmvn_2xn_kernelILj128ELj15ELj8EdEEvi20rocsparse_direction_NS_24const_host_device_scalarIT2_EEPKiS6_PKS3_S8_S4_PS3_21rocsparse_index_base_b
	.p2align	8
	.type	_ZN9rocsparseL19gebsrmvn_2xn_kernelILj128ELj15ELj8EdEEvi20rocsparse_direction_NS_24const_host_device_scalarIT2_EEPKiS6_PKS3_S8_S4_PS3_21rocsparse_index_base_b,@function
_ZN9rocsparseL19gebsrmvn_2xn_kernelILj128ELj15ELj8EdEEvi20rocsparse_direction_NS_24const_host_device_scalarIT2_EEPKiS6_PKS3_S8_S4_PS3_21rocsparse_index_base_b: ; @_ZN9rocsparseL19gebsrmvn_2xn_kernelILj128ELj15ELj8EdEEvi20rocsparse_direction_NS_24const_host_device_scalarIT2_EEPKiS6_PKS3_S8_S4_PS3_21rocsparse_index_base_b
; %bb.0:
	s_load_dwordx2 s[12:13], s[0:1], 0x40
	s_load_dwordx2 s[8:9], s[0:1], 0x8
	;; [unrolled: 1-line block ×3, first 2 shown]
	s_waitcnt lgkmcnt(0)
	s_bitcmp1_b32 s13, 0
	s_cselect_b64 s[10:11], -1, 0
	s_xor_b64 s[6:7], s[10:11], -1
	s_and_b64 vcc, exec, s[10:11]
	v_mov_b64_e32 v[2:3], s[8:9]
	s_cbranch_vccnz .LBB142_2
; %bb.1:
	v_mov_b64_e32 v[2:3], s[8:9]
	flat_load_dwordx2 v[2:3], v[2:3]
.LBB142_2:
	s_andn2_b64 vcc, exec, s[6:7]
	v_mov_b64_e32 v[4:5], s[4:5]
	s_cbranch_vccnz .LBB142_4
; %bb.3:
	v_mov_b64_e32 v[4:5], s[4:5]
	flat_load_dwordx2 v[4:5], v[4:5]
.LBB142_4:
	s_waitcnt vmcnt(0) lgkmcnt(0)
	v_cmp_neq_f64_e32 vcc, 0, v[2:3]
	v_cmp_neq_f64_e64 s[4:5], 1.0, v[4:5]
	s_or_b64 s[4:5], vcc, s[4:5]
	s_and_saveexec_b64 s[6:7], s[4:5]
	s_cbranch_execz .LBB142_23
; %bb.5:
	s_load_dwordx2 s[14:15], s[0:1], 0x0
	v_lshrrev_b32_e32 v1, 3, v0
	v_lshl_or_b32 v6, s2, 4, v1
	s_waitcnt lgkmcnt(0)
	v_cmp_gt_i32_e32 vcc, s14, v6
	s_and_b64 exec, exec, vcc
	s_cbranch_execz .LBB142_23
; %bb.6:
	s_load_dwordx8 s[4:11], s[0:1], 0x10
	v_ashrrev_i32_e32 v7, 31, v6
	s_cmp_lg_u32 s15, 0
	s_waitcnt lgkmcnt(0)
	v_lshl_add_u64 v[8:9], v[6:7], 2, s[4:5]
	global_load_dwordx2 v[8:9], v[8:9], off
	v_and_b32_e32 v7, 7, v0
	s_waitcnt vmcnt(0)
	v_subrev_u32_e32 v0, s12, v8
	v_subrev_u32_e32 v20, s12, v9
	v_add_u32_e32 v8, v0, v7
	v_cmp_lt_i32_e64 s[2:3], v8, v20
	s_cbranch_scc0 .LBB142_12
; %bb.7:
	v_mov_b64_e32 v[0:1], 0
	s_mov_b64 s[4:5], 0
	v_mov_b64_e32 v[10:11], v[0:1]
	s_and_saveexec_b64 s[14:15], s[2:3]
	s_cbranch_execz .LBB142_11
; %bb.8:
	v_mad_u64_u32 v[12:13], s[16:17], v8, 30, 28
	v_mov_b64_e32 v[0:1], 0
	s_mov_b64 s[16:17], 0
	v_mov_b32_e32 v15, 0
	v_mov_b32_e32 v16, v8
	v_mov_b64_e32 v[10:11], v[0:1]
.LBB142_9:                              ; =>This Inner Loop Header: Depth=1
	v_ashrrev_i32_e32 v17, 31, v16
	v_subrev_u32_e32 v14, 28, v12
	v_lshl_add_u64 v[26:27], v[16:17], 2, s[6:7]
	v_lshl_add_u64 v[28:29], v[14:15], 3, s[8:9]
	global_load_dword v9, v[26:27], off
	global_load_dwordx4 v[22:25], v[28:29], off
	v_mov_b32_e32 v13, v15
	v_mov_b32_e32 v19, v15
	v_subrev_u32_e32 v14, 26, v12
	v_lshl_add_u64 v[34:35], v[12:13], 3, s[8:9]
	v_lshl_add_u64 v[36:37], v[14:15], 3, s[8:9]
	global_load_dwordx4 v[26:29], v[34:35], off
	global_load_dwordx4 v[30:33], v[36:37], off
	v_add_u32_e32 v16, 8, v16
	v_cmp_ge_i32_e32 vcc, v16, v20
	s_or_b64 s[16:17], vcc, s[16:17]
	s_waitcnt vmcnt(3)
	v_subrev_u32_e32 v9, s12, v9
	v_mul_lo_u32 v18, v9, 15
	v_lshl_add_u64 v[34:35], v[18:19], 3, s[10:11]
	v_add_u32_e32 v14, 1, v18
	global_load_dwordx2 v[50:51], v[34:35], off
	v_lshl_add_u64 v[34:35], v[14:15], 3, s[10:11]
	global_load_dwordx2 v[52:53], v[34:35], off
	v_subrev_u32_e32 v14, 24, v12
	v_lshl_add_u64 v[34:35], v[14:15], 3, s[8:9]
	v_add_u32_e32 v14, 2, v18
	v_lshl_add_u64 v[38:39], v[14:15], 3, s[10:11]
	v_subrev_u32_e32 v14, 22, v12
	global_load_dwordx4 v[34:37], v[34:35], off
	s_waitcnt vmcnt(2)
	v_fmac_f64_e32 v[0:1], v[22:23], v[50:51]
	global_load_dwordx2 v[54:55], v[38:39], off
	v_lshl_add_u64 v[38:39], v[14:15], 3, s[8:9]
	v_add_u32_e32 v14, 3, v18
	v_lshl_add_u64 v[42:43], v[14:15], 3, s[10:11]
	v_subrev_u32_e32 v14, 20, v12
	global_load_dwordx4 v[38:41], v[38:39], off
	v_fmac_f64_e32 v[10:11], v[24:25], v[50:51]
	global_load_dwordx2 v[56:57], v[42:43], off
	v_lshl_add_u64 v[42:43], v[14:15], 3, s[8:9]
	v_add_u32_e32 v14, 4, v18
	v_lshl_add_u64 v[46:47], v[14:15], 3, s[10:11]
	v_subrev_u32_e32 v14, 18, v12
	global_load_dwordx4 v[42:45], v[42:43], off
	s_waitcnt vmcnt(5)
	v_fmac_f64_e32 v[0:1], v[30:31], v[52:53]
	global_load_dwordx2 v[58:59], v[46:47], off
	v_lshl_add_u64 v[46:47], v[14:15], 3, s[8:9]
	v_add_u32_e32 v14, 5, v18
	v_lshl_add_u64 v[60:61], v[14:15], 3, s[10:11]
	v_add_u32_e32 v14, -16, v12
	global_load_dwordx4 v[46:49], v[46:47], off
	v_lshl_add_u64 v[22:23], v[14:15], 3, s[8:9]
	global_load_dwordx2 v[60:61], v[60:61], off
	v_add_u32_e32 v14, 6, v18
	v_lshl_add_u64 v[50:51], v[14:15], 3, s[10:11]
	v_add_u32_e32 v14, -14, v12
	global_load_dwordx4 v[22:25], v[22:23], off
	v_lshl_add_u64 v[30:31], v[14:15], 3, s[8:9]
	global_load_dwordx2 v[50:51], v[50:51], off
	v_add_u32_e32 v14, 7, v18
	v_fmac_f64_e32 v[10:11], v[32:33], v[52:53]
	v_lshl_add_u64 v[52:53], v[14:15], 3, s[10:11]
	global_load_dwordx2 v[52:53], v[52:53], off
	v_add_u32_e32 v14, -12, v12
	global_load_dwordx4 v[30:33], v[30:31], off
	s_waitcnt vmcnt(10)
	v_fmac_f64_e32 v[0:1], v[34:35], v[54:55]
	v_lshl_add_u64 v[34:35], v[14:15], 3, s[8:9]
	v_add_u32_e32 v14, 8, v18
	v_fmac_f64_e32 v[10:11], v[36:37], v[54:55]
	v_lshl_add_u64 v[54:55], v[14:15], 3, s[10:11]
	global_load_dwordx2 v[54:55], v[54:55], off
	v_add_u32_e32 v14, -10, v12
	global_load_dwordx4 v[34:37], v[34:35], off
	s_waitcnt vmcnt(10)
	v_fmac_f64_e32 v[0:1], v[38:39], v[56:57]
	v_lshl_add_u64 v[38:39], v[14:15], 3, s[8:9]
	v_add_u32_e32 v14, 9, v18
	v_fmac_f64_e32 v[10:11], v[40:41], v[56:57]
	v_lshl_add_u64 v[56:57], v[14:15], 3, s[10:11]
	v_add_u32_e32 v14, -8, v12
	global_load_dwordx4 v[38:41], v[38:39], off
	s_waitcnt vmcnt(9)
	v_fmac_f64_e32 v[0:1], v[42:43], v[58:59]
	v_lshl_add_u64 v[42:43], v[14:15], 3, s[8:9]
	v_add_u32_e32 v14, 10, v18
	v_fmac_f64_e32 v[10:11], v[44:45], v[58:59]
	v_lshl_add_u64 v[58:59], v[14:15], 3, s[10:11]
	;; [unrolled: 8-line block ×3, first 2 shown]
	v_add_u32_e32 v14, -4, v12
	global_load_dwordx2 v[56:57], v[56:57], off
	s_waitcnt vmcnt(7)
	v_fmac_f64_e32 v[0:1], v[22:23], v[50:51]
	global_load_dwordx2 v[60:61], v[60:61], off
	v_lshl_add_u64 v[22:23], v[14:15], 3, s[8:9]
	v_add_u32_e32 v14, 12, v18
	global_load_dwordx2 v[58:59], v[58:59], off
	v_fmac_f64_e32 v[10:11], v[24:25], v[50:51]
	v_lshl_add_u64 v[50:51], v[14:15], 3, s[10:11]
	v_add_u32_e32 v14, -2, v12
	global_load_dwordx4 v[46:49], v[46:47], off
	s_waitcnt vmcnt(8)
	v_fmac_f64_e32 v[0:1], v[30:31], v[52:53]
	v_lshl_add_u64 v[30:31], v[14:15], 3, s[8:9]
	v_add_u32_e32 v14, 13, v18
	global_load_dwordx4 v[22:25], v[22:23], off
	v_fmac_f64_e32 v[10:11], v[32:33], v[52:53]
	global_load_dwordx4 v[30:33], v[30:31], off
	v_lshl_add_u64 v[52:53], v[14:15], 3, s[10:11]
	global_load_dwordx2 v[50:51], v[50:51], off
	v_add_u32_e32 v14, 14, v18
	global_load_dwordx2 v[18:19], v[52:53], off
	v_lshl_add_u64 v[52:53], v[14:15], 3, s[10:11]
	global_load_dwordx2 v[52:53], v[52:53], off
	v_add_u32_e32 v12, 0xf0, v12
	s_waitcnt vmcnt(11)
	v_fmac_f64_e32 v[0:1], v[34:35], v[54:55]
	v_fmac_f64_e32 v[10:11], v[36:37], v[54:55]
	s_waitcnt vmcnt(8)
	v_fmac_f64_e32 v[0:1], v[38:39], v[56:57]
	v_fmac_f64_e32 v[10:11], v[40:41], v[56:57]
	s_waitcnt vmcnt(6)
	v_fmac_f64_e32 v[0:1], v[42:43], v[58:59]
	v_fmac_f64_e32 v[10:11], v[44:45], v[58:59]
	s_waitcnt vmcnt(5)
	v_fmac_f64_e32 v[0:1], v[46:47], v[60:61]
	v_fmac_f64_e32 v[10:11], v[48:49], v[60:61]
	s_waitcnt vmcnt(2)
	v_fmac_f64_e32 v[0:1], v[22:23], v[50:51]
	v_fmac_f64_e32 v[10:11], v[24:25], v[50:51]
	s_waitcnt vmcnt(1)
	v_fmac_f64_e32 v[0:1], v[30:31], v[18:19]
	v_fmac_f64_e32 v[10:11], v[32:33], v[18:19]
	s_waitcnt vmcnt(0)
	v_fmac_f64_e32 v[0:1], v[26:27], v[52:53]
	v_fmac_f64_e32 v[10:11], v[28:29], v[52:53]
	s_andn2_b64 exec, exec, s[16:17]
	s_cbranch_execnz .LBB142_9
; %bb.10:
	s_or_b64 exec, exec, s[16:17]
.LBB142_11:
	s_or_b64 exec, exec, s[14:15]
	s_andn2_b64 vcc, exec, s[4:5]
	s_cbranch_vccz .LBB142_13
	s_branch .LBB142_18
.LBB142_12:
                                        ; implicit-def: $vgpr0_vgpr1
                                        ; implicit-def: $vgpr10_vgpr11
.LBB142_13:
	v_mov_b64_e32 v[0:1], 0
	v_mov_b64_e32 v[10:11], v[0:1]
	s_and_saveexec_b64 s[4:5], s[2:3]
	s_cbranch_execz .LBB142_17
; %bb.14:
	v_mad_u64_u32 v[12:13], s[2:3], v8, 30, 29
	v_mov_b64_e32 v[0:1], 0
	s_mov_b64 s[2:3], 0
	v_mov_b32_e32 v15, 0
	v_mov_b64_e32 v[10:11], v[0:1]
.LBB142_15:                             ; =>This Inner Loop Header: Depth=1
	v_ashrrev_i32_e32 v9, 31, v8
	v_subrev_u32_e32 v14, 29, v12
	v_add_u32_e32 v18, -14, v12
	v_mov_b32_e32 v19, v15
	v_mov_b32_e32 v13, v15
	v_lshl_add_u64 v[26:27], v[8:9], 2, s[6:7]
	v_lshl_add_u64 v[28:29], v[14:15], 3, s[8:9]
	v_lshl_add_u64 v[18:19], v[18:19], 3, s[8:9]
	v_lshl_add_u64 v[30:31], v[12:13], 3, s[8:9]
	global_load_dword v9, v[26:27], off
	global_load_dwordx4 v[22:25], v[28:29], off
	global_load_dwordx2 v[32:33], v[18:19], off
	global_load_dwordx2 v[34:35], v[30:31], off
	v_mov_b32_e32 v17, v15
	v_add_u32_e32 v8, 8, v8
	v_cmp_ge_i32_e32 vcc, v8, v20
	s_or_b64 s[2:3], vcc, s[2:3]
	s_waitcnt vmcnt(3)
	v_subrev_u32_e32 v9, s12, v9
	v_mul_lo_u32 v16, v9, 15
	v_lshl_add_u64 v[18:19], v[16:17], 3, s[10:11]
	global_load_dwordx2 v[18:19], v[18:19], off
	v_add_u32_e32 v14, 1, v16
	v_lshl_add_u64 v[26:27], v[14:15], 3, s[10:11]
	global_load_dwordx2 v[26:27], v[26:27], off
	v_add_u32_e32 v14, -13, v12
	v_lshl_add_u64 v[28:29], v[14:15], 3, s[8:9]
	v_subrev_u32_e32 v14, 27, v12
	global_load_dwordx2 v[28:29], v[28:29], off
	v_lshl_add_u64 v[30:31], v[14:15], 3, s[8:9]
	global_load_dwordx2 v[30:31], v[30:31], off
	v_add_u32_e32 v14, 2, v16
	v_lshl_add_u64 v[36:37], v[14:15], 3, s[10:11]
	v_add_u32_e32 v14, -12, v12
	global_load_dwordx2 v[36:37], v[36:37], off
	v_lshl_add_u64 v[38:39], v[14:15], 3, s[8:9]
	v_subrev_u32_e32 v14, 26, v12
	global_load_dwordx2 v[38:39], v[38:39], off
	v_lshl_add_u64 v[40:41], v[14:15], 3, s[8:9]
	global_load_dwordx2 v[40:41], v[40:41], off
	v_add_u32_e32 v14, 3, v16
	v_lshl_add_u64 v[42:43], v[14:15], 3, s[10:11]
	v_add_u32_e32 v14, -11, v12
	global_load_dwordx2 v[42:43], v[42:43], off
	;; [unrolled: 9-line block ×5, first 2 shown]
	v_lshl_add_u64 v[62:63], v[14:15], 3, s[8:9]
	global_load_dwordx2 v[62:63], v[62:63], off
	v_subrev_u32_e32 v14, 22, v12
	v_lshl_add_u64 v[64:65], v[14:15], 3, s[8:9]
	global_load_dwordx2 v[64:65], v[64:65], off
	v_add_u32_e32 v14, 7, v16
	s_waitcnt vmcnt(18)
	v_fmac_f64_e32 v[10:11], v[32:33], v[18:19]
	v_lshl_add_u64 v[32:33], v[14:15], 3, s[10:11]
	v_add_u32_e32 v14, -7, v12
	v_fmac_f64_e32 v[0:1], v[22:23], v[18:19]
	v_lshl_add_u64 v[18:19], v[14:15], 3, s[8:9]
	v_subrev_u32_e32 v14, 21, v12
	v_lshl_add_u64 v[22:23], v[14:15], 3, s[8:9]
	v_add_u32_e32 v14, 8, v16
	global_load_dwordx2 v[32:33], v[32:33], off
	s_waitcnt vmcnt(18)
	v_fmac_f64_e32 v[0:1], v[24:25], v[26:27]
	global_load_dwordx2 v[24:25], v[18:19], off
	global_load_dwordx2 v[66:67], v[22:23], off
	v_lshl_add_u64 v[18:19], v[14:15], 3, s[10:11]
	v_add_u32_e32 v14, -6, v12
	v_lshl_add_u64 v[22:23], v[14:15], 3, s[8:9]
	v_subrev_u32_e32 v14, 20, v12
	s_waitcnt vmcnt(19)
	v_fmac_f64_e32 v[10:11], v[28:29], v[26:27]
	v_lshl_add_u64 v[26:27], v[14:15], 3, s[8:9]
	v_add_u32_e32 v14, 9, v16
	global_load_dwordx2 v[18:19], v[18:19], off
	s_nop 0
	global_load_dwordx2 v[28:29], v[22:23], off
	global_load_dwordx2 v[68:69], v[26:27], off
	v_lshl_add_u64 v[22:23], v[14:15], 3, s[10:11]
	v_add_u32_e32 v14, -5, v12
	v_lshl_add_u64 v[26:27], v[14:15], 3, s[8:9]
	v_subrev_u32_e32 v14, 19, v12
	s_waitcnt vmcnt(20)
	v_fmac_f64_e32 v[0:1], v[30:31], v[36:37]
	v_lshl_add_u64 v[30:31], v[14:15], 3, s[8:9]
	v_add_u32_e32 v14, 10, v16
	global_load_dwordx2 v[22:23], v[22:23], off
	s_waitcnt vmcnt(20)
	v_fmac_f64_e32 v[10:11], v[38:39], v[36:37]
	global_load_dwordx2 v[36:37], v[26:27], off
	global_load_dwordx2 v[38:39], v[30:31], off
	v_lshl_add_u64 v[26:27], v[14:15], 3, s[10:11]
	v_add_u32_e32 v14, -4, v12
	v_lshl_add_u64 v[30:31], v[14:15], 3, s[8:9]
	v_subrev_u32_e32 v14, 18, v12
	s_waitcnt vmcnt(20)
	v_fmac_f64_e32 v[0:1], v[40:41], v[42:43]
	v_lshl_add_u64 v[40:41], v[14:15], 3, s[8:9]
	v_add_u32_e32 v14, 11, v16
	global_load_dwordx2 v[26:27], v[26:27], off
	s_waitcnt vmcnt(20)
	v_fmac_f64_e32 v[10:11], v[44:45], v[42:43]
	;; [unrolled: 13-line block ×3, first 2 shown]
	global_load_dwordx2 v[48:49], v[40:41], off
	global_load_dwordx2 v[50:51], v[46:47], off
	v_lshl_add_u64 v[40:41], v[14:15], 3, s[10:11]
	v_add_u32_e32 v14, -2, v12
	v_lshl_add_u64 v[46:47], v[14:15], 3, s[8:9]
	v_add_u32_e32 v14, -16, v12
	s_waitcnt vmcnt(20)
	v_fmac_f64_e32 v[0:1], v[52:53], v[54:55]
	v_lshl_add_u64 v[52:53], v[14:15], 3, s[8:9]
	v_add_u32_e32 v14, 13, v16
	global_load_dwordx2 v[40:41], v[40:41], off
	s_waitcnt vmcnt(20)
	v_fmac_f64_e32 v[10:11], v[56:57], v[54:55]
	global_load_dwordx2 v[54:55], v[46:47], off
	global_load_dwordx2 v[56:57], v[52:53], off
	v_lshl_add_u64 v[46:47], v[14:15], 3, s[10:11]
	v_add_u32_e32 v14, -1, v12
	v_lshl_add_u64 v[52:53], v[14:15], 3, s[8:9]
	v_add_u32_e32 v14, -15, v12
	s_waitcnt vmcnt(20)
	v_fmac_f64_e32 v[0:1], v[58:59], v[60:61]
	v_lshl_add_u64 v[58:59], v[14:15], 3, s[8:9]
	v_add_u32_e32 v14, 14, v16
	global_load_dwordx2 v[46:47], v[46:47], off
	s_waitcnt vmcnt(20)
	v_fmac_f64_e32 v[10:11], v[62:63], v[60:61]
	global_load_dwordx2 v[16:17], v[52:53], off
	global_load_dwordx2 v[60:61], v[58:59], off
	v_lshl_add_u64 v[52:53], v[14:15], 3, s[10:11]
	global_load_dwordx2 v[52:53], v[52:53], off
	v_add_u32_e32 v12, 0xf0, v12
	s_waitcnt vmcnt(21)
	v_fmac_f64_e32 v[0:1], v[64:65], v[32:33]
	s_waitcnt vmcnt(20)
	v_fmac_f64_e32 v[10:11], v[24:25], v[32:33]
	;; [unrolled: 2-line block ×15, first 2 shown]
	v_fmac_f64_e32 v[10:11], v[34:35], v[52:53]
	s_andn2_b64 exec, exec, s[2:3]
	s_cbranch_execnz .LBB142_15
; %bb.16:
	s_or_b64 exec, exec, s[2:3]
.LBB142_17:
	s_or_b64 exec, exec, s[4:5]
.LBB142_18:
	v_mov_b32_dpp v8, v0 row_shr:1 row_mask:0xf bank_mask:0xf
	v_mov_b32_dpp v9, v1 row_shr:1 row_mask:0xf bank_mask:0xf
	;; [unrolled: 1-line block ×4, first 2 shown]
	v_add_f64 v[0:1], v[0:1], v[8:9]
	v_add_f64 v[10:11], v[10:11], v[12:13]
	v_cmp_eq_u32_e32 vcc, 7, v7
	v_mov_b32_dpp v8, v0 row_shr:2 row_mask:0xf bank_mask:0xf
	v_mov_b32_dpp v9, v1 row_shr:2 row_mask:0xf bank_mask:0xf
	;; [unrolled: 1-line block ×4, first 2 shown]
	v_add_f64 v[0:1], v[0:1], v[8:9]
	v_add_f64 v[10:11], v[10:11], v[12:13]
	s_nop 0
	v_mov_b32_dpp v8, v0 row_shr:4 row_mask:0xf bank_mask:0xe
	v_mov_b32_dpp v9, v1 row_shr:4 row_mask:0xf bank_mask:0xe
	;; [unrolled: 1-line block ×4, first 2 shown]
	s_and_b64 exec, exec, vcc
	s_cbranch_execz .LBB142_23
; %bb.19:
	s_load_dwordx2 s[0:1], s[0:1], 0x38
	v_add_f64 v[8:9], v[0:1], v[8:9]
	v_add_f64 v[0:1], v[10:11], v[12:13]
	v_cmp_eq_f64_e32 vcc, 0, v[4:5]
	s_and_saveexec_b64 s[2:3], vcc
	s_xor_b64 s[2:3], exec, s[2:3]
	s_cbranch_execz .LBB142_21
; %bb.20:
	v_lshlrev_b32_e32 v6, 1, v6
	v_ashrrev_i32_e32 v7, 31, v6
	v_mul_f64 v[4:5], v[2:3], v[8:9]
	s_waitcnt lgkmcnt(0)
	v_lshl_add_u64 v[8:9], v[6:7], 3, s[0:1]
	v_mul_f64 v[6:7], v[2:3], v[0:1]
	global_store_dwordx4 v[8:9], v[4:7], off
                                        ; implicit-def: $vgpr6
                                        ; implicit-def: $vgpr2_vgpr3
                                        ; implicit-def: $vgpr8_vgpr9
                                        ; implicit-def: $vgpr4_vgpr5
                                        ; implicit-def: $vgpr0_vgpr1
.LBB142_21:
	s_andn2_saveexec_b64 s[2:3], s[2:3]
	s_cbranch_execz .LBB142_23
; %bb.22:
	v_lshlrev_b32_e32 v6, 1, v6
	v_ashrrev_i32_e32 v7, 31, v6
	s_waitcnt lgkmcnt(0)
	v_lshl_add_u64 v[14:15], v[6:7], 3, s[0:1]
	global_load_dwordx4 v[10:13], v[14:15], off
	v_mul_f64 v[6:7], v[2:3], v[8:9]
	v_mul_f64 v[8:9], v[2:3], v[0:1]
	s_waitcnt vmcnt(0)
	v_fmac_f64_e32 v[6:7], v[4:5], v[10:11]
	v_fmac_f64_e32 v[8:9], v[4:5], v[12:13]
	global_store_dwordx4 v[14:15], v[6:9], off
.LBB142_23:
	s_endpgm
	.section	.rodata,"a",@progbits
	.p2align	6, 0x0
	.amdhsa_kernel _ZN9rocsparseL19gebsrmvn_2xn_kernelILj128ELj15ELj8EdEEvi20rocsparse_direction_NS_24const_host_device_scalarIT2_EEPKiS6_PKS3_S8_S4_PS3_21rocsparse_index_base_b
		.amdhsa_group_segment_fixed_size 0
		.amdhsa_private_segment_fixed_size 0
		.amdhsa_kernarg_size 72
		.amdhsa_user_sgpr_count 2
		.amdhsa_user_sgpr_dispatch_ptr 0
		.amdhsa_user_sgpr_queue_ptr 0
		.amdhsa_user_sgpr_kernarg_segment_ptr 1
		.amdhsa_user_sgpr_dispatch_id 0
		.amdhsa_user_sgpr_kernarg_preload_length 0
		.amdhsa_user_sgpr_kernarg_preload_offset 0
		.amdhsa_user_sgpr_private_segment_size 0
		.amdhsa_uses_dynamic_stack 0
		.amdhsa_enable_private_segment 0
		.amdhsa_system_sgpr_workgroup_id_x 1
		.amdhsa_system_sgpr_workgroup_id_y 0
		.amdhsa_system_sgpr_workgroup_id_z 0
		.amdhsa_system_sgpr_workgroup_info 0
		.amdhsa_system_vgpr_workitem_id 0
		.amdhsa_next_free_vgpr 70
		.amdhsa_next_free_sgpr 18
		.amdhsa_accum_offset 72
		.amdhsa_reserve_vcc 1
		.amdhsa_float_round_mode_32 0
		.amdhsa_float_round_mode_16_64 0
		.amdhsa_float_denorm_mode_32 3
		.amdhsa_float_denorm_mode_16_64 3
		.amdhsa_dx10_clamp 1
		.amdhsa_ieee_mode 1
		.amdhsa_fp16_overflow 0
		.amdhsa_tg_split 0
		.amdhsa_exception_fp_ieee_invalid_op 0
		.amdhsa_exception_fp_denorm_src 0
		.amdhsa_exception_fp_ieee_div_zero 0
		.amdhsa_exception_fp_ieee_overflow 0
		.amdhsa_exception_fp_ieee_underflow 0
		.amdhsa_exception_fp_ieee_inexact 0
		.amdhsa_exception_int_div_zero 0
	.end_amdhsa_kernel
	.section	.text._ZN9rocsparseL19gebsrmvn_2xn_kernelILj128ELj15ELj8EdEEvi20rocsparse_direction_NS_24const_host_device_scalarIT2_EEPKiS6_PKS3_S8_S4_PS3_21rocsparse_index_base_b,"axG",@progbits,_ZN9rocsparseL19gebsrmvn_2xn_kernelILj128ELj15ELj8EdEEvi20rocsparse_direction_NS_24const_host_device_scalarIT2_EEPKiS6_PKS3_S8_S4_PS3_21rocsparse_index_base_b,comdat
.Lfunc_end142:
	.size	_ZN9rocsparseL19gebsrmvn_2xn_kernelILj128ELj15ELj8EdEEvi20rocsparse_direction_NS_24const_host_device_scalarIT2_EEPKiS6_PKS3_S8_S4_PS3_21rocsparse_index_base_b, .Lfunc_end142-_ZN9rocsparseL19gebsrmvn_2xn_kernelILj128ELj15ELj8EdEEvi20rocsparse_direction_NS_24const_host_device_scalarIT2_EEPKiS6_PKS3_S8_S4_PS3_21rocsparse_index_base_b
                                        ; -- End function
	.section	.AMDGPU.csdata,"",@progbits
; Kernel info:
; codeLenInByte = 2668
; NumSgprs: 24
; NumVgprs: 70
; NumAgprs: 0
; TotalNumVgprs: 70
; ScratchSize: 0
; MemoryBound: 0
; FloatMode: 240
; IeeeMode: 1
; LDSByteSize: 0 bytes/workgroup (compile time only)
; SGPRBlocks: 2
; VGPRBlocks: 8
; NumSGPRsForWavesPerEU: 24
; NumVGPRsForWavesPerEU: 70
; AccumOffset: 72
; Occupancy: 7
; WaveLimiterHint : 1
; COMPUTE_PGM_RSRC2:SCRATCH_EN: 0
; COMPUTE_PGM_RSRC2:USER_SGPR: 2
; COMPUTE_PGM_RSRC2:TRAP_HANDLER: 0
; COMPUTE_PGM_RSRC2:TGID_X_EN: 1
; COMPUTE_PGM_RSRC2:TGID_Y_EN: 0
; COMPUTE_PGM_RSRC2:TGID_Z_EN: 0
; COMPUTE_PGM_RSRC2:TIDIG_COMP_CNT: 0
; COMPUTE_PGM_RSRC3_GFX90A:ACCUM_OFFSET: 17
; COMPUTE_PGM_RSRC3_GFX90A:TG_SPLIT: 0
	.section	.text._ZN9rocsparseL19gebsrmvn_2xn_kernelILj128ELj15ELj16EdEEvi20rocsparse_direction_NS_24const_host_device_scalarIT2_EEPKiS6_PKS3_S8_S4_PS3_21rocsparse_index_base_b,"axG",@progbits,_ZN9rocsparseL19gebsrmvn_2xn_kernelILj128ELj15ELj16EdEEvi20rocsparse_direction_NS_24const_host_device_scalarIT2_EEPKiS6_PKS3_S8_S4_PS3_21rocsparse_index_base_b,comdat
	.globl	_ZN9rocsparseL19gebsrmvn_2xn_kernelILj128ELj15ELj16EdEEvi20rocsparse_direction_NS_24const_host_device_scalarIT2_EEPKiS6_PKS3_S8_S4_PS3_21rocsparse_index_base_b ; -- Begin function _ZN9rocsparseL19gebsrmvn_2xn_kernelILj128ELj15ELj16EdEEvi20rocsparse_direction_NS_24const_host_device_scalarIT2_EEPKiS6_PKS3_S8_S4_PS3_21rocsparse_index_base_b
	.p2align	8
	.type	_ZN9rocsparseL19gebsrmvn_2xn_kernelILj128ELj15ELj16EdEEvi20rocsparse_direction_NS_24const_host_device_scalarIT2_EEPKiS6_PKS3_S8_S4_PS3_21rocsparse_index_base_b,@function
_ZN9rocsparseL19gebsrmvn_2xn_kernelILj128ELj15ELj16EdEEvi20rocsparse_direction_NS_24const_host_device_scalarIT2_EEPKiS6_PKS3_S8_S4_PS3_21rocsparse_index_base_b: ; @_ZN9rocsparseL19gebsrmvn_2xn_kernelILj128ELj15ELj16EdEEvi20rocsparse_direction_NS_24const_host_device_scalarIT2_EEPKiS6_PKS3_S8_S4_PS3_21rocsparse_index_base_b
; %bb.0:
	s_load_dwordx2 s[12:13], s[0:1], 0x40
	s_load_dwordx2 s[8:9], s[0:1], 0x8
	;; [unrolled: 1-line block ×3, first 2 shown]
	s_waitcnt lgkmcnt(0)
	s_bitcmp1_b32 s13, 0
	s_cselect_b64 s[10:11], -1, 0
	s_xor_b64 s[6:7], s[10:11], -1
	s_and_b64 vcc, exec, s[10:11]
	v_mov_b64_e32 v[2:3], s[8:9]
	s_cbranch_vccnz .LBB143_2
; %bb.1:
	v_mov_b64_e32 v[2:3], s[8:9]
	flat_load_dwordx2 v[2:3], v[2:3]
.LBB143_2:
	s_andn2_b64 vcc, exec, s[6:7]
	v_mov_b64_e32 v[4:5], s[4:5]
	s_cbranch_vccnz .LBB143_4
; %bb.3:
	v_mov_b64_e32 v[4:5], s[4:5]
	flat_load_dwordx2 v[4:5], v[4:5]
.LBB143_4:
	s_waitcnt vmcnt(0) lgkmcnt(0)
	v_cmp_neq_f64_e32 vcc, 0, v[2:3]
	v_cmp_neq_f64_e64 s[4:5], 1.0, v[4:5]
	s_or_b64 s[4:5], vcc, s[4:5]
	s_and_saveexec_b64 s[6:7], s[4:5]
	s_cbranch_execz .LBB143_23
; %bb.5:
	s_load_dwordx2 s[14:15], s[0:1], 0x0
	v_lshrrev_b32_e32 v1, 4, v0
	v_lshl_or_b32 v6, s2, 3, v1
	s_waitcnt lgkmcnt(0)
	v_cmp_gt_i32_e32 vcc, s14, v6
	s_and_b64 exec, exec, vcc
	s_cbranch_execz .LBB143_23
; %bb.6:
	s_load_dwordx8 s[4:11], s[0:1], 0x10
	v_ashrrev_i32_e32 v7, 31, v6
	s_cmp_lg_u32 s15, 0
	s_waitcnt lgkmcnt(0)
	v_lshl_add_u64 v[8:9], v[6:7], 2, s[4:5]
	global_load_dwordx2 v[8:9], v[8:9], off
	v_and_b32_e32 v7, 15, v0
	s_waitcnt vmcnt(0)
	v_subrev_u32_e32 v0, s12, v8
	v_subrev_u32_e32 v20, s12, v9
	v_add_u32_e32 v10, v0, v7
	v_cmp_lt_i32_e64 s[2:3], v10, v20
	s_cbranch_scc0 .LBB143_12
; %bb.7:
	v_mov_b64_e32 v[0:1], 0
	s_mov_b64 s[4:5], 0
	v_mov_b64_e32 v[8:9], v[0:1]
	s_and_saveexec_b64 s[14:15], s[2:3]
	s_cbranch_execz .LBB143_11
; %bb.8:
	v_mad_u64_u32 v[12:13], s[16:17], v10, 30, 28
	v_mov_b64_e32 v[0:1], 0
	s_mov_b64 s[16:17], 0
	v_mov_b32_e32 v15, 0
	v_mov_b32_e32 v16, v10
	v_mov_b64_e32 v[8:9], v[0:1]
.LBB143_9:                              ; =>This Inner Loop Header: Depth=1
	v_ashrrev_i32_e32 v17, 31, v16
	v_subrev_u32_e32 v14, 28, v12
	v_lshl_add_u64 v[26:27], v[16:17], 2, s[6:7]
	v_lshl_add_u64 v[28:29], v[14:15], 3, s[8:9]
	global_load_dword v11, v[26:27], off
	global_load_dwordx4 v[22:25], v[28:29], off
	v_mov_b32_e32 v13, v15
	v_mov_b32_e32 v19, v15
	v_subrev_u32_e32 v14, 26, v12
	v_lshl_add_u64 v[34:35], v[12:13], 3, s[8:9]
	v_lshl_add_u64 v[36:37], v[14:15], 3, s[8:9]
	global_load_dwordx4 v[26:29], v[34:35], off
	global_load_dwordx4 v[30:33], v[36:37], off
	v_add_u32_e32 v16, 16, v16
	v_cmp_ge_i32_e32 vcc, v16, v20
	s_or_b64 s[16:17], vcc, s[16:17]
	s_waitcnt vmcnt(3)
	v_subrev_u32_e32 v11, s12, v11
	v_mul_lo_u32 v18, v11, 15
	v_lshl_add_u64 v[34:35], v[18:19], 3, s[10:11]
	v_add_u32_e32 v14, 1, v18
	global_load_dwordx2 v[50:51], v[34:35], off
	v_lshl_add_u64 v[34:35], v[14:15], 3, s[10:11]
	global_load_dwordx2 v[52:53], v[34:35], off
	v_subrev_u32_e32 v14, 24, v12
	v_lshl_add_u64 v[34:35], v[14:15], 3, s[8:9]
	v_add_u32_e32 v14, 2, v18
	v_lshl_add_u64 v[38:39], v[14:15], 3, s[10:11]
	v_subrev_u32_e32 v14, 22, v12
	global_load_dwordx4 v[34:37], v[34:35], off
	s_waitcnt vmcnt(2)
	v_fmac_f64_e32 v[0:1], v[22:23], v[50:51]
	global_load_dwordx2 v[54:55], v[38:39], off
	v_lshl_add_u64 v[38:39], v[14:15], 3, s[8:9]
	v_add_u32_e32 v14, 3, v18
	v_lshl_add_u64 v[42:43], v[14:15], 3, s[10:11]
	v_subrev_u32_e32 v14, 20, v12
	global_load_dwordx4 v[38:41], v[38:39], off
	v_fmac_f64_e32 v[8:9], v[24:25], v[50:51]
	global_load_dwordx2 v[56:57], v[42:43], off
	v_lshl_add_u64 v[42:43], v[14:15], 3, s[8:9]
	v_add_u32_e32 v14, 4, v18
	v_lshl_add_u64 v[46:47], v[14:15], 3, s[10:11]
	v_subrev_u32_e32 v14, 18, v12
	global_load_dwordx4 v[42:45], v[42:43], off
	s_waitcnt vmcnt(5)
	v_fmac_f64_e32 v[0:1], v[30:31], v[52:53]
	global_load_dwordx2 v[58:59], v[46:47], off
	v_lshl_add_u64 v[46:47], v[14:15], 3, s[8:9]
	v_add_u32_e32 v14, 5, v18
	v_lshl_add_u64 v[60:61], v[14:15], 3, s[10:11]
	v_add_u32_e32 v14, -16, v12
	global_load_dwordx4 v[46:49], v[46:47], off
	v_lshl_add_u64 v[22:23], v[14:15], 3, s[8:9]
	global_load_dwordx2 v[60:61], v[60:61], off
	v_add_u32_e32 v14, 6, v18
	v_lshl_add_u64 v[50:51], v[14:15], 3, s[10:11]
	v_add_u32_e32 v14, -14, v12
	global_load_dwordx4 v[22:25], v[22:23], off
	v_lshl_add_u64 v[30:31], v[14:15], 3, s[8:9]
	global_load_dwordx2 v[50:51], v[50:51], off
	v_add_u32_e32 v14, 7, v18
	v_fmac_f64_e32 v[8:9], v[32:33], v[52:53]
	v_lshl_add_u64 v[52:53], v[14:15], 3, s[10:11]
	global_load_dwordx2 v[52:53], v[52:53], off
	v_add_u32_e32 v14, -12, v12
	global_load_dwordx4 v[30:33], v[30:31], off
	s_waitcnt vmcnt(10)
	v_fmac_f64_e32 v[0:1], v[34:35], v[54:55]
	v_lshl_add_u64 v[34:35], v[14:15], 3, s[8:9]
	v_add_u32_e32 v14, 8, v18
	v_fmac_f64_e32 v[8:9], v[36:37], v[54:55]
	v_lshl_add_u64 v[54:55], v[14:15], 3, s[10:11]
	global_load_dwordx2 v[54:55], v[54:55], off
	v_add_u32_e32 v14, -10, v12
	global_load_dwordx4 v[34:37], v[34:35], off
	s_waitcnt vmcnt(10)
	v_fmac_f64_e32 v[0:1], v[38:39], v[56:57]
	v_lshl_add_u64 v[38:39], v[14:15], 3, s[8:9]
	v_add_u32_e32 v14, 9, v18
	v_fmac_f64_e32 v[8:9], v[40:41], v[56:57]
	v_lshl_add_u64 v[56:57], v[14:15], 3, s[10:11]
	v_add_u32_e32 v14, -8, v12
	global_load_dwordx4 v[38:41], v[38:39], off
	s_waitcnt vmcnt(9)
	v_fmac_f64_e32 v[0:1], v[42:43], v[58:59]
	v_lshl_add_u64 v[42:43], v[14:15], 3, s[8:9]
	v_add_u32_e32 v14, 10, v18
	v_fmac_f64_e32 v[8:9], v[44:45], v[58:59]
	v_lshl_add_u64 v[58:59], v[14:15], 3, s[10:11]
	;; [unrolled: 8-line block ×3, first 2 shown]
	v_add_u32_e32 v14, -4, v12
	global_load_dwordx2 v[56:57], v[56:57], off
	s_waitcnt vmcnt(7)
	v_fmac_f64_e32 v[0:1], v[22:23], v[50:51]
	global_load_dwordx2 v[60:61], v[60:61], off
	v_lshl_add_u64 v[22:23], v[14:15], 3, s[8:9]
	v_add_u32_e32 v14, 12, v18
	global_load_dwordx2 v[58:59], v[58:59], off
	v_fmac_f64_e32 v[8:9], v[24:25], v[50:51]
	v_lshl_add_u64 v[50:51], v[14:15], 3, s[10:11]
	v_add_u32_e32 v14, -2, v12
	global_load_dwordx4 v[46:49], v[46:47], off
	s_waitcnt vmcnt(8)
	v_fmac_f64_e32 v[0:1], v[30:31], v[52:53]
	v_lshl_add_u64 v[30:31], v[14:15], 3, s[8:9]
	v_add_u32_e32 v14, 13, v18
	global_load_dwordx4 v[22:25], v[22:23], off
	v_fmac_f64_e32 v[8:9], v[32:33], v[52:53]
	global_load_dwordx4 v[30:33], v[30:31], off
	v_lshl_add_u64 v[52:53], v[14:15], 3, s[10:11]
	global_load_dwordx2 v[50:51], v[50:51], off
	v_add_u32_e32 v14, 14, v18
	global_load_dwordx2 v[18:19], v[52:53], off
	v_lshl_add_u64 v[52:53], v[14:15], 3, s[10:11]
	global_load_dwordx2 v[52:53], v[52:53], off
	v_add_u32_e32 v12, 0x1e0, v12
	s_waitcnt vmcnt(11)
	v_fmac_f64_e32 v[0:1], v[34:35], v[54:55]
	v_fmac_f64_e32 v[8:9], v[36:37], v[54:55]
	s_waitcnt vmcnt(8)
	v_fmac_f64_e32 v[0:1], v[38:39], v[56:57]
	v_fmac_f64_e32 v[8:9], v[40:41], v[56:57]
	;; [unrolled: 3-line block ×7, first 2 shown]
	s_andn2_b64 exec, exec, s[16:17]
	s_cbranch_execnz .LBB143_9
; %bb.10:
	s_or_b64 exec, exec, s[16:17]
.LBB143_11:
	s_or_b64 exec, exec, s[14:15]
	s_andn2_b64 vcc, exec, s[4:5]
	s_cbranch_vccz .LBB143_13
	s_branch .LBB143_18
.LBB143_12:
                                        ; implicit-def: $vgpr0_vgpr1
                                        ; implicit-def: $vgpr8_vgpr9
.LBB143_13:
	v_mov_b64_e32 v[0:1], 0
	v_mov_b64_e32 v[8:9], v[0:1]
	s_and_saveexec_b64 s[4:5], s[2:3]
	s_cbranch_execz .LBB143_17
; %bb.14:
	v_mad_u64_u32 v[12:13], s[2:3], v10, 30, 29
	v_mov_b64_e32 v[0:1], 0
	s_mov_b64 s[2:3], 0
	v_mov_b32_e32 v15, 0
	v_mov_b64_e32 v[8:9], v[0:1]
.LBB143_15:                             ; =>This Inner Loop Header: Depth=1
	v_ashrrev_i32_e32 v11, 31, v10
	v_subrev_u32_e32 v14, 29, v12
	v_add_u32_e32 v18, -14, v12
	v_mov_b32_e32 v19, v15
	v_mov_b32_e32 v13, v15
	v_lshl_add_u64 v[26:27], v[10:11], 2, s[6:7]
	v_lshl_add_u64 v[28:29], v[14:15], 3, s[8:9]
	;; [unrolled: 1-line block ×4, first 2 shown]
	global_load_dword v11, v[26:27], off
	global_load_dwordx4 v[22:25], v[28:29], off
	global_load_dwordx2 v[32:33], v[18:19], off
	global_load_dwordx2 v[34:35], v[30:31], off
	v_mov_b32_e32 v17, v15
	v_add_u32_e32 v10, 16, v10
	v_cmp_ge_i32_e32 vcc, v10, v20
	s_or_b64 s[2:3], vcc, s[2:3]
	s_waitcnt vmcnt(3)
	v_subrev_u32_e32 v11, s12, v11
	v_mul_lo_u32 v16, v11, 15
	v_lshl_add_u64 v[18:19], v[16:17], 3, s[10:11]
	global_load_dwordx2 v[18:19], v[18:19], off
	v_add_u32_e32 v14, 1, v16
	v_lshl_add_u64 v[26:27], v[14:15], 3, s[10:11]
	global_load_dwordx2 v[26:27], v[26:27], off
	v_add_u32_e32 v14, -13, v12
	v_lshl_add_u64 v[28:29], v[14:15], 3, s[8:9]
	v_subrev_u32_e32 v14, 27, v12
	global_load_dwordx2 v[28:29], v[28:29], off
	v_lshl_add_u64 v[30:31], v[14:15], 3, s[8:9]
	global_load_dwordx2 v[30:31], v[30:31], off
	v_add_u32_e32 v14, 2, v16
	v_lshl_add_u64 v[36:37], v[14:15], 3, s[10:11]
	v_add_u32_e32 v14, -12, v12
	global_load_dwordx2 v[36:37], v[36:37], off
	v_lshl_add_u64 v[38:39], v[14:15], 3, s[8:9]
	v_subrev_u32_e32 v14, 26, v12
	global_load_dwordx2 v[38:39], v[38:39], off
	v_lshl_add_u64 v[40:41], v[14:15], 3, s[8:9]
	global_load_dwordx2 v[40:41], v[40:41], off
	v_add_u32_e32 v14, 3, v16
	v_lshl_add_u64 v[42:43], v[14:15], 3, s[10:11]
	v_add_u32_e32 v14, -11, v12
	global_load_dwordx2 v[42:43], v[42:43], off
	;; [unrolled: 9-line block ×5, first 2 shown]
	v_lshl_add_u64 v[62:63], v[14:15], 3, s[8:9]
	global_load_dwordx2 v[62:63], v[62:63], off
	v_subrev_u32_e32 v14, 22, v12
	v_lshl_add_u64 v[64:65], v[14:15], 3, s[8:9]
	global_load_dwordx2 v[64:65], v[64:65], off
	v_add_u32_e32 v14, 7, v16
	s_waitcnt vmcnt(18)
	v_fmac_f64_e32 v[8:9], v[32:33], v[18:19]
	v_lshl_add_u64 v[32:33], v[14:15], 3, s[10:11]
	v_add_u32_e32 v14, -7, v12
	v_fmac_f64_e32 v[0:1], v[22:23], v[18:19]
	v_lshl_add_u64 v[18:19], v[14:15], 3, s[8:9]
	v_subrev_u32_e32 v14, 21, v12
	v_lshl_add_u64 v[22:23], v[14:15], 3, s[8:9]
	v_add_u32_e32 v14, 8, v16
	global_load_dwordx2 v[32:33], v[32:33], off
	s_waitcnt vmcnt(18)
	v_fmac_f64_e32 v[0:1], v[24:25], v[26:27]
	global_load_dwordx2 v[24:25], v[18:19], off
	global_load_dwordx2 v[66:67], v[22:23], off
	v_lshl_add_u64 v[18:19], v[14:15], 3, s[10:11]
	v_add_u32_e32 v14, -6, v12
	v_lshl_add_u64 v[22:23], v[14:15], 3, s[8:9]
	v_subrev_u32_e32 v14, 20, v12
	s_waitcnt vmcnt(19)
	v_fmac_f64_e32 v[8:9], v[28:29], v[26:27]
	v_lshl_add_u64 v[26:27], v[14:15], 3, s[8:9]
	v_add_u32_e32 v14, 9, v16
	global_load_dwordx2 v[18:19], v[18:19], off
	s_nop 0
	global_load_dwordx2 v[28:29], v[22:23], off
	global_load_dwordx2 v[68:69], v[26:27], off
	v_lshl_add_u64 v[22:23], v[14:15], 3, s[10:11]
	v_add_u32_e32 v14, -5, v12
	v_lshl_add_u64 v[26:27], v[14:15], 3, s[8:9]
	v_subrev_u32_e32 v14, 19, v12
	s_waitcnt vmcnt(20)
	v_fmac_f64_e32 v[0:1], v[30:31], v[36:37]
	v_lshl_add_u64 v[30:31], v[14:15], 3, s[8:9]
	v_add_u32_e32 v14, 10, v16
	global_load_dwordx2 v[22:23], v[22:23], off
	s_waitcnt vmcnt(20)
	v_fmac_f64_e32 v[8:9], v[38:39], v[36:37]
	global_load_dwordx2 v[36:37], v[26:27], off
	global_load_dwordx2 v[38:39], v[30:31], off
	v_lshl_add_u64 v[26:27], v[14:15], 3, s[10:11]
	v_add_u32_e32 v14, -4, v12
	v_lshl_add_u64 v[30:31], v[14:15], 3, s[8:9]
	v_subrev_u32_e32 v14, 18, v12
	s_waitcnt vmcnt(20)
	v_fmac_f64_e32 v[0:1], v[40:41], v[42:43]
	v_lshl_add_u64 v[40:41], v[14:15], 3, s[8:9]
	v_add_u32_e32 v14, 11, v16
	global_load_dwordx2 v[26:27], v[26:27], off
	s_waitcnt vmcnt(20)
	v_fmac_f64_e32 v[8:9], v[44:45], v[42:43]
	global_load_dwordx2 v[42:43], v[30:31], off
	global_load_dwordx2 v[44:45], v[40:41], off
	v_lshl_add_u64 v[30:31], v[14:15], 3, s[10:11]
	v_add_u32_e32 v14, -3, v12
	v_lshl_add_u64 v[40:41], v[14:15], 3, s[8:9]
	v_subrev_u32_e32 v14, 17, v12
	s_waitcnt vmcnt(20)
	v_fmac_f64_e32 v[0:1], v[46:47], v[48:49]
	v_lshl_add_u64 v[46:47], v[14:15], 3, s[8:9]
	v_add_u32_e32 v14, 12, v16
	global_load_dwordx2 v[30:31], v[30:31], off
	s_waitcnt vmcnt(20)
	v_fmac_f64_e32 v[8:9], v[50:51], v[48:49]
	global_load_dwordx2 v[48:49], v[40:41], off
	global_load_dwordx2 v[50:51], v[46:47], off
	v_lshl_add_u64 v[40:41], v[14:15], 3, s[10:11]
	v_add_u32_e32 v14, -2, v12
	v_lshl_add_u64 v[46:47], v[14:15], 3, s[8:9]
	v_add_u32_e32 v14, -16, v12
	s_waitcnt vmcnt(20)
	v_fmac_f64_e32 v[0:1], v[52:53], v[54:55]
	v_lshl_add_u64 v[52:53], v[14:15], 3, s[8:9]
	v_add_u32_e32 v14, 13, v16
	global_load_dwordx2 v[40:41], v[40:41], off
	s_waitcnt vmcnt(20)
	v_fmac_f64_e32 v[8:9], v[56:57], v[54:55]
	global_load_dwordx2 v[54:55], v[46:47], off
	global_load_dwordx2 v[56:57], v[52:53], off
	v_lshl_add_u64 v[46:47], v[14:15], 3, s[10:11]
	v_add_u32_e32 v14, -1, v12
	v_lshl_add_u64 v[52:53], v[14:15], 3, s[8:9]
	v_add_u32_e32 v14, -15, v12
	s_waitcnt vmcnt(20)
	v_fmac_f64_e32 v[0:1], v[58:59], v[60:61]
	v_lshl_add_u64 v[58:59], v[14:15], 3, s[8:9]
	v_add_u32_e32 v14, 14, v16
	global_load_dwordx2 v[46:47], v[46:47], off
	s_waitcnt vmcnt(20)
	v_fmac_f64_e32 v[8:9], v[62:63], v[60:61]
	global_load_dwordx2 v[16:17], v[52:53], off
	global_load_dwordx2 v[60:61], v[58:59], off
	v_lshl_add_u64 v[52:53], v[14:15], 3, s[10:11]
	global_load_dwordx2 v[52:53], v[52:53], off
	v_add_u32_e32 v12, 0x1e0, v12
	s_waitcnt vmcnt(21)
	v_fmac_f64_e32 v[0:1], v[64:65], v[32:33]
	s_waitcnt vmcnt(20)
	v_fmac_f64_e32 v[8:9], v[24:25], v[32:33]
	;; [unrolled: 2-line block ×15, first 2 shown]
	v_fmac_f64_e32 v[8:9], v[34:35], v[52:53]
	s_andn2_b64 exec, exec, s[2:3]
	s_cbranch_execnz .LBB143_15
; %bb.16:
	s_or_b64 exec, exec, s[2:3]
.LBB143_17:
	s_or_b64 exec, exec, s[4:5]
.LBB143_18:
	v_mov_b32_dpp v10, v0 row_shr:1 row_mask:0xf bank_mask:0xf
	v_mov_b32_dpp v11, v1 row_shr:1 row_mask:0xf bank_mask:0xf
	;; [unrolled: 1-line block ×4, first 2 shown]
	v_add_f64 v[0:1], v[0:1], v[10:11]
	v_add_f64 v[8:9], v[8:9], v[12:13]
	v_cmp_eq_u32_e32 vcc, 15, v7
	v_mov_b32_dpp v10, v0 row_shr:2 row_mask:0xf bank_mask:0xf
	v_mov_b32_dpp v11, v1 row_shr:2 row_mask:0xf bank_mask:0xf
	v_mov_b32_dpp v12, v8 row_shr:2 row_mask:0xf bank_mask:0xf
	v_mov_b32_dpp v13, v9 row_shr:2 row_mask:0xf bank_mask:0xf
	v_add_f64 v[0:1], v[0:1], v[10:11]
	v_add_f64 v[8:9], v[8:9], v[12:13]
	s_nop 0
	v_mov_b32_dpp v10, v0 row_shr:4 row_mask:0xf bank_mask:0xe
	v_mov_b32_dpp v11, v1 row_shr:4 row_mask:0xf bank_mask:0xe
	;; [unrolled: 1-line block ×4, first 2 shown]
	v_add_f64 v[0:1], v[0:1], v[10:11]
	v_add_f64 v[12:13], v[8:9], v[12:13]
	s_nop 0
	v_mov_b32_dpp v10, v0 row_shr:8 row_mask:0xf bank_mask:0xc
	v_mov_b32_dpp v11, v1 row_shr:8 row_mask:0xf bank_mask:0xc
	;; [unrolled: 1-line block ×4, first 2 shown]
	s_and_b64 exec, exec, vcc
	s_cbranch_execz .LBB143_23
; %bb.19:
	s_load_dwordx2 s[0:1], s[0:1], 0x38
	v_add_f64 v[8:9], v[0:1], v[10:11]
	v_add_f64 v[0:1], v[12:13], v[14:15]
	v_cmp_eq_f64_e32 vcc, 0, v[4:5]
	s_and_saveexec_b64 s[2:3], vcc
	s_xor_b64 s[2:3], exec, s[2:3]
	s_cbranch_execz .LBB143_21
; %bb.20:
	v_lshlrev_b32_e32 v6, 1, v6
	v_ashrrev_i32_e32 v7, 31, v6
	v_mul_f64 v[4:5], v[2:3], v[8:9]
	s_waitcnt lgkmcnt(0)
	v_lshl_add_u64 v[8:9], v[6:7], 3, s[0:1]
	v_mul_f64 v[6:7], v[2:3], v[0:1]
	global_store_dwordx4 v[8:9], v[4:7], off
                                        ; implicit-def: $vgpr6
                                        ; implicit-def: $vgpr2_vgpr3
                                        ; implicit-def: $vgpr8_vgpr9
                                        ; implicit-def: $vgpr4_vgpr5
                                        ; implicit-def: $vgpr0_vgpr1
.LBB143_21:
	s_andn2_saveexec_b64 s[2:3], s[2:3]
	s_cbranch_execz .LBB143_23
; %bb.22:
	v_lshlrev_b32_e32 v6, 1, v6
	v_ashrrev_i32_e32 v7, 31, v6
	s_waitcnt lgkmcnt(0)
	v_lshl_add_u64 v[14:15], v[6:7], 3, s[0:1]
	global_load_dwordx4 v[10:13], v[14:15], off
	v_mul_f64 v[6:7], v[2:3], v[8:9]
	v_mul_f64 v[8:9], v[2:3], v[0:1]
	s_waitcnt vmcnt(0)
	v_fmac_f64_e32 v[6:7], v[4:5], v[10:11]
	v_fmac_f64_e32 v[8:9], v[4:5], v[12:13]
	global_store_dwordx4 v[14:15], v[6:9], off
.LBB143_23:
	s_endpgm
	.section	.rodata,"a",@progbits
	.p2align	6, 0x0
	.amdhsa_kernel _ZN9rocsparseL19gebsrmvn_2xn_kernelILj128ELj15ELj16EdEEvi20rocsparse_direction_NS_24const_host_device_scalarIT2_EEPKiS6_PKS3_S8_S4_PS3_21rocsparse_index_base_b
		.amdhsa_group_segment_fixed_size 0
		.amdhsa_private_segment_fixed_size 0
		.amdhsa_kernarg_size 72
		.amdhsa_user_sgpr_count 2
		.amdhsa_user_sgpr_dispatch_ptr 0
		.amdhsa_user_sgpr_queue_ptr 0
		.amdhsa_user_sgpr_kernarg_segment_ptr 1
		.amdhsa_user_sgpr_dispatch_id 0
		.amdhsa_user_sgpr_kernarg_preload_length 0
		.amdhsa_user_sgpr_kernarg_preload_offset 0
		.amdhsa_user_sgpr_private_segment_size 0
		.amdhsa_uses_dynamic_stack 0
		.amdhsa_enable_private_segment 0
		.amdhsa_system_sgpr_workgroup_id_x 1
		.amdhsa_system_sgpr_workgroup_id_y 0
		.amdhsa_system_sgpr_workgroup_id_z 0
		.amdhsa_system_sgpr_workgroup_info 0
		.amdhsa_system_vgpr_workitem_id 0
		.amdhsa_next_free_vgpr 70
		.amdhsa_next_free_sgpr 18
		.amdhsa_accum_offset 72
		.amdhsa_reserve_vcc 1
		.amdhsa_float_round_mode_32 0
		.amdhsa_float_round_mode_16_64 0
		.amdhsa_float_denorm_mode_32 3
		.amdhsa_float_denorm_mode_16_64 3
		.amdhsa_dx10_clamp 1
		.amdhsa_ieee_mode 1
		.amdhsa_fp16_overflow 0
		.amdhsa_tg_split 0
		.amdhsa_exception_fp_ieee_invalid_op 0
		.amdhsa_exception_fp_denorm_src 0
		.amdhsa_exception_fp_ieee_div_zero 0
		.amdhsa_exception_fp_ieee_overflow 0
		.amdhsa_exception_fp_ieee_underflow 0
		.amdhsa_exception_fp_ieee_inexact 0
		.amdhsa_exception_int_div_zero 0
	.end_amdhsa_kernel
	.section	.text._ZN9rocsparseL19gebsrmvn_2xn_kernelILj128ELj15ELj16EdEEvi20rocsparse_direction_NS_24const_host_device_scalarIT2_EEPKiS6_PKS3_S8_S4_PS3_21rocsparse_index_base_b,"axG",@progbits,_ZN9rocsparseL19gebsrmvn_2xn_kernelILj128ELj15ELj16EdEEvi20rocsparse_direction_NS_24const_host_device_scalarIT2_EEPKiS6_PKS3_S8_S4_PS3_21rocsparse_index_base_b,comdat
.Lfunc_end143:
	.size	_ZN9rocsparseL19gebsrmvn_2xn_kernelILj128ELj15ELj16EdEEvi20rocsparse_direction_NS_24const_host_device_scalarIT2_EEPKiS6_PKS3_S8_S4_PS3_21rocsparse_index_base_b, .Lfunc_end143-_ZN9rocsparseL19gebsrmvn_2xn_kernelILj128ELj15ELj16EdEEvi20rocsparse_direction_NS_24const_host_device_scalarIT2_EEPKiS6_PKS3_S8_S4_PS3_21rocsparse_index_base_b
                                        ; -- End function
	.section	.AMDGPU.csdata,"",@progbits
; Kernel info:
; codeLenInByte = 2720
; NumSgprs: 24
; NumVgprs: 70
; NumAgprs: 0
; TotalNumVgprs: 70
; ScratchSize: 0
; MemoryBound: 0
; FloatMode: 240
; IeeeMode: 1
; LDSByteSize: 0 bytes/workgroup (compile time only)
; SGPRBlocks: 2
; VGPRBlocks: 8
; NumSGPRsForWavesPerEU: 24
; NumVGPRsForWavesPerEU: 70
; AccumOffset: 72
; Occupancy: 7
; WaveLimiterHint : 1
; COMPUTE_PGM_RSRC2:SCRATCH_EN: 0
; COMPUTE_PGM_RSRC2:USER_SGPR: 2
; COMPUTE_PGM_RSRC2:TRAP_HANDLER: 0
; COMPUTE_PGM_RSRC2:TGID_X_EN: 1
; COMPUTE_PGM_RSRC2:TGID_Y_EN: 0
; COMPUTE_PGM_RSRC2:TGID_Z_EN: 0
; COMPUTE_PGM_RSRC2:TIDIG_COMP_CNT: 0
; COMPUTE_PGM_RSRC3_GFX90A:ACCUM_OFFSET: 17
; COMPUTE_PGM_RSRC3_GFX90A:TG_SPLIT: 0
	.section	.text._ZN9rocsparseL19gebsrmvn_2xn_kernelILj128ELj15ELj32EdEEvi20rocsparse_direction_NS_24const_host_device_scalarIT2_EEPKiS6_PKS3_S8_S4_PS3_21rocsparse_index_base_b,"axG",@progbits,_ZN9rocsparseL19gebsrmvn_2xn_kernelILj128ELj15ELj32EdEEvi20rocsparse_direction_NS_24const_host_device_scalarIT2_EEPKiS6_PKS3_S8_S4_PS3_21rocsparse_index_base_b,comdat
	.globl	_ZN9rocsparseL19gebsrmvn_2xn_kernelILj128ELj15ELj32EdEEvi20rocsparse_direction_NS_24const_host_device_scalarIT2_EEPKiS6_PKS3_S8_S4_PS3_21rocsparse_index_base_b ; -- Begin function _ZN9rocsparseL19gebsrmvn_2xn_kernelILj128ELj15ELj32EdEEvi20rocsparse_direction_NS_24const_host_device_scalarIT2_EEPKiS6_PKS3_S8_S4_PS3_21rocsparse_index_base_b
	.p2align	8
	.type	_ZN9rocsparseL19gebsrmvn_2xn_kernelILj128ELj15ELj32EdEEvi20rocsparse_direction_NS_24const_host_device_scalarIT2_EEPKiS6_PKS3_S8_S4_PS3_21rocsparse_index_base_b,@function
_ZN9rocsparseL19gebsrmvn_2xn_kernelILj128ELj15ELj32EdEEvi20rocsparse_direction_NS_24const_host_device_scalarIT2_EEPKiS6_PKS3_S8_S4_PS3_21rocsparse_index_base_b: ; @_ZN9rocsparseL19gebsrmvn_2xn_kernelILj128ELj15ELj32EdEEvi20rocsparse_direction_NS_24const_host_device_scalarIT2_EEPKiS6_PKS3_S8_S4_PS3_21rocsparse_index_base_b
; %bb.0:
	s_load_dwordx2 s[12:13], s[0:1], 0x40
	s_load_dwordx2 s[8:9], s[0:1], 0x8
	;; [unrolled: 1-line block ×3, first 2 shown]
	s_waitcnt lgkmcnt(0)
	s_bitcmp1_b32 s13, 0
	s_cselect_b64 s[10:11], -1, 0
	s_xor_b64 s[6:7], s[10:11], -1
	s_and_b64 vcc, exec, s[10:11]
	v_mov_b64_e32 v[2:3], s[8:9]
	s_cbranch_vccnz .LBB144_2
; %bb.1:
	v_mov_b64_e32 v[2:3], s[8:9]
	flat_load_dwordx2 v[2:3], v[2:3]
.LBB144_2:
	s_andn2_b64 vcc, exec, s[6:7]
	v_mov_b64_e32 v[4:5], s[4:5]
	s_cbranch_vccnz .LBB144_4
; %bb.3:
	v_mov_b64_e32 v[4:5], s[4:5]
	flat_load_dwordx2 v[4:5], v[4:5]
.LBB144_4:
	s_waitcnt vmcnt(0) lgkmcnt(0)
	v_cmp_neq_f64_e32 vcc, 0, v[2:3]
	v_cmp_neq_f64_e64 s[4:5], 1.0, v[4:5]
	s_or_b64 s[4:5], vcc, s[4:5]
	s_and_saveexec_b64 s[6:7], s[4:5]
	s_cbranch_execz .LBB144_23
; %bb.5:
	s_load_dwordx2 s[14:15], s[0:1], 0x0
	v_lshrrev_b32_e32 v1, 5, v0
	v_lshl_or_b32 v6, s2, 2, v1
	s_waitcnt lgkmcnt(0)
	v_cmp_gt_i32_e32 vcc, s14, v6
	s_and_b64 exec, exec, vcc
	s_cbranch_execz .LBB144_23
; %bb.6:
	s_load_dwordx8 s[4:11], s[0:1], 0x10
	v_ashrrev_i32_e32 v7, 31, v6
	s_cmp_lg_u32 s15, 0
	s_waitcnt lgkmcnt(0)
	v_lshl_add_u64 v[8:9], v[6:7], 2, s[4:5]
	global_load_dwordx2 v[8:9], v[8:9], off
	v_and_b32_e32 v7, 31, v0
	s_waitcnt vmcnt(0)
	v_subrev_u32_e32 v0, s12, v8
	v_subrev_u32_e32 v20, s12, v9
	v_add_u32_e32 v10, v0, v7
	v_cmp_lt_i32_e64 s[2:3], v10, v20
	s_cbranch_scc0 .LBB144_12
; %bb.7:
	v_mov_b64_e32 v[8:9], 0
	s_mov_b64 s[4:5], 0
	v_mov_b64_e32 v[0:1], v[8:9]
	s_and_saveexec_b64 s[14:15], s[2:3]
	s_cbranch_execz .LBB144_11
; %bb.8:
	v_mad_u64_u32 v[12:13], s[16:17], v10, 30, 28
	v_mov_b64_e32 v[8:9], 0
	s_mov_b64 s[16:17], 0
	v_mov_b32_e32 v15, 0
	v_mov_b32_e32 v16, v10
	v_mov_b64_e32 v[0:1], v[8:9]
.LBB144_9:                              ; =>This Inner Loop Header: Depth=1
	v_ashrrev_i32_e32 v17, 31, v16
	v_subrev_u32_e32 v14, 28, v12
	v_lshl_add_u64 v[26:27], v[16:17], 2, s[6:7]
	v_lshl_add_u64 v[28:29], v[14:15], 3, s[8:9]
	global_load_dword v11, v[26:27], off
	global_load_dwordx4 v[22:25], v[28:29], off
	v_mov_b32_e32 v13, v15
	v_mov_b32_e32 v19, v15
	v_subrev_u32_e32 v14, 26, v12
	v_lshl_add_u64 v[34:35], v[12:13], 3, s[8:9]
	v_lshl_add_u64 v[36:37], v[14:15], 3, s[8:9]
	global_load_dwordx4 v[26:29], v[34:35], off
	global_load_dwordx4 v[30:33], v[36:37], off
	v_add_u32_e32 v16, 32, v16
	v_cmp_ge_i32_e32 vcc, v16, v20
	s_or_b64 s[16:17], vcc, s[16:17]
	s_waitcnt vmcnt(3)
	v_subrev_u32_e32 v11, s12, v11
	v_mul_lo_u32 v18, v11, 15
	v_lshl_add_u64 v[34:35], v[18:19], 3, s[10:11]
	v_add_u32_e32 v14, 1, v18
	global_load_dwordx2 v[50:51], v[34:35], off
	v_lshl_add_u64 v[34:35], v[14:15], 3, s[10:11]
	global_load_dwordx2 v[52:53], v[34:35], off
	v_subrev_u32_e32 v14, 24, v12
	v_lshl_add_u64 v[34:35], v[14:15], 3, s[8:9]
	v_add_u32_e32 v14, 2, v18
	v_lshl_add_u64 v[38:39], v[14:15], 3, s[10:11]
	v_subrev_u32_e32 v14, 22, v12
	global_load_dwordx4 v[34:37], v[34:35], off
	s_waitcnt vmcnt(2)
	v_fmac_f64_e32 v[8:9], v[22:23], v[50:51]
	global_load_dwordx2 v[54:55], v[38:39], off
	v_lshl_add_u64 v[38:39], v[14:15], 3, s[8:9]
	v_add_u32_e32 v14, 3, v18
	v_lshl_add_u64 v[42:43], v[14:15], 3, s[10:11]
	v_subrev_u32_e32 v14, 20, v12
	global_load_dwordx4 v[38:41], v[38:39], off
	v_fmac_f64_e32 v[0:1], v[24:25], v[50:51]
	global_load_dwordx2 v[56:57], v[42:43], off
	v_lshl_add_u64 v[42:43], v[14:15], 3, s[8:9]
	v_add_u32_e32 v14, 4, v18
	v_lshl_add_u64 v[46:47], v[14:15], 3, s[10:11]
	v_subrev_u32_e32 v14, 18, v12
	global_load_dwordx4 v[42:45], v[42:43], off
	s_waitcnt vmcnt(5)
	v_fmac_f64_e32 v[8:9], v[30:31], v[52:53]
	global_load_dwordx2 v[58:59], v[46:47], off
	v_lshl_add_u64 v[46:47], v[14:15], 3, s[8:9]
	v_add_u32_e32 v14, 5, v18
	v_lshl_add_u64 v[60:61], v[14:15], 3, s[10:11]
	v_add_u32_e32 v14, -16, v12
	global_load_dwordx4 v[46:49], v[46:47], off
	v_lshl_add_u64 v[22:23], v[14:15], 3, s[8:9]
	global_load_dwordx2 v[60:61], v[60:61], off
	v_add_u32_e32 v14, 6, v18
	v_lshl_add_u64 v[50:51], v[14:15], 3, s[10:11]
	v_add_u32_e32 v14, -14, v12
	global_load_dwordx4 v[22:25], v[22:23], off
	v_lshl_add_u64 v[30:31], v[14:15], 3, s[8:9]
	global_load_dwordx2 v[50:51], v[50:51], off
	v_add_u32_e32 v14, 7, v18
	v_fmac_f64_e32 v[0:1], v[32:33], v[52:53]
	v_lshl_add_u64 v[52:53], v[14:15], 3, s[10:11]
	global_load_dwordx2 v[52:53], v[52:53], off
	v_add_u32_e32 v14, -12, v12
	global_load_dwordx4 v[30:33], v[30:31], off
	s_waitcnt vmcnt(10)
	v_fmac_f64_e32 v[8:9], v[34:35], v[54:55]
	v_lshl_add_u64 v[34:35], v[14:15], 3, s[8:9]
	v_add_u32_e32 v14, 8, v18
	v_fmac_f64_e32 v[0:1], v[36:37], v[54:55]
	v_lshl_add_u64 v[54:55], v[14:15], 3, s[10:11]
	global_load_dwordx2 v[54:55], v[54:55], off
	v_add_u32_e32 v14, -10, v12
	global_load_dwordx4 v[34:37], v[34:35], off
	s_waitcnt vmcnt(10)
	v_fmac_f64_e32 v[8:9], v[38:39], v[56:57]
	v_lshl_add_u64 v[38:39], v[14:15], 3, s[8:9]
	v_add_u32_e32 v14, 9, v18
	v_fmac_f64_e32 v[0:1], v[40:41], v[56:57]
	v_lshl_add_u64 v[56:57], v[14:15], 3, s[10:11]
	v_add_u32_e32 v14, -8, v12
	global_load_dwordx4 v[38:41], v[38:39], off
	s_waitcnt vmcnt(9)
	v_fmac_f64_e32 v[8:9], v[42:43], v[58:59]
	v_lshl_add_u64 v[42:43], v[14:15], 3, s[8:9]
	v_add_u32_e32 v14, 10, v18
	v_fmac_f64_e32 v[0:1], v[44:45], v[58:59]
	v_lshl_add_u64 v[58:59], v[14:15], 3, s[10:11]
	;; [unrolled: 8-line block ×3, first 2 shown]
	v_add_u32_e32 v14, -4, v12
	global_load_dwordx2 v[56:57], v[56:57], off
	s_waitcnt vmcnt(7)
	v_fmac_f64_e32 v[8:9], v[22:23], v[50:51]
	global_load_dwordx2 v[60:61], v[60:61], off
	v_lshl_add_u64 v[22:23], v[14:15], 3, s[8:9]
	v_add_u32_e32 v14, 12, v18
	global_load_dwordx2 v[58:59], v[58:59], off
	v_fmac_f64_e32 v[0:1], v[24:25], v[50:51]
	v_lshl_add_u64 v[50:51], v[14:15], 3, s[10:11]
	v_add_u32_e32 v14, -2, v12
	global_load_dwordx4 v[46:49], v[46:47], off
	s_waitcnt vmcnt(8)
	v_fmac_f64_e32 v[8:9], v[30:31], v[52:53]
	v_lshl_add_u64 v[30:31], v[14:15], 3, s[8:9]
	v_add_u32_e32 v14, 13, v18
	global_load_dwordx4 v[22:25], v[22:23], off
	v_fmac_f64_e32 v[0:1], v[32:33], v[52:53]
	global_load_dwordx4 v[30:33], v[30:31], off
	v_lshl_add_u64 v[52:53], v[14:15], 3, s[10:11]
	global_load_dwordx2 v[50:51], v[50:51], off
	v_add_u32_e32 v14, 14, v18
	global_load_dwordx2 v[18:19], v[52:53], off
	v_lshl_add_u64 v[52:53], v[14:15], 3, s[10:11]
	global_load_dwordx2 v[52:53], v[52:53], off
	v_add_u32_e32 v12, 0x3c0, v12
	s_waitcnt vmcnt(11)
	v_fmac_f64_e32 v[8:9], v[34:35], v[54:55]
	v_fmac_f64_e32 v[0:1], v[36:37], v[54:55]
	s_waitcnt vmcnt(8)
	v_fmac_f64_e32 v[8:9], v[38:39], v[56:57]
	v_fmac_f64_e32 v[0:1], v[40:41], v[56:57]
	s_waitcnt vmcnt(6)
	v_fmac_f64_e32 v[8:9], v[42:43], v[58:59]
	v_fmac_f64_e32 v[0:1], v[44:45], v[58:59]
	s_waitcnt vmcnt(5)
	v_fmac_f64_e32 v[8:9], v[46:47], v[60:61]
	v_fmac_f64_e32 v[0:1], v[48:49], v[60:61]
	s_waitcnt vmcnt(2)
	v_fmac_f64_e32 v[8:9], v[22:23], v[50:51]
	v_fmac_f64_e32 v[0:1], v[24:25], v[50:51]
	s_waitcnt vmcnt(1)
	v_fmac_f64_e32 v[8:9], v[30:31], v[18:19]
	v_fmac_f64_e32 v[0:1], v[32:33], v[18:19]
	s_waitcnt vmcnt(0)
	v_fmac_f64_e32 v[8:9], v[26:27], v[52:53]
	v_fmac_f64_e32 v[0:1], v[28:29], v[52:53]
	s_andn2_b64 exec, exec, s[16:17]
	s_cbranch_execnz .LBB144_9
; %bb.10:
	s_or_b64 exec, exec, s[16:17]
.LBB144_11:
	s_or_b64 exec, exec, s[14:15]
	s_andn2_b64 vcc, exec, s[4:5]
	s_cbranch_vccz .LBB144_13
	s_branch .LBB144_18
.LBB144_12:
                                        ; implicit-def: $vgpr8_vgpr9
                                        ; implicit-def: $vgpr0_vgpr1
.LBB144_13:
	v_mov_b64_e32 v[8:9], 0
	v_mov_b64_e32 v[0:1], v[8:9]
	s_and_saveexec_b64 s[4:5], s[2:3]
	s_cbranch_execz .LBB144_17
; %bb.14:
	v_mad_u64_u32 v[12:13], s[2:3], v10, 30, 29
	v_mov_b64_e32 v[8:9], 0
	s_mov_b64 s[2:3], 0
	v_mov_b32_e32 v15, 0
	v_mov_b64_e32 v[0:1], v[8:9]
.LBB144_15:                             ; =>This Inner Loop Header: Depth=1
	v_ashrrev_i32_e32 v11, 31, v10
	v_subrev_u32_e32 v14, 29, v12
	v_add_u32_e32 v18, -14, v12
	v_mov_b32_e32 v19, v15
	v_mov_b32_e32 v13, v15
	v_lshl_add_u64 v[26:27], v[10:11], 2, s[6:7]
	v_lshl_add_u64 v[28:29], v[14:15], 3, s[8:9]
	;; [unrolled: 1-line block ×4, first 2 shown]
	global_load_dword v11, v[26:27], off
	global_load_dwordx4 v[22:25], v[28:29], off
	global_load_dwordx2 v[32:33], v[18:19], off
	global_load_dwordx2 v[34:35], v[30:31], off
	v_mov_b32_e32 v17, v15
	v_add_u32_e32 v10, 32, v10
	v_cmp_ge_i32_e32 vcc, v10, v20
	s_or_b64 s[2:3], vcc, s[2:3]
	s_waitcnt vmcnt(3)
	v_subrev_u32_e32 v11, s12, v11
	v_mul_lo_u32 v16, v11, 15
	v_lshl_add_u64 v[18:19], v[16:17], 3, s[10:11]
	global_load_dwordx2 v[18:19], v[18:19], off
	v_add_u32_e32 v14, 1, v16
	v_lshl_add_u64 v[26:27], v[14:15], 3, s[10:11]
	global_load_dwordx2 v[26:27], v[26:27], off
	v_add_u32_e32 v14, -13, v12
	v_lshl_add_u64 v[28:29], v[14:15], 3, s[8:9]
	v_subrev_u32_e32 v14, 27, v12
	global_load_dwordx2 v[28:29], v[28:29], off
	v_lshl_add_u64 v[30:31], v[14:15], 3, s[8:9]
	global_load_dwordx2 v[30:31], v[30:31], off
	v_add_u32_e32 v14, 2, v16
	v_lshl_add_u64 v[36:37], v[14:15], 3, s[10:11]
	v_add_u32_e32 v14, -12, v12
	global_load_dwordx2 v[36:37], v[36:37], off
	v_lshl_add_u64 v[38:39], v[14:15], 3, s[8:9]
	v_subrev_u32_e32 v14, 26, v12
	global_load_dwordx2 v[38:39], v[38:39], off
	v_lshl_add_u64 v[40:41], v[14:15], 3, s[8:9]
	global_load_dwordx2 v[40:41], v[40:41], off
	v_add_u32_e32 v14, 3, v16
	v_lshl_add_u64 v[42:43], v[14:15], 3, s[10:11]
	v_add_u32_e32 v14, -11, v12
	global_load_dwordx2 v[42:43], v[42:43], off
	;; [unrolled: 9-line block ×5, first 2 shown]
	v_lshl_add_u64 v[62:63], v[14:15], 3, s[8:9]
	global_load_dwordx2 v[62:63], v[62:63], off
	v_subrev_u32_e32 v14, 22, v12
	v_lshl_add_u64 v[64:65], v[14:15], 3, s[8:9]
	global_load_dwordx2 v[64:65], v[64:65], off
	v_add_u32_e32 v14, 7, v16
	s_waitcnt vmcnt(18)
	v_fmac_f64_e32 v[0:1], v[32:33], v[18:19]
	v_lshl_add_u64 v[32:33], v[14:15], 3, s[10:11]
	v_add_u32_e32 v14, -7, v12
	v_fmac_f64_e32 v[8:9], v[22:23], v[18:19]
	v_lshl_add_u64 v[18:19], v[14:15], 3, s[8:9]
	v_subrev_u32_e32 v14, 21, v12
	v_lshl_add_u64 v[22:23], v[14:15], 3, s[8:9]
	v_add_u32_e32 v14, 8, v16
	global_load_dwordx2 v[32:33], v[32:33], off
	s_waitcnt vmcnt(18)
	v_fmac_f64_e32 v[8:9], v[24:25], v[26:27]
	global_load_dwordx2 v[24:25], v[18:19], off
	global_load_dwordx2 v[66:67], v[22:23], off
	v_lshl_add_u64 v[18:19], v[14:15], 3, s[10:11]
	v_add_u32_e32 v14, -6, v12
	v_lshl_add_u64 v[22:23], v[14:15], 3, s[8:9]
	v_subrev_u32_e32 v14, 20, v12
	s_waitcnt vmcnt(19)
	v_fmac_f64_e32 v[0:1], v[28:29], v[26:27]
	v_lshl_add_u64 v[26:27], v[14:15], 3, s[8:9]
	v_add_u32_e32 v14, 9, v16
	global_load_dwordx2 v[18:19], v[18:19], off
	s_nop 0
	global_load_dwordx2 v[28:29], v[22:23], off
	global_load_dwordx2 v[68:69], v[26:27], off
	v_lshl_add_u64 v[22:23], v[14:15], 3, s[10:11]
	v_add_u32_e32 v14, -5, v12
	v_lshl_add_u64 v[26:27], v[14:15], 3, s[8:9]
	v_subrev_u32_e32 v14, 19, v12
	s_waitcnt vmcnt(20)
	v_fmac_f64_e32 v[8:9], v[30:31], v[36:37]
	v_lshl_add_u64 v[30:31], v[14:15], 3, s[8:9]
	v_add_u32_e32 v14, 10, v16
	global_load_dwordx2 v[22:23], v[22:23], off
	s_waitcnt vmcnt(20)
	v_fmac_f64_e32 v[0:1], v[38:39], v[36:37]
	global_load_dwordx2 v[36:37], v[26:27], off
	global_load_dwordx2 v[38:39], v[30:31], off
	v_lshl_add_u64 v[26:27], v[14:15], 3, s[10:11]
	v_add_u32_e32 v14, -4, v12
	v_lshl_add_u64 v[30:31], v[14:15], 3, s[8:9]
	v_subrev_u32_e32 v14, 18, v12
	s_waitcnt vmcnt(20)
	v_fmac_f64_e32 v[8:9], v[40:41], v[42:43]
	v_lshl_add_u64 v[40:41], v[14:15], 3, s[8:9]
	v_add_u32_e32 v14, 11, v16
	global_load_dwordx2 v[26:27], v[26:27], off
	s_waitcnt vmcnt(20)
	v_fmac_f64_e32 v[0:1], v[44:45], v[42:43]
	global_load_dwordx2 v[42:43], v[30:31], off
	global_load_dwordx2 v[44:45], v[40:41], off
	v_lshl_add_u64 v[30:31], v[14:15], 3, s[10:11]
	v_add_u32_e32 v14, -3, v12
	v_lshl_add_u64 v[40:41], v[14:15], 3, s[8:9]
	v_subrev_u32_e32 v14, 17, v12
	s_waitcnt vmcnt(20)
	v_fmac_f64_e32 v[8:9], v[46:47], v[48:49]
	v_lshl_add_u64 v[46:47], v[14:15], 3, s[8:9]
	v_add_u32_e32 v14, 12, v16
	global_load_dwordx2 v[30:31], v[30:31], off
	s_waitcnt vmcnt(20)
	v_fmac_f64_e32 v[0:1], v[50:51], v[48:49]
	global_load_dwordx2 v[48:49], v[40:41], off
	global_load_dwordx2 v[50:51], v[46:47], off
	v_lshl_add_u64 v[40:41], v[14:15], 3, s[10:11]
	v_add_u32_e32 v14, -2, v12
	v_lshl_add_u64 v[46:47], v[14:15], 3, s[8:9]
	v_add_u32_e32 v14, -16, v12
	s_waitcnt vmcnt(20)
	v_fmac_f64_e32 v[8:9], v[52:53], v[54:55]
	v_lshl_add_u64 v[52:53], v[14:15], 3, s[8:9]
	v_add_u32_e32 v14, 13, v16
	global_load_dwordx2 v[40:41], v[40:41], off
	s_waitcnt vmcnt(20)
	v_fmac_f64_e32 v[0:1], v[56:57], v[54:55]
	global_load_dwordx2 v[54:55], v[46:47], off
	global_load_dwordx2 v[56:57], v[52:53], off
	v_lshl_add_u64 v[46:47], v[14:15], 3, s[10:11]
	v_add_u32_e32 v14, -1, v12
	v_lshl_add_u64 v[52:53], v[14:15], 3, s[8:9]
	v_add_u32_e32 v14, -15, v12
	s_waitcnt vmcnt(20)
	v_fmac_f64_e32 v[8:9], v[58:59], v[60:61]
	v_lshl_add_u64 v[58:59], v[14:15], 3, s[8:9]
	v_add_u32_e32 v14, 14, v16
	global_load_dwordx2 v[46:47], v[46:47], off
	s_waitcnt vmcnt(20)
	v_fmac_f64_e32 v[0:1], v[62:63], v[60:61]
	global_load_dwordx2 v[16:17], v[52:53], off
	global_load_dwordx2 v[60:61], v[58:59], off
	v_lshl_add_u64 v[52:53], v[14:15], 3, s[10:11]
	global_load_dwordx2 v[52:53], v[52:53], off
	v_add_u32_e32 v12, 0x3c0, v12
	s_waitcnt vmcnt(21)
	v_fmac_f64_e32 v[8:9], v[64:65], v[32:33]
	s_waitcnt vmcnt(20)
	v_fmac_f64_e32 v[0:1], v[24:25], v[32:33]
	;; [unrolled: 2-line block ×15, first 2 shown]
	v_fmac_f64_e32 v[0:1], v[34:35], v[52:53]
	s_andn2_b64 exec, exec, s[2:3]
	s_cbranch_execnz .LBB144_15
; %bb.16:
	s_or_b64 exec, exec, s[2:3]
.LBB144_17:
	s_or_b64 exec, exec, s[4:5]
.LBB144_18:
	v_mov_b32_dpp v10, v8 row_shr:1 row_mask:0xf bank_mask:0xf
	v_mov_b32_dpp v11, v9 row_shr:1 row_mask:0xf bank_mask:0xf
	;; [unrolled: 1-line block ×4, first 2 shown]
	v_add_f64 v[8:9], v[8:9], v[10:11]
	v_add_f64 v[0:1], v[0:1], v[12:13]
	v_cmp_eq_u32_e32 vcc, 31, v7
	v_mov_b32_dpp v10, v8 row_shr:2 row_mask:0xf bank_mask:0xf
	v_mov_b32_dpp v11, v9 row_shr:2 row_mask:0xf bank_mask:0xf
	v_mov_b32_dpp v12, v0 row_shr:2 row_mask:0xf bank_mask:0xf
	v_mov_b32_dpp v13, v1 row_shr:2 row_mask:0xf bank_mask:0xf
	v_add_f64 v[8:9], v[8:9], v[10:11]
	v_add_f64 v[0:1], v[0:1], v[12:13]
	s_nop 0
	v_mov_b32_dpp v10, v8 row_shr:4 row_mask:0xf bank_mask:0xe
	v_mov_b32_dpp v11, v9 row_shr:4 row_mask:0xf bank_mask:0xe
	v_mov_b32_dpp v12, v0 row_shr:4 row_mask:0xf bank_mask:0xe
	v_mov_b32_dpp v13, v1 row_shr:4 row_mask:0xf bank_mask:0xe
	v_add_f64 v[8:9], v[8:9], v[10:11]
	v_add_f64 v[0:1], v[0:1], v[12:13]
	s_nop 0
	;; [unrolled: 7-line block ×3, first 2 shown]
	v_mov_b32_dpp v10, v8 row_bcast:15 row_mask:0xa bank_mask:0xf
	v_mov_b32_dpp v11, v9 row_bcast:15 row_mask:0xa bank_mask:0xf
	;; [unrolled: 1-line block ×4, first 2 shown]
	s_and_b64 exec, exec, vcc
	s_cbranch_execz .LBB144_23
; %bb.19:
	s_load_dwordx2 s[0:1], s[0:1], 0x38
	v_add_f64 v[8:9], v[8:9], v[10:11]
	v_add_f64 v[0:1], v[0:1], v[12:13]
	v_cmp_eq_f64_e32 vcc, 0, v[4:5]
	s_and_saveexec_b64 s[2:3], vcc
	s_xor_b64 s[2:3], exec, s[2:3]
	s_cbranch_execz .LBB144_21
; %bb.20:
	v_lshlrev_b32_e32 v6, 1, v6
	v_ashrrev_i32_e32 v7, 31, v6
	v_mul_f64 v[4:5], v[2:3], v[8:9]
	s_waitcnt lgkmcnt(0)
	v_lshl_add_u64 v[8:9], v[6:7], 3, s[0:1]
	v_mul_f64 v[6:7], v[2:3], v[0:1]
	global_store_dwordx4 v[8:9], v[4:7], off
                                        ; implicit-def: $vgpr6
                                        ; implicit-def: $vgpr2_vgpr3
                                        ; implicit-def: $vgpr8_vgpr9
                                        ; implicit-def: $vgpr4_vgpr5
                                        ; implicit-def: $vgpr0_vgpr1
.LBB144_21:
	s_andn2_saveexec_b64 s[2:3], s[2:3]
	s_cbranch_execz .LBB144_23
; %bb.22:
	v_lshlrev_b32_e32 v6, 1, v6
	v_ashrrev_i32_e32 v7, 31, v6
	s_waitcnt lgkmcnt(0)
	v_lshl_add_u64 v[14:15], v[6:7], 3, s[0:1]
	global_load_dwordx4 v[10:13], v[14:15], off
	v_mul_f64 v[6:7], v[2:3], v[8:9]
	v_mul_f64 v[8:9], v[2:3], v[0:1]
	s_waitcnt vmcnt(0)
	v_fmac_f64_e32 v[6:7], v[4:5], v[10:11]
	v_fmac_f64_e32 v[8:9], v[4:5], v[12:13]
	global_store_dwordx4 v[14:15], v[6:9], off
.LBB144_23:
	s_endpgm
	.section	.rodata,"a",@progbits
	.p2align	6, 0x0
	.amdhsa_kernel _ZN9rocsparseL19gebsrmvn_2xn_kernelILj128ELj15ELj32EdEEvi20rocsparse_direction_NS_24const_host_device_scalarIT2_EEPKiS6_PKS3_S8_S4_PS3_21rocsparse_index_base_b
		.amdhsa_group_segment_fixed_size 0
		.amdhsa_private_segment_fixed_size 0
		.amdhsa_kernarg_size 72
		.amdhsa_user_sgpr_count 2
		.amdhsa_user_sgpr_dispatch_ptr 0
		.amdhsa_user_sgpr_queue_ptr 0
		.amdhsa_user_sgpr_kernarg_segment_ptr 1
		.amdhsa_user_sgpr_dispatch_id 0
		.amdhsa_user_sgpr_kernarg_preload_length 0
		.amdhsa_user_sgpr_kernarg_preload_offset 0
		.amdhsa_user_sgpr_private_segment_size 0
		.amdhsa_uses_dynamic_stack 0
		.amdhsa_enable_private_segment 0
		.amdhsa_system_sgpr_workgroup_id_x 1
		.amdhsa_system_sgpr_workgroup_id_y 0
		.amdhsa_system_sgpr_workgroup_id_z 0
		.amdhsa_system_sgpr_workgroup_info 0
		.amdhsa_system_vgpr_workitem_id 0
		.amdhsa_next_free_vgpr 70
		.amdhsa_next_free_sgpr 18
		.amdhsa_accum_offset 72
		.amdhsa_reserve_vcc 1
		.amdhsa_float_round_mode_32 0
		.amdhsa_float_round_mode_16_64 0
		.amdhsa_float_denorm_mode_32 3
		.amdhsa_float_denorm_mode_16_64 3
		.amdhsa_dx10_clamp 1
		.amdhsa_ieee_mode 1
		.amdhsa_fp16_overflow 0
		.amdhsa_tg_split 0
		.amdhsa_exception_fp_ieee_invalid_op 0
		.amdhsa_exception_fp_denorm_src 0
		.amdhsa_exception_fp_ieee_div_zero 0
		.amdhsa_exception_fp_ieee_overflow 0
		.amdhsa_exception_fp_ieee_underflow 0
		.amdhsa_exception_fp_ieee_inexact 0
		.amdhsa_exception_int_div_zero 0
	.end_amdhsa_kernel
	.section	.text._ZN9rocsparseL19gebsrmvn_2xn_kernelILj128ELj15ELj32EdEEvi20rocsparse_direction_NS_24const_host_device_scalarIT2_EEPKiS6_PKS3_S8_S4_PS3_21rocsparse_index_base_b,"axG",@progbits,_ZN9rocsparseL19gebsrmvn_2xn_kernelILj128ELj15ELj32EdEEvi20rocsparse_direction_NS_24const_host_device_scalarIT2_EEPKiS6_PKS3_S8_S4_PS3_21rocsparse_index_base_b,comdat
.Lfunc_end144:
	.size	_ZN9rocsparseL19gebsrmvn_2xn_kernelILj128ELj15ELj32EdEEvi20rocsparse_direction_NS_24const_host_device_scalarIT2_EEPKiS6_PKS3_S8_S4_PS3_21rocsparse_index_base_b, .Lfunc_end144-_ZN9rocsparseL19gebsrmvn_2xn_kernelILj128ELj15ELj32EdEEvi20rocsparse_direction_NS_24const_host_device_scalarIT2_EEPKiS6_PKS3_S8_S4_PS3_21rocsparse_index_base_b
                                        ; -- End function
	.section	.AMDGPU.csdata,"",@progbits
; Kernel info:
; codeLenInByte = 2772
; NumSgprs: 24
; NumVgprs: 70
; NumAgprs: 0
; TotalNumVgprs: 70
; ScratchSize: 0
; MemoryBound: 0
; FloatMode: 240
; IeeeMode: 1
; LDSByteSize: 0 bytes/workgroup (compile time only)
; SGPRBlocks: 2
; VGPRBlocks: 8
; NumSGPRsForWavesPerEU: 24
; NumVGPRsForWavesPerEU: 70
; AccumOffset: 72
; Occupancy: 7
; WaveLimiterHint : 1
; COMPUTE_PGM_RSRC2:SCRATCH_EN: 0
; COMPUTE_PGM_RSRC2:USER_SGPR: 2
; COMPUTE_PGM_RSRC2:TRAP_HANDLER: 0
; COMPUTE_PGM_RSRC2:TGID_X_EN: 1
; COMPUTE_PGM_RSRC2:TGID_Y_EN: 0
; COMPUTE_PGM_RSRC2:TGID_Z_EN: 0
; COMPUTE_PGM_RSRC2:TIDIG_COMP_CNT: 0
; COMPUTE_PGM_RSRC3_GFX90A:ACCUM_OFFSET: 17
; COMPUTE_PGM_RSRC3_GFX90A:TG_SPLIT: 0
	.section	.text._ZN9rocsparseL19gebsrmvn_2xn_kernelILj128ELj15ELj64EdEEvi20rocsparse_direction_NS_24const_host_device_scalarIT2_EEPKiS6_PKS3_S8_S4_PS3_21rocsparse_index_base_b,"axG",@progbits,_ZN9rocsparseL19gebsrmvn_2xn_kernelILj128ELj15ELj64EdEEvi20rocsparse_direction_NS_24const_host_device_scalarIT2_EEPKiS6_PKS3_S8_S4_PS3_21rocsparse_index_base_b,comdat
	.globl	_ZN9rocsparseL19gebsrmvn_2xn_kernelILj128ELj15ELj64EdEEvi20rocsparse_direction_NS_24const_host_device_scalarIT2_EEPKiS6_PKS3_S8_S4_PS3_21rocsparse_index_base_b ; -- Begin function _ZN9rocsparseL19gebsrmvn_2xn_kernelILj128ELj15ELj64EdEEvi20rocsparse_direction_NS_24const_host_device_scalarIT2_EEPKiS6_PKS3_S8_S4_PS3_21rocsparse_index_base_b
	.p2align	8
	.type	_ZN9rocsparseL19gebsrmvn_2xn_kernelILj128ELj15ELj64EdEEvi20rocsparse_direction_NS_24const_host_device_scalarIT2_EEPKiS6_PKS3_S8_S4_PS3_21rocsparse_index_base_b,@function
_ZN9rocsparseL19gebsrmvn_2xn_kernelILj128ELj15ELj64EdEEvi20rocsparse_direction_NS_24const_host_device_scalarIT2_EEPKiS6_PKS3_S8_S4_PS3_21rocsparse_index_base_b: ; @_ZN9rocsparseL19gebsrmvn_2xn_kernelILj128ELj15ELj64EdEEvi20rocsparse_direction_NS_24const_host_device_scalarIT2_EEPKiS6_PKS3_S8_S4_PS3_21rocsparse_index_base_b
; %bb.0:
	s_load_dwordx2 s[12:13], s[0:1], 0x40
	s_load_dwordx2 s[8:9], s[0:1], 0x8
	;; [unrolled: 1-line block ×3, first 2 shown]
	s_waitcnt lgkmcnt(0)
	s_bitcmp1_b32 s13, 0
	s_cselect_b64 s[10:11], -1, 0
	s_xor_b64 s[6:7], s[10:11], -1
	s_and_b64 vcc, exec, s[10:11]
	v_mov_b64_e32 v[2:3], s[8:9]
	s_cbranch_vccnz .LBB145_2
; %bb.1:
	v_mov_b64_e32 v[2:3], s[8:9]
	flat_load_dwordx2 v[2:3], v[2:3]
.LBB145_2:
	s_andn2_b64 vcc, exec, s[6:7]
	v_mov_b64_e32 v[4:5], s[4:5]
	s_cbranch_vccnz .LBB145_4
; %bb.3:
	v_mov_b64_e32 v[4:5], s[4:5]
	flat_load_dwordx2 v[4:5], v[4:5]
.LBB145_4:
	s_waitcnt vmcnt(0) lgkmcnt(0)
	v_cmp_neq_f64_e32 vcc, 0, v[2:3]
	v_cmp_neq_f64_e64 s[4:5], 1.0, v[4:5]
	s_or_b64 s[4:5], vcc, s[4:5]
	s_and_saveexec_b64 s[6:7], s[4:5]
	s_cbranch_execz .LBB145_23
; %bb.5:
	s_load_dwordx2 s[14:15], s[0:1], 0x0
	v_lshrrev_b32_e32 v1, 6, v0
	v_lshl_or_b32 v6, s2, 1, v1
	s_waitcnt lgkmcnt(0)
	v_cmp_gt_i32_e32 vcc, s14, v6
	s_and_b64 exec, exec, vcc
	s_cbranch_execz .LBB145_23
; %bb.6:
	s_load_dwordx8 s[4:11], s[0:1], 0x10
	v_ashrrev_i32_e32 v7, 31, v6
	s_cmp_lg_u32 s15, 0
	s_waitcnt lgkmcnt(0)
	v_lshl_add_u64 v[8:9], v[6:7], 2, s[4:5]
	global_load_dwordx2 v[8:9], v[8:9], off
	v_and_b32_e32 v7, 63, v0
	s_waitcnt vmcnt(0)
	v_subrev_u32_e32 v0, s12, v8
	v_subrev_u32_e32 v20, s12, v9
	v_add_u32_e32 v10, v0, v7
	v_cmp_lt_i32_e64 s[2:3], v10, v20
	s_cbranch_scc0 .LBB145_12
; %bb.7:
	v_mov_b64_e32 v[8:9], 0
	s_mov_b64 s[4:5], 0
	v_mov_b64_e32 v[0:1], v[8:9]
	s_and_saveexec_b64 s[14:15], s[2:3]
	s_cbranch_execz .LBB145_11
; %bb.8:
	v_mad_u64_u32 v[12:13], s[16:17], v10, 30, 28
	v_mov_b64_e32 v[8:9], 0
	s_mov_b64 s[16:17], 0
	v_mov_b32_e32 v15, 0
	v_mov_b32_e32 v16, v10
	v_mov_b64_e32 v[0:1], v[8:9]
.LBB145_9:                              ; =>This Inner Loop Header: Depth=1
	v_ashrrev_i32_e32 v17, 31, v16
	v_subrev_u32_e32 v14, 28, v12
	v_lshl_add_u64 v[26:27], v[16:17], 2, s[6:7]
	v_lshl_add_u64 v[28:29], v[14:15], 3, s[8:9]
	global_load_dword v11, v[26:27], off
	global_load_dwordx4 v[22:25], v[28:29], off
	v_mov_b32_e32 v13, v15
	v_mov_b32_e32 v19, v15
	v_subrev_u32_e32 v14, 26, v12
	v_lshl_add_u64 v[34:35], v[12:13], 3, s[8:9]
	v_lshl_add_u64 v[36:37], v[14:15], 3, s[8:9]
	global_load_dwordx4 v[26:29], v[34:35], off
	global_load_dwordx4 v[30:33], v[36:37], off
	v_add_u32_e32 v16, 64, v16
	v_cmp_ge_i32_e32 vcc, v16, v20
	s_or_b64 s[16:17], vcc, s[16:17]
	s_waitcnt vmcnt(3)
	v_subrev_u32_e32 v11, s12, v11
	v_mul_lo_u32 v18, v11, 15
	v_lshl_add_u64 v[34:35], v[18:19], 3, s[10:11]
	v_add_u32_e32 v14, 1, v18
	global_load_dwordx2 v[50:51], v[34:35], off
	v_lshl_add_u64 v[34:35], v[14:15], 3, s[10:11]
	global_load_dwordx2 v[52:53], v[34:35], off
	v_subrev_u32_e32 v14, 24, v12
	v_lshl_add_u64 v[34:35], v[14:15], 3, s[8:9]
	v_add_u32_e32 v14, 2, v18
	v_lshl_add_u64 v[38:39], v[14:15], 3, s[10:11]
	v_subrev_u32_e32 v14, 22, v12
	global_load_dwordx4 v[34:37], v[34:35], off
	s_waitcnt vmcnt(2)
	v_fmac_f64_e32 v[8:9], v[22:23], v[50:51]
	global_load_dwordx2 v[54:55], v[38:39], off
	v_lshl_add_u64 v[38:39], v[14:15], 3, s[8:9]
	v_add_u32_e32 v14, 3, v18
	v_lshl_add_u64 v[42:43], v[14:15], 3, s[10:11]
	v_subrev_u32_e32 v14, 20, v12
	global_load_dwordx4 v[38:41], v[38:39], off
	v_fmac_f64_e32 v[0:1], v[24:25], v[50:51]
	global_load_dwordx2 v[56:57], v[42:43], off
	v_lshl_add_u64 v[42:43], v[14:15], 3, s[8:9]
	v_add_u32_e32 v14, 4, v18
	v_lshl_add_u64 v[46:47], v[14:15], 3, s[10:11]
	v_subrev_u32_e32 v14, 18, v12
	global_load_dwordx4 v[42:45], v[42:43], off
	s_waitcnt vmcnt(5)
	v_fmac_f64_e32 v[8:9], v[30:31], v[52:53]
	global_load_dwordx2 v[58:59], v[46:47], off
	v_lshl_add_u64 v[46:47], v[14:15], 3, s[8:9]
	v_add_u32_e32 v14, 5, v18
	v_lshl_add_u64 v[60:61], v[14:15], 3, s[10:11]
	v_add_u32_e32 v14, -16, v12
	global_load_dwordx4 v[46:49], v[46:47], off
	v_lshl_add_u64 v[22:23], v[14:15], 3, s[8:9]
	global_load_dwordx2 v[60:61], v[60:61], off
	v_add_u32_e32 v14, 6, v18
	v_lshl_add_u64 v[50:51], v[14:15], 3, s[10:11]
	v_add_u32_e32 v14, -14, v12
	global_load_dwordx4 v[22:25], v[22:23], off
	v_lshl_add_u64 v[30:31], v[14:15], 3, s[8:9]
	global_load_dwordx2 v[50:51], v[50:51], off
	v_add_u32_e32 v14, 7, v18
	v_fmac_f64_e32 v[0:1], v[32:33], v[52:53]
	v_lshl_add_u64 v[52:53], v[14:15], 3, s[10:11]
	global_load_dwordx2 v[52:53], v[52:53], off
	v_add_u32_e32 v14, -12, v12
	global_load_dwordx4 v[30:33], v[30:31], off
	s_waitcnt vmcnt(10)
	v_fmac_f64_e32 v[8:9], v[34:35], v[54:55]
	v_lshl_add_u64 v[34:35], v[14:15], 3, s[8:9]
	v_add_u32_e32 v14, 8, v18
	v_fmac_f64_e32 v[0:1], v[36:37], v[54:55]
	v_lshl_add_u64 v[54:55], v[14:15], 3, s[10:11]
	global_load_dwordx2 v[54:55], v[54:55], off
	v_add_u32_e32 v14, -10, v12
	global_load_dwordx4 v[34:37], v[34:35], off
	s_waitcnt vmcnt(10)
	v_fmac_f64_e32 v[8:9], v[38:39], v[56:57]
	v_lshl_add_u64 v[38:39], v[14:15], 3, s[8:9]
	v_add_u32_e32 v14, 9, v18
	v_fmac_f64_e32 v[0:1], v[40:41], v[56:57]
	v_lshl_add_u64 v[56:57], v[14:15], 3, s[10:11]
	v_add_u32_e32 v14, -8, v12
	global_load_dwordx4 v[38:41], v[38:39], off
	s_waitcnt vmcnt(9)
	v_fmac_f64_e32 v[8:9], v[42:43], v[58:59]
	v_lshl_add_u64 v[42:43], v[14:15], 3, s[8:9]
	v_add_u32_e32 v14, 10, v18
	v_fmac_f64_e32 v[0:1], v[44:45], v[58:59]
	v_lshl_add_u64 v[58:59], v[14:15], 3, s[10:11]
	;; [unrolled: 8-line block ×3, first 2 shown]
	v_add_u32_e32 v14, -4, v12
	global_load_dwordx2 v[56:57], v[56:57], off
	s_waitcnt vmcnt(7)
	v_fmac_f64_e32 v[8:9], v[22:23], v[50:51]
	global_load_dwordx2 v[60:61], v[60:61], off
	v_lshl_add_u64 v[22:23], v[14:15], 3, s[8:9]
	v_add_u32_e32 v14, 12, v18
	global_load_dwordx2 v[58:59], v[58:59], off
	v_fmac_f64_e32 v[0:1], v[24:25], v[50:51]
	v_lshl_add_u64 v[50:51], v[14:15], 3, s[10:11]
	v_add_u32_e32 v14, -2, v12
	global_load_dwordx4 v[46:49], v[46:47], off
	s_waitcnt vmcnt(8)
	v_fmac_f64_e32 v[8:9], v[30:31], v[52:53]
	v_lshl_add_u64 v[30:31], v[14:15], 3, s[8:9]
	v_add_u32_e32 v14, 13, v18
	global_load_dwordx4 v[22:25], v[22:23], off
	v_fmac_f64_e32 v[0:1], v[32:33], v[52:53]
	global_load_dwordx4 v[30:33], v[30:31], off
	v_lshl_add_u64 v[52:53], v[14:15], 3, s[10:11]
	global_load_dwordx2 v[50:51], v[50:51], off
	v_add_u32_e32 v14, 14, v18
	global_load_dwordx2 v[18:19], v[52:53], off
	v_lshl_add_u64 v[52:53], v[14:15], 3, s[10:11]
	global_load_dwordx2 v[52:53], v[52:53], off
	v_add_u32_e32 v12, 0x780, v12
	s_waitcnt vmcnt(11)
	v_fmac_f64_e32 v[8:9], v[34:35], v[54:55]
	v_fmac_f64_e32 v[0:1], v[36:37], v[54:55]
	s_waitcnt vmcnt(8)
	v_fmac_f64_e32 v[8:9], v[38:39], v[56:57]
	v_fmac_f64_e32 v[0:1], v[40:41], v[56:57]
	;; [unrolled: 3-line block ×7, first 2 shown]
	s_andn2_b64 exec, exec, s[16:17]
	s_cbranch_execnz .LBB145_9
; %bb.10:
	s_or_b64 exec, exec, s[16:17]
.LBB145_11:
	s_or_b64 exec, exec, s[14:15]
	s_andn2_b64 vcc, exec, s[4:5]
	s_cbranch_vccz .LBB145_13
	s_branch .LBB145_18
.LBB145_12:
                                        ; implicit-def: $vgpr8_vgpr9
                                        ; implicit-def: $vgpr0_vgpr1
.LBB145_13:
	v_mov_b64_e32 v[8:9], 0
	v_mov_b64_e32 v[0:1], v[8:9]
	s_and_saveexec_b64 s[4:5], s[2:3]
	s_cbranch_execz .LBB145_17
; %bb.14:
	v_mad_u64_u32 v[12:13], s[2:3], v10, 30, 29
	v_mov_b64_e32 v[8:9], 0
	s_mov_b64 s[2:3], 0
	v_mov_b32_e32 v15, 0
	v_mov_b64_e32 v[0:1], v[8:9]
.LBB145_15:                             ; =>This Inner Loop Header: Depth=1
	v_ashrrev_i32_e32 v11, 31, v10
	v_subrev_u32_e32 v14, 29, v12
	v_add_u32_e32 v18, -14, v12
	v_mov_b32_e32 v19, v15
	v_mov_b32_e32 v13, v15
	v_lshl_add_u64 v[26:27], v[10:11], 2, s[6:7]
	v_lshl_add_u64 v[28:29], v[14:15], 3, s[8:9]
	;; [unrolled: 1-line block ×4, first 2 shown]
	global_load_dword v11, v[26:27], off
	global_load_dwordx4 v[22:25], v[28:29], off
	global_load_dwordx2 v[32:33], v[18:19], off
	global_load_dwordx2 v[34:35], v[30:31], off
	v_mov_b32_e32 v17, v15
	v_add_u32_e32 v10, 64, v10
	v_cmp_ge_i32_e32 vcc, v10, v20
	s_or_b64 s[2:3], vcc, s[2:3]
	s_waitcnt vmcnt(3)
	v_subrev_u32_e32 v11, s12, v11
	v_mul_lo_u32 v16, v11, 15
	v_lshl_add_u64 v[18:19], v[16:17], 3, s[10:11]
	global_load_dwordx2 v[18:19], v[18:19], off
	v_add_u32_e32 v14, 1, v16
	v_lshl_add_u64 v[26:27], v[14:15], 3, s[10:11]
	global_load_dwordx2 v[26:27], v[26:27], off
	v_add_u32_e32 v14, -13, v12
	v_lshl_add_u64 v[28:29], v[14:15], 3, s[8:9]
	v_subrev_u32_e32 v14, 27, v12
	global_load_dwordx2 v[28:29], v[28:29], off
	v_lshl_add_u64 v[30:31], v[14:15], 3, s[8:9]
	global_load_dwordx2 v[30:31], v[30:31], off
	v_add_u32_e32 v14, 2, v16
	v_lshl_add_u64 v[36:37], v[14:15], 3, s[10:11]
	v_add_u32_e32 v14, -12, v12
	global_load_dwordx2 v[36:37], v[36:37], off
	v_lshl_add_u64 v[38:39], v[14:15], 3, s[8:9]
	v_subrev_u32_e32 v14, 26, v12
	global_load_dwordx2 v[38:39], v[38:39], off
	v_lshl_add_u64 v[40:41], v[14:15], 3, s[8:9]
	global_load_dwordx2 v[40:41], v[40:41], off
	v_add_u32_e32 v14, 3, v16
	v_lshl_add_u64 v[42:43], v[14:15], 3, s[10:11]
	v_add_u32_e32 v14, -11, v12
	global_load_dwordx2 v[42:43], v[42:43], off
	;; [unrolled: 9-line block ×5, first 2 shown]
	v_lshl_add_u64 v[62:63], v[14:15], 3, s[8:9]
	global_load_dwordx2 v[62:63], v[62:63], off
	v_subrev_u32_e32 v14, 22, v12
	v_lshl_add_u64 v[64:65], v[14:15], 3, s[8:9]
	global_load_dwordx2 v[64:65], v[64:65], off
	v_add_u32_e32 v14, 7, v16
	s_waitcnt vmcnt(18)
	v_fmac_f64_e32 v[0:1], v[32:33], v[18:19]
	v_lshl_add_u64 v[32:33], v[14:15], 3, s[10:11]
	v_add_u32_e32 v14, -7, v12
	v_fmac_f64_e32 v[8:9], v[22:23], v[18:19]
	v_lshl_add_u64 v[18:19], v[14:15], 3, s[8:9]
	v_subrev_u32_e32 v14, 21, v12
	v_lshl_add_u64 v[22:23], v[14:15], 3, s[8:9]
	v_add_u32_e32 v14, 8, v16
	global_load_dwordx2 v[32:33], v[32:33], off
	s_waitcnt vmcnt(18)
	v_fmac_f64_e32 v[8:9], v[24:25], v[26:27]
	global_load_dwordx2 v[24:25], v[18:19], off
	global_load_dwordx2 v[66:67], v[22:23], off
	v_lshl_add_u64 v[18:19], v[14:15], 3, s[10:11]
	v_add_u32_e32 v14, -6, v12
	v_lshl_add_u64 v[22:23], v[14:15], 3, s[8:9]
	v_subrev_u32_e32 v14, 20, v12
	s_waitcnt vmcnt(19)
	v_fmac_f64_e32 v[0:1], v[28:29], v[26:27]
	v_lshl_add_u64 v[26:27], v[14:15], 3, s[8:9]
	v_add_u32_e32 v14, 9, v16
	global_load_dwordx2 v[18:19], v[18:19], off
	s_nop 0
	global_load_dwordx2 v[28:29], v[22:23], off
	global_load_dwordx2 v[68:69], v[26:27], off
	v_lshl_add_u64 v[22:23], v[14:15], 3, s[10:11]
	v_add_u32_e32 v14, -5, v12
	v_lshl_add_u64 v[26:27], v[14:15], 3, s[8:9]
	v_subrev_u32_e32 v14, 19, v12
	s_waitcnt vmcnt(20)
	v_fmac_f64_e32 v[8:9], v[30:31], v[36:37]
	v_lshl_add_u64 v[30:31], v[14:15], 3, s[8:9]
	v_add_u32_e32 v14, 10, v16
	global_load_dwordx2 v[22:23], v[22:23], off
	s_waitcnt vmcnt(20)
	v_fmac_f64_e32 v[0:1], v[38:39], v[36:37]
	global_load_dwordx2 v[36:37], v[26:27], off
	global_load_dwordx2 v[38:39], v[30:31], off
	v_lshl_add_u64 v[26:27], v[14:15], 3, s[10:11]
	v_add_u32_e32 v14, -4, v12
	v_lshl_add_u64 v[30:31], v[14:15], 3, s[8:9]
	v_subrev_u32_e32 v14, 18, v12
	s_waitcnt vmcnt(20)
	v_fmac_f64_e32 v[8:9], v[40:41], v[42:43]
	v_lshl_add_u64 v[40:41], v[14:15], 3, s[8:9]
	v_add_u32_e32 v14, 11, v16
	global_load_dwordx2 v[26:27], v[26:27], off
	s_waitcnt vmcnt(20)
	v_fmac_f64_e32 v[0:1], v[44:45], v[42:43]
	;; [unrolled: 13-line block ×3, first 2 shown]
	global_load_dwordx2 v[48:49], v[40:41], off
	global_load_dwordx2 v[50:51], v[46:47], off
	v_lshl_add_u64 v[40:41], v[14:15], 3, s[10:11]
	v_add_u32_e32 v14, -2, v12
	v_lshl_add_u64 v[46:47], v[14:15], 3, s[8:9]
	v_add_u32_e32 v14, -16, v12
	s_waitcnt vmcnt(20)
	v_fmac_f64_e32 v[8:9], v[52:53], v[54:55]
	v_lshl_add_u64 v[52:53], v[14:15], 3, s[8:9]
	v_add_u32_e32 v14, 13, v16
	global_load_dwordx2 v[40:41], v[40:41], off
	s_waitcnt vmcnt(20)
	v_fmac_f64_e32 v[0:1], v[56:57], v[54:55]
	global_load_dwordx2 v[54:55], v[46:47], off
	global_load_dwordx2 v[56:57], v[52:53], off
	v_lshl_add_u64 v[46:47], v[14:15], 3, s[10:11]
	v_add_u32_e32 v14, -1, v12
	v_lshl_add_u64 v[52:53], v[14:15], 3, s[8:9]
	v_add_u32_e32 v14, -15, v12
	s_waitcnt vmcnt(20)
	v_fmac_f64_e32 v[8:9], v[58:59], v[60:61]
	v_lshl_add_u64 v[58:59], v[14:15], 3, s[8:9]
	v_add_u32_e32 v14, 14, v16
	global_load_dwordx2 v[46:47], v[46:47], off
	s_waitcnt vmcnt(20)
	v_fmac_f64_e32 v[0:1], v[62:63], v[60:61]
	global_load_dwordx2 v[16:17], v[52:53], off
	global_load_dwordx2 v[60:61], v[58:59], off
	v_lshl_add_u64 v[52:53], v[14:15], 3, s[10:11]
	global_load_dwordx2 v[52:53], v[52:53], off
	v_add_u32_e32 v12, 0x780, v12
	s_waitcnt vmcnt(21)
	v_fmac_f64_e32 v[8:9], v[64:65], v[32:33]
	s_waitcnt vmcnt(20)
	v_fmac_f64_e32 v[0:1], v[24:25], v[32:33]
	;; [unrolled: 2-line block ×15, first 2 shown]
	v_fmac_f64_e32 v[0:1], v[34:35], v[52:53]
	s_andn2_b64 exec, exec, s[2:3]
	s_cbranch_execnz .LBB145_15
; %bb.16:
	s_or_b64 exec, exec, s[2:3]
.LBB145_17:
	s_or_b64 exec, exec, s[4:5]
.LBB145_18:
	v_mov_b32_dpp v10, v8 row_shr:1 row_mask:0xf bank_mask:0xf
	v_mov_b32_dpp v11, v9 row_shr:1 row_mask:0xf bank_mask:0xf
	;; [unrolled: 1-line block ×4, first 2 shown]
	v_add_f64 v[8:9], v[8:9], v[10:11]
	v_add_f64 v[0:1], v[0:1], v[12:13]
	v_cmp_eq_u32_e32 vcc, 63, v7
	v_mov_b32_dpp v10, v8 row_shr:2 row_mask:0xf bank_mask:0xf
	v_mov_b32_dpp v11, v9 row_shr:2 row_mask:0xf bank_mask:0xf
	v_mov_b32_dpp v12, v0 row_shr:2 row_mask:0xf bank_mask:0xf
	v_mov_b32_dpp v13, v1 row_shr:2 row_mask:0xf bank_mask:0xf
	v_add_f64 v[8:9], v[8:9], v[10:11]
	v_add_f64 v[0:1], v[0:1], v[12:13]
	s_nop 0
	v_mov_b32_dpp v10, v8 row_shr:4 row_mask:0xf bank_mask:0xe
	v_mov_b32_dpp v11, v9 row_shr:4 row_mask:0xf bank_mask:0xe
	v_mov_b32_dpp v12, v0 row_shr:4 row_mask:0xf bank_mask:0xe
	v_mov_b32_dpp v13, v1 row_shr:4 row_mask:0xf bank_mask:0xe
	v_add_f64 v[8:9], v[8:9], v[10:11]
	v_add_f64 v[0:1], v[0:1], v[12:13]
	s_nop 0
	v_mov_b32_dpp v10, v8 row_shr:8 row_mask:0xf bank_mask:0xc
	v_mov_b32_dpp v11, v9 row_shr:8 row_mask:0xf bank_mask:0xc
	v_mov_b32_dpp v12, v0 row_shr:8 row_mask:0xf bank_mask:0xc
	v_mov_b32_dpp v13, v1 row_shr:8 row_mask:0xf bank_mask:0xc
	v_add_f64 v[8:9], v[8:9], v[10:11]
	v_add_f64 v[0:1], v[0:1], v[12:13]
	s_nop 0
	v_mov_b32_dpp v10, v8 row_bcast:15 row_mask:0xa bank_mask:0xf
	v_mov_b32_dpp v11, v9 row_bcast:15 row_mask:0xa bank_mask:0xf
	;; [unrolled: 1-line block ×4, first 2 shown]
	v_add_f64 v[8:9], v[8:9], v[10:11]
	v_add_f64 v[0:1], v[0:1], v[12:13]
	s_nop 0
	v_mov_b32_dpp v10, v8 row_bcast:31 row_mask:0xc bank_mask:0xf
	v_mov_b32_dpp v11, v9 row_bcast:31 row_mask:0xc bank_mask:0xf
	;; [unrolled: 1-line block ×4, first 2 shown]
	s_and_b64 exec, exec, vcc
	s_cbranch_execz .LBB145_23
; %bb.19:
	s_load_dwordx2 s[0:1], s[0:1], 0x38
	v_add_f64 v[8:9], v[8:9], v[10:11]
	v_add_f64 v[0:1], v[0:1], v[12:13]
	v_cmp_eq_f64_e32 vcc, 0, v[4:5]
	s_and_saveexec_b64 s[2:3], vcc
	s_xor_b64 s[2:3], exec, s[2:3]
	s_cbranch_execz .LBB145_21
; %bb.20:
	v_lshlrev_b32_e32 v6, 1, v6
	v_ashrrev_i32_e32 v7, 31, v6
	v_mul_f64 v[4:5], v[2:3], v[8:9]
	s_waitcnt lgkmcnt(0)
	v_lshl_add_u64 v[8:9], v[6:7], 3, s[0:1]
	v_mul_f64 v[6:7], v[2:3], v[0:1]
	global_store_dwordx4 v[8:9], v[4:7], off
                                        ; implicit-def: $vgpr6
                                        ; implicit-def: $vgpr2_vgpr3
                                        ; implicit-def: $vgpr8_vgpr9
                                        ; implicit-def: $vgpr4_vgpr5
                                        ; implicit-def: $vgpr0_vgpr1
.LBB145_21:
	s_andn2_saveexec_b64 s[2:3], s[2:3]
	s_cbranch_execz .LBB145_23
; %bb.22:
	v_lshlrev_b32_e32 v6, 1, v6
	v_ashrrev_i32_e32 v7, 31, v6
	s_waitcnt lgkmcnt(0)
	v_lshl_add_u64 v[14:15], v[6:7], 3, s[0:1]
	global_load_dwordx4 v[10:13], v[14:15], off
	v_mul_f64 v[6:7], v[2:3], v[8:9]
	v_mul_f64 v[8:9], v[2:3], v[0:1]
	s_waitcnt vmcnt(0)
	v_fmac_f64_e32 v[6:7], v[4:5], v[10:11]
	v_fmac_f64_e32 v[8:9], v[4:5], v[12:13]
	global_store_dwordx4 v[14:15], v[6:9], off
.LBB145_23:
	s_endpgm
	.section	.rodata,"a",@progbits
	.p2align	6, 0x0
	.amdhsa_kernel _ZN9rocsparseL19gebsrmvn_2xn_kernelILj128ELj15ELj64EdEEvi20rocsparse_direction_NS_24const_host_device_scalarIT2_EEPKiS6_PKS3_S8_S4_PS3_21rocsparse_index_base_b
		.amdhsa_group_segment_fixed_size 0
		.amdhsa_private_segment_fixed_size 0
		.amdhsa_kernarg_size 72
		.amdhsa_user_sgpr_count 2
		.amdhsa_user_sgpr_dispatch_ptr 0
		.amdhsa_user_sgpr_queue_ptr 0
		.amdhsa_user_sgpr_kernarg_segment_ptr 1
		.amdhsa_user_sgpr_dispatch_id 0
		.amdhsa_user_sgpr_kernarg_preload_length 0
		.amdhsa_user_sgpr_kernarg_preload_offset 0
		.amdhsa_user_sgpr_private_segment_size 0
		.amdhsa_uses_dynamic_stack 0
		.amdhsa_enable_private_segment 0
		.amdhsa_system_sgpr_workgroup_id_x 1
		.amdhsa_system_sgpr_workgroup_id_y 0
		.amdhsa_system_sgpr_workgroup_id_z 0
		.amdhsa_system_sgpr_workgroup_info 0
		.amdhsa_system_vgpr_workitem_id 0
		.amdhsa_next_free_vgpr 70
		.amdhsa_next_free_sgpr 18
		.amdhsa_accum_offset 72
		.amdhsa_reserve_vcc 1
		.amdhsa_float_round_mode_32 0
		.amdhsa_float_round_mode_16_64 0
		.amdhsa_float_denorm_mode_32 3
		.amdhsa_float_denorm_mode_16_64 3
		.amdhsa_dx10_clamp 1
		.amdhsa_ieee_mode 1
		.amdhsa_fp16_overflow 0
		.amdhsa_tg_split 0
		.amdhsa_exception_fp_ieee_invalid_op 0
		.amdhsa_exception_fp_denorm_src 0
		.amdhsa_exception_fp_ieee_div_zero 0
		.amdhsa_exception_fp_ieee_overflow 0
		.amdhsa_exception_fp_ieee_underflow 0
		.amdhsa_exception_fp_ieee_inexact 0
		.amdhsa_exception_int_div_zero 0
	.end_amdhsa_kernel
	.section	.text._ZN9rocsparseL19gebsrmvn_2xn_kernelILj128ELj15ELj64EdEEvi20rocsparse_direction_NS_24const_host_device_scalarIT2_EEPKiS6_PKS3_S8_S4_PS3_21rocsparse_index_base_b,"axG",@progbits,_ZN9rocsparseL19gebsrmvn_2xn_kernelILj128ELj15ELj64EdEEvi20rocsparse_direction_NS_24const_host_device_scalarIT2_EEPKiS6_PKS3_S8_S4_PS3_21rocsparse_index_base_b,comdat
.Lfunc_end145:
	.size	_ZN9rocsparseL19gebsrmvn_2xn_kernelILj128ELj15ELj64EdEEvi20rocsparse_direction_NS_24const_host_device_scalarIT2_EEPKiS6_PKS3_S8_S4_PS3_21rocsparse_index_base_b, .Lfunc_end145-_ZN9rocsparseL19gebsrmvn_2xn_kernelILj128ELj15ELj64EdEEvi20rocsparse_direction_NS_24const_host_device_scalarIT2_EEPKiS6_PKS3_S8_S4_PS3_21rocsparse_index_base_b
                                        ; -- End function
	.section	.AMDGPU.csdata,"",@progbits
; Kernel info:
; codeLenInByte = 2824
; NumSgprs: 24
; NumVgprs: 70
; NumAgprs: 0
; TotalNumVgprs: 70
; ScratchSize: 0
; MemoryBound: 0
; FloatMode: 240
; IeeeMode: 1
; LDSByteSize: 0 bytes/workgroup (compile time only)
; SGPRBlocks: 2
; VGPRBlocks: 8
; NumSGPRsForWavesPerEU: 24
; NumVGPRsForWavesPerEU: 70
; AccumOffset: 72
; Occupancy: 7
; WaveLimiterHint : 1
; COMPUTE_PGM_RSRC2:SCRATCH_EN: 0
; COMPUTE_PGM_RSRC2:USER_SGPR: 2
; COMPUTE_PGM_RSRC2:TRAP_HANDLER: 0
; COMPUTE_PGM_RSRC2:TGID_X_EN: 1
; COMPUTE_PGM_RSRC2:TGID_Y_EN: 0
; COMPUTE_PGM_RSRC2:TGID_Z_EN: 0
; COMPUTE_PGM_RSRC2:TIDIG_COMP_CNT: 0
; COMPUTE_PGM_RSRC3_GFX90A:ACCUM_OFFSET: 17
; COMPUTE_PGM_RSRC3_GFX90A:TG_SPLIT: 0
	.section	.text._ZN9rocsparseL19gebsrmvn_2xn_kernelILj128ELj16ELj4EdEEvi20rocsparse_direction_NS_24const_host_device_scalarIT2_EEPKiS6_PKS3_S8_S4_PS3_21rocsparse_index_base_b,"axG",@progbits,_ZN9rocsparseL19gebsrmvn_2xn_kernelILj128ELj16ELj4EdEEvi20rocsparse_direction_NS_24const_host_device_scalarIT2_EEPKiS6_PKS3_S8_S4_PS3_21rocsparse_index_base_b,comdat
	.globl	_ZN9rocsparseL19gebsrmvn_2xn_kernelILj128ELj16ELj4EdEEvi20rocsparse_direction_NS_24const_host_device_scalarIT2_EEPKiS6_PKS3_S8_S4_PS3_21rocsparse_index_base_b ; -- Begin function _ZN9rocsparseL19gebsrmvn_2xn_kernelILj128ELj16ELj4EdEEvi20rocsparse_direction_NS_24const_host_device_scalarIT2_EEPKiS6_PKS3_S8_S4_PS3_21rocsparse_index_base_b
	.p2align	8
	.type	_ZN9rocsparseL19gebsrmvn_2xn_kernelILj128ELj16ELj4EdEEvi20rocsparse_direction_NS_24const_host_device_scalarIT2_EEPKiS6_PKS3_S8_S4_PS3_21rocsparse_index_base_b,@function
_ZN9rocsparseL19gebsrmvn_2xn_kernelILj128ELj16ELj4EdEEvi20rocsparse_direction_NS_24const_host_device_scalarIT2_EEPKiS6_PKS3_S8_S4_PS3_21rocsparse_index_base_b: ; @_ZN9rocsparseL19gebsrmvn_2xn_kernelILj128ELj16ELj4EdEEvi20rocsparse_direction_NS_24const_host_device_scalarIT2_EEPKiS6_PKS3_S8_S4_PS3_21rocsparse_index_base_b
; %bb.0:
	s_load_dwordx2 s[12:13], s[0:1], 0x40
	s_load_dwordx2 s[8:9], s[0:1], 0x8
	;; [unrolled: 1-line block ×3, first 2 shown]
	s_waitcnt lgkmcnt(0)
	s_bitcmp1_b32 s13, 0
	s_cselect_b64 s[10:11], -1, 0
	s_xor_b64 s[6:7], s[10:11], -1
	s_and_b64 vcc, exec, s[10:11]
	v_mov_b64_e32 v[4:5], s[8:9]
	s_cbranch_vccnz .LBB146_2
; %bb.1:
	v_mov_b64_e32 v[2:3], s[8:9]
	flat_load_dwordx2 v[4:5], v[2:3]
.LBB146_2:
	s_andn2_b64 vcc, exec, s[6:7]
	v_mov_b64_e32 v[6:7], s[4:5]
	s_cbranch_vccnz .LBB146_4
; %bb.3:
	v_mov_b64_e32 v[2:3], s[4:5]
	flat_load_dwordx2 v[6:7], v[2:3]
.LBB146_4:
	s_waitcnt vmcnt(0) lgkmcnt(0)
	v_cmp_neq_f64_e32 vcc, 0, v[4:5]
	v_cmp_neq_f64_e64 s[4:5], 1.0, v[6:7]
	s_or_b64 s[4:5], vcc, s[4:5]
	s_and_saveexec_b64 s[6:7], s[4:5]
	s_cbranch_execz .LBB146_23
; %bb.5:
	s_load_dwordx2 s[14:15], s[0:1], 0x0
	v_lshrrev_b32_e32 v1, 2, v0
	v_lshl_or_b32 v8, s2, 5, v1
	s_waitcnt lgkmcnt(0)
	v_cmp_gt_i32_e32 vcc, s14, v8
	s_and_b64 exec, exec, vcc
	s_cbranch_execz .LBB146_23
; %bb.6:
	s_load_dwordx8 s[4:11], s[0:1], 0x10
	v_ashrrev_i32_e32 v9, 31, v8
	s_cmp_lg_u32 s15, 0
	s_waitcnt lgkmcnt(0)
	v_lshl_add_u64 v[2:3], v[8:9], 2, s[4:5]
	global_load_dwordx2 v[2:3], v[2:3], off
	v_and_b32_e32 v9, 3, v0
	s_waitcnt vmcnt(0)
	v_subrev_u32_e32 v0, s12, v2
	v_subrev_u32_e32 v22, s12, v3
	v_add_u32_e32 v12, v0, v9
	v_cmp_lt_i32_e64 s[2:3], v12, v22
	s_cbranch_scc0 .LBB146_12
; %bb.7:
	v_mov_b64_e32 v[10:11], 0
	s_mov_b64 s[4:5], 0
	v_mov_b64_e32 v[14:15], v[10:11]
	s_and_saveexec_b64 s[14:15], s[2:3]
	s_cbranch_execz .LBB146_11
; %bb.8:
	v_mov_b64_e32 v[10:11], 0
	v_lshlrev_b32_e32 v16, 5, v12
	s_mov_b64 s[16:17], 0
	v_mov_b32_e32 v17, 0
	v_mov_b32_e32 v18, v12
	v_mov_b64_e32 v[14:15], v[10:11]
.LBB146_9:                              ; =>This Inner Loop Header: Depth=1
	v_ashrrev_i32_e32 v19, 31, v18
	v_lshl_add_u64 v[20:21], v[16:17], 3, s[8:9]
	v_lshl_add_u64 v[74:75], v[18:19], 2, s[6:7]
	global_load_dwordx4 v[24:27], v[20:21], off offset:48
	global_load_dwordx4 v[28:31], v[20:21], off offset:32
	;; [unrolled: 1-line block ×3, first 2 shown]
	global_load_dwordx4 v[36:39], v[20:21], off
	global_load_dwordx4 v[0:3], v[20:21], off offset:112
	global_load_dwordx4 v[40:43], v[20:21], off offset:96
	global_load_dwordx4 v[44:47], v[20:21], off offset:80
	global_load_dwordx4 v[48:51], v[20:21], off offset:64
	global_load_dwordx4 v[52:55], v[20:21], off offset:176
	global_load_dwordx4 v[56:59], v[20:21], off offset:160
	global_load_dwordx4 v[60:63], v[20:21], off offset:144
	global_load_dwordx4 v[64:67], v[20:21], off offset:128
	global_load_dwordx4 v[68:71], v[20:21], off offset:224
	global_load_dword v13, v[74:75], off
	v_mov_b32_e32 v73, v17
	v_add_u32_e32 v18, 4, v18
	v_cmp_ge_i32_e32 vcc, v18, v22
	v_add_u32_e32 v16, 0x80, v16
	s_or_b64 s[16:17], vcc, s[16:17]
	s_waitcnt vmcnt(0)
	v_subrev_u32_e32 v13, s12, v13
	v_lshlrev_b32_e32 v72, 4, v13
	v_lshl_add_u64 v[84:85], v[72:73], 3, s[10:11]
	global_load_dwordx4 v[72:75], v[84:85], off
	global_load_dwordx4 v[76:79], v[84:85], off offset:16
	s_waitcnt vmcnt(1)
	v_fmac_f64_e32 v[10:11], v[36:37], v[72:73]
	v_fmac_f64_e32 v[14:15], v[38:39], v[72:73]
	global_load_dwordx4 v[36:39], v[20:21], off offset:208
	v_fmac_f64_e32 v[10:11], v[32:33], v[74:75]
	v_fmac_f64_e32 v[14:15], v[34:35], v[74:75]
	global_load_dwordx4 v[32:35], v[20:21], off offset:192
	global_load_dwordx4 v[72:75], v[84:85], off offset:32
	s_waitcnt vmcnt(3)
	v_fmac_f64_e32 v[10:11], v[28:29], v[76:77]
	v_fmac_f64_e32 v[14:15], v[30:31], v[76:77]
	global_load_dwordx4 v[28:31], v[84:85], off offset:48
	v_fmac_f64_e32 v[10:11], v[24:25], v[78:79]
	v_fmac_f64_e32 v[14:15], v[26:27], v[78:79]
	global_load_dwordx4 v[24:27], v[84:85], off offset:64
	global_load_dwordx4 v[76:79], v[84:85], off offset:80
	s_waitcnt vmcnt(3)
	v_fmac_f64_e32 v[10:11], v[48:49], v[72:73]
	v_fmac_f64_e32 v[14:15], v[50:51], v[72:73]
	global_load_dwordx4 v[48:51], v[84:85], off offset:96
	global_load_dwordx4 v[80:83], v[84:85], off offset:112
	v_fmac_f64_e32 v[10:11], v[44:45], v[74:75]
	v_fmac_f64_e32 v[14:15], v[46:47], v[74:75]
	global_load_dwordx4 v[44:47], v[20:21], off offset:240
	s_waitcnt vmcnt(5)
	v_fmac_f64_e32 v[10:11], v[40:41], v[28:29]
	v_fmac_f64_e32 v[14:15], v[42:43], v[28:29]
	v_fmac_f64_e32 v[10:11], v[0:1], v[30:31]
	v_fmac_f64_e32 v[14:15], v[2:3], v[30:31]
	s_waitcnt vmcnt(4)
	v_fmac_f64_e32 v[10:11], v[64:65], v[24:25]
	v_fmac_f64_e32 v[14:15], v[66:67], v[24:25]
	v_fmac_f64_e32 v[10:11], v[60:61], v[26:27]
	v_fmac_f64_e32 v[14:15], v[62:63], v[26:27]
	s_waitcnt vmcnt(3)
	v_fmac_f64_e32 v[10:11], v[56:57], v[76:77]
	v_fmac_f64_e32 v[14:15], v[58:59], v[76:77]
	v_fmac_f64_e32 v[10:11], v[52:53], v[78:79]
	v_fmac_f64_e32 v[14:15], v[54:55], v[78:79]
	s_waitcnt vmcnt(2)
	v_fmac_f64_e32 v[10:11], v[32:33], v[48:49]
	v_fmac_f64_e32 v[14:15], v[34:35], v[48:49]
	v_fmac_f64_e32 v[10:11], v[36:37], v[50:51]
	v_fmac_f64_e32 v[14:15], v[38:39], v[50:51]
	s_waitcnt vmcnt(1)
	v_fmac_f64_e32 v[10:11], v[68:69], v[80:81]
	v_fmac_f64_e32 v[14:15], v[70:71], v[80:81]
	s_waitcnt vmcnt(0)
	v_fmac_f64_e32 v[10:11], v[44:45], v[82:83]
	v_fmac_f64_e32 v[14:15], v[46:47], v[82:83]
	s_andn2_b64 exec, exec, s[16:17]
	s_cbranch_execnz .LBB146_9
; %bb.10:
	s_or_b64 exec, exec, s[16:17]
.LBB146_11:
	s_or_b64 exec, exec, s[14:15]
	s_andn2_b64 vcc, exec, s[4:5]
	s_cbranch_vccz .LBB146_13
	s_branch .LBB146_18
.LBB146_12:
                                        ; implicit-def: $vgpr10_vgpr11
                                        ; implicit-def: $vgpr14_vgpr15
.LBB146_13:
	v_mov_b64_e32 v[10:11], 0
	v_mov_b64_e32 v[14:15], v[10:11]
	s_and_saveexec_b64 s[4:5], s[2:3]
	s_cbranch_execz .LBB146_17
; %bb.14:
	v_mov_b64_e32 v[10:11], 0
	v_lshlrev_b32_e32 v16, 5, v12
	s_mov_b64 s[2:3], 0
	v_mov_b32_e32 v17, 0
	v_mov_b64_e32 v[14:15], v[10:11]
.LBB146_15:                             ; =>This Inner Loop Header: Depth=1
	v_ashrrev_i32_e32 v13, 31, v12
	v_lshl_add_u64 v[18:19], v[16:17], 3, s[8:9]
	v_lshl_add_u64 v[64:65], v[12:13], 2, s[6:7]
	global_load_dwordx4 v[24:27], v[18:19], off offset:48
	global_load_dwordx4 v[28:31], v[18:19], off offset:32
	;; [unrolled: 1-line block ×3, first 2 shown]
	global_load_dwordx4 v[36:39], v[18:19], off
	global_load_dwordx4 v[0:3], v[18:19], off offset:176
	global_load_dwordx4 v[40:43], v[18:19], off offset:160
	;; [unrolled: 1-line block ×7, first 2 shown]
	global_load_dword v13, v[64:65], off
	v_mov_b32_e32 v21, v17
	v_add_u32_e32 v12, 4, v12
	v_cmp_ge_i32_e32 vcc, v12, v22
	v_add_u32_e32 v16, 0x80, v16
	s_or_b64 s[2:3], vcc, s[2:3]
	s_waitcnt vmcnt(0)
	v_subrev_u32_e32 v13, s12, v13
	v_lshlrev_b32_e32 v20, 4, v13
	v_lshl_add_u64 v[76:77], v[20:21], 3, s[10:11]
	global_load_dwordx4 v[64:67], v[76:77], off
	global_load_dwordx4 v[68:71], v[76:77], off offset:16
	s_waitcnt vmcnt(1)
	v_fmac_f64_e32 v[10:11], v[36:37], v[64:65]
	v_fmac_f64_e32 v[14:15], v[48:49], v[64:65]
	;; [unrolled: 1-line block ×4, first 2 shown]
	s_waitcnt vmcnt(0)
	v_fmac_f64_e32 v[10:11], v[32:33], v[68:69]
	v_fmac_f64_e32 v[14:15], v[44:45], v[68:69]
	global_load_dwordx4 v[36:39], v[18:19], off offset:64
	global_load_dwordx4 v[48:51], v[18:19], off offset:240
	;; [unrolled: 1-line block ×3, first 2 shown]
	v_fmac_f64_e32 v[10:11], v[34:35], v[70:71]
	global_load_dwordx4 v[32:35], v[18:19], off offset:208
	global_load_dwordx4 v[72:75], v[18:19], off offset:192
	v_fmac_f64_e32 v[14:15], v[46:47], v[70:71]
	global_load_dwordx4 v[18:21], v[76:77], off offset:32
	global_load_dwordx4 v[44:47], v[76:77], off offset:48
	s_waitcnt vmcnt(1)
	v_fmac_f64_e32 v[10:11], v[28:29], v[18:19]
	v_fmac_f64_e32 v[10:11], v[30:31], v[20:21]
	global_load_dwordx4 v[28:31], v[76:77], off offset:64
	v_fmac_f64_e32 v[14:15], v[40:41], v[18:19]
	v_fmac_f64_e32 v[14:15], v[42:43], v[20:21]
	global_load_dwordx4 v[18:21], v[76:77], off offset:80
	global_load_dwordx4 v[40:43], v[76:77], off offset:96
	s_waitcnt vmcnt(3)
	v_fmac_f64_e32 v[10:11], v[24:25], v[44:45]
	v_fmac_f64_e32 v[10:11], v[26:27], v[46:47]
	global_load_dwordx4 v[24:27], v[76:77], off offset:112
	v_fmac_f64_e32 v[14:15], v[0:1], v[44:45]
	v_fmac_f64_e32 v[14:15], v[2:3], v[46:47]
	s_waitcnt vmcnt(3)
	v_fmac_f64_e32 v[10:11], v[36:37], v[28:29]
	v_fmac_f64_e32 v[14:15], v[72:73], v[28:29]
	v_fmac_f64_e32 v[10:11], v[38:39], v[30:31]
	v_fmac_f64_e32 v[14:15], v[74:75], v[30:31]
	s_waitcnt vmcnt(2)
	v_fmac_f64_e32 v[10:11], v[60:61], v[18:19]
	v_fmac_f64_e32 v[14:15], v[32:33], v[18:19]
	;; [unrolled: 5-line block ×4, first 2 shown]
	v_fmac_f64_e32 v[10:11], v[54:55], v[26:27]
	v_fmac_f64_e32 v[14:15], v[50:51], v[26:27]
	s_andn2_b64 exec, exec, s[2:3]
	s_cbranch_execnz .LBB146_15
; %bb.16:
	s_or_b64 exec, exec, s[2:3]
.LBB146_17:
	s_or_b64 exec, exec, s[4:5]
.LBB146_18:
	v_mov_b32_dpp v0, v10 row_shr:1 row_mask:0xf bank_mask:0xf
	v_mov_b32_dpp v1, v11 row_shr:1 row_mask:0xf bank_mask:0xf
	v_add_f64 v[0:1], v[10:11], v[0:1]
	v_mov_b32_dpp v10, v14 row_shr:1 row_mask:0xf bank_mask:0xf
	v_mov_b32_dpp v11, v15 row_shr:1 row_mask:0xf bank_mask:0xf
	v_add_f64 v[10:11], v[14:15], v[10:11]
	v_mov_b32_dpp v2, v0 row_shr:2 row_mask:0xf bank_mask:0xf
	v_mov_b32_dpp v3, v1 row_shr:2 row_mask:0xf bank_mask:0xf
	;; [unrolled: 1-line block ×4, first 2 shown]
	v_cmp_eq_u32_e32 vcc, 3, v9
	s_and_b64 exec, exec, vcc
	s_cbranch_execz .LBB146_23
; %bb.19:
	s_load_dwordx2 s[0:1], s[0:1], 0x38
	v_add_f64 v[2:3], v[0:1], v[2:3]
	v_add_f64 v[0:1], v[10:11], v[12:13]
	v_cmp_eq_f64_e32 vcc, 0, v[6:7]
	s_and_saveexec_b64 s[2:3], vcc
	s_xor_b64 s[2:3], exec, s[2:3]
	s_cbranch_execz .LBB146_21
; %bb.20:
	v_lshlrev_b32_e32 v6, 1, v8
	v_ashrrev_i32_e32 v7, 31, v6
	v_mul_f64 v[2:3], v[4:5], v[2:3]
	s_waitcnt lgkmcnt(0)
	v_lshl_add_u64 v[6:7], v[6:7], 3, s[0:1]
	v_mul_f64 v[4:5], v[4:5], v[0:1]
	global_store_dwordx4 v[6:7], v[2:5], off
                                        ; implicit-def: $vgpr8
                                        ; implicit-def: $vgpr4_vgpr5
                                        ; implicit-def: $vgpr2_vgpr3
                                        ; implicit-def: $vgpr6_vgpr7
                                        ; implicit-def: $vgpr0_vgpr1
.LBB146_21:
	s_andn2_saveexec_b64 s[2:3], s[2:3]
	s_cbranch_execz .LBB146_23
; %bb.22:
	v_lshlrev_b32_e32 v8, 1, v8
	v_ashrrev_i32_e32 v9, 31, v8
	s_waitcnt lgkmcnt(0)
	v_lshl_add_u64 v[12:13], v[8:9], 3, s[0:1]
	global_load_dwordx4 v[8:11], v[12:13], off
	v_mul_f64 v[2:3], v[4:5], v[2:3]
	v_mul_f64 v[4:5], v[4:5], v[0:1]
	s_waitcnt vmcnt(0)
	v_fmac_f64_e32 v[2:3], v[6:7], v[8:9]
	v_fmac_f64_e32 v[4:5], v[6:7], v[10:11]
	global_store_dwordx4 v[12:13], v[2:5], off
.LBB146_23:
	s_endpgm
	.section	.rodata,"a",@progbits
	.p2align	6, 0x0
	.amdhsa_kernel _ZN9rocsparseL19gebsrmvn_2xn_kernelILj128ELj16ELj4EdEEvi20rocsparse_direction_NS_24const_host_device_scalarIT2_EEPKiS6_PKS3_S8_S4_PS3_21rocsparse_index_base_b
		.amdhsa_group_segment_fixed_size 0
		.amdhsa_private_segment_fixed_size 0
		.amdhsa_kernarg_size 72
		.amdhsa_user_sgpr_count 2
		.amdhsa_user_sgpr_dispatch_ptr 0
		.amdhsa_user_sgpr_queue_ptr 0
		.amdhsa_user_sgpr_kernarg_segment_ptr 1
		.amdhsa_user_sgpr_dispatch_id 0
		.amdhsa_user_sgpr_kernarg_preload_length 0
		.amdhsa_user_sgpr_kernarg_preload_offset 0
		.amdhsa_user_sgpr_private_segment_size 0
		.amdhsa_uses_dynamic_stack 0
		.amdhsa_enable_private_segment 0
		.amdhsa_system_sgpr_workgroup_id_x 1
		.amdhsa_system_sgpr_workgroup_id_y 0
		.amdhsa_system_sgpr_workgroup_id_z 0
		.amdhsa_system_sgpr_workgroup_info 0
		.amdhsa_system_vgpr_workitem_id 0
		.amdhsa_next_free_vgpr 86
		.amdhsa_next_free_sgpr 18
		.amdhsa_accum_offset 88
		.amdhsa_reserve_vcc 1
		.amdhsa_float_round_mode_32 0
		.amdhsa_float_round_mode_16_64 0
		.amdhsa_float_denorm_mode_32 3
		.amdhsa_float_denorm_mode_16_64 3
		.amdhsa_dx10_clamp 1
		.amdhsa_ieee_mode 1
		.amdhsa_fp16_overflow 0
		.amdhsa_tg_split 0
		.amdhsa_exception_fp_ieee_invalid_op 0
		.amdhsa_exception_fp_denorm_src 0
		.amdhsa_exception_fp_ieee_div_zero 0
		.amdhsa_exception_fp_ieee_overflow 0
		.amdhsa_exception_fp_ieee_underflow 0
		.amdhsa_exception_fp_ieee_inexact 0
		.amdhsa_exception_int_div_zero 0
	.end_amdhsa_kernel
	.section	.text._ZN9rocsparseL19gebsrmvn_2xn_kernelILj128ELj16ELj4EdEEvi20rocsparse_direction_NS_24const_host_device_scalarIT2_EEPKiS6_PKS3_S8_S4_PS3_21rocsparse_index_base_b,"axG",@progbits,_ZN9rocsparseL19gebsrmvn_2xn_kernelILj128ELj16ELj4EdEEvi20rocsparse_direction_NS_24const_host_device_scalarIT2_EEPKiS6_PKS3_S8_S4_PS3_21rocsparse_index_base_b,comdat
.Lfunc_end146:
	.size	_ZN9rocsparseL19gebsrmvn_2xn_kernelILj128ELj16ELj4EdEEvi20rocsparse_direction_NS_24const_host_device_scalarIT2_EEPKiS6_PKS3_S8_S4_PS3_21rocsparse_index_base_b, .Lfunc_end146-_ZN9rocsparseL19gebsrmvn_2xn_kernelILj128ELj16ELj4EdEEvi20rocsparse_direction_NS_24const_host_device_scalarIT2_EEPKiS6_PKS3_S8_S4_PS3_21rocsparse_index_base_b
                                        ; -- End function
	.section	.AMDGPU.csdata,"",@progbits
; Kernel info:
; codeLenInByte = 1448
; NumSgprs: 24
; NumVgprs: 86
; NumAgprs: 0
; TotalNumVgprs: 86
; ScratchSize: 0
; MemoryBound: 1
; FloatMode: 240
; IeeeMode: 1
; LDSByteSize: 0 bytes/workgroup (compile time only)
; SGPRBlocks: 2
; VGPRBlocks: 10
; NumSGPRsForWavesPerEU: 24
; NumVGPRsForWavesPerEU: 86
; AccumOffset: 88
; Occupancy: 5
; WaveLimiterHint : 1
; COMPUTE_PGM_RSRC2:SCRATCH_EN: 0
; COMPUTE_PGM_RSRC2:USER_SGPR: 2
; COMPUTE_PGM_RSRC2:TRAP_HANDLER: 0
; COMPUTE_PGM_RSRC2:TGID_X_EN: 1
; COMPUTE_PGM_RSRC2:TGID_Y_EN: 0
; COMPUTE_PGM_RSRC2:TGID_Z_EN: 0
; COMPUTE_PGM_RSRC2:TIDIG_COMP_CNT: 0
; COMPUTE_PGM_RSRC3_GFX90A:ACCUM_OFFSET: 21
; COMPUTE_PGM_RSRC3_GFX90A:TG_SPLIT: 0
	.section	.text._ZN9rocsparseL19gebsrmvn_2xn_kernelILj128ELj16ELj8EdEEvi20rocsparse_direction_NS_24const_host_device_scalarIT2_EEPKiS6_PKS3_S8_S4_PS3_21rocsparse_index_base_b,"axG",@progbits,_ZN9rocsparseL19gebsrmvn_2xn_kernelILj128ELj16ELj8EdEEvi20rocsparse_direction_NS_24const_host_device_scalarIT2_EEPKiS6_PKS3_S8_S4_PS3_21rocsparse_index_base_b,comdat
	.globl	_ZN9rocsparseL19gebsrmvn_2xn_kernelILj128ELj16ELj8EdEEvi20rocsparse_direction_NS_24const_host_device_scalarIT2_EEPKiS6_PKS3_S8_S4_PS3_21rocsparse_index_base_b ; -- Begin function _ZN9rocsparseL19gebsrmvn_2xn_kernelILj128ELj16ELj8EdEEvi20rocsparse_direction_NS_24const_host_device_scalarIT2_EEPKiS6_PKS3_S8_S4_PS3_21rocsparse_index_base_b
	.p2align	8
	.type	_ZN9rocsparseL19gebsrmvn_2xn_kernelILj128ELj16ELj8EdEEvi20rocsparse_direction_NS_24const_host_device_scalarIT2_EEPKiS6_PKS3_S8_S4_PS3_21rocsparse_index_base_b,@function
_ZN9rocsparseL19gebsrmvn_2xn_kernelILj128ELj16ELj8EdEEvi20rocsparse_direction_NS_24const_host_device_scalarIT2_EEPKiS6_PKS3_S8_S4_PS3_21rocsparse_index_base_b: ; @_ZN9rocsparseL19gebsrmvn_2xn_kernelILj128ELj16ELj8EdEEvi20rocsparse_direction_NS_24const_host_device_scalarIT2_EEPKiS6_PKS3_S8_S4_PS3_21rocsparse_index_base_b
; %bb.0:
	s_load_dwordx2 s[12:13], s[0:1], 0x40
	s_load_dwordx2 s[8:9], s[0:1], 0x8
	;; [unrolled: 1-line block ×3, first 2 shown]
	s_waitcnt lgkmcnt(0)
	s_bitcmp1_b32 s13, 0
	s_cselect_b64 s[10:11], -1, 0
	s_xor_b64 s[6:7], s[10:11], -1
	s_and_b64 vcc, exec, s[10:11]
	v_mov_b64_e32 v[4:5], s[8:9]
	s_cbranch_vccnz .LBB147_2
; %bb.1:
	v_mov_b64_e32 v[2:3], s[8:9]
	flat_load_dwordx2 v[4:5], v[2:3]
.LBB147_2:
	s_andn2_b64 vcc, exec, s[6:7]
	v_mov_b64_e32 v[6:7], s[4:5]
	s_cbranch_vccnz .LBB147_4
; %bb.3:
	v_mov_b64_e32 v[2:3], s[4:5]
	flat_load_dwordx2 v[6:7], v[2:3]
.LBB147_4:
	s_waitcnt vmcnt(0) lgkmcnt(0)
	v_cmp_neq_f64_e32 vcc, 0, v[4:5]
	v_cmp_neq_f64_e64 s[4:5], 1.0, v[6:7]
	s_or_b64 s[4:5], vcc, s[4:5]
	s_and_saveexec_b64 s[6:7], s[4:5]
	s_cbranch_execz .LBB147_23
; %bb.5:
	s_load_dwordx2 s[14:15], s[0:1], 0x0
	v_lshrrev_b32_e32 v1, 3, v0
	v_lshl_or_b32 v8, s2, 4, v1
	s_waitcnt lgkmcnt(0)
	v_cmp_gt_i32_e32 vcc, s14, v8
	s_and_b64 exec, exec, vcc
	s_cbranch_execz .LBB147_23
; %bb.6:
	s_load_dwordx8 s[4:11], s[0:1], 0x10
	v_ashrrev_i32_e32 v9, 31, v8
	s_cmp_lg_u32 s15, 0
	s_waitcnt lgkmcnt(0)
	v_lshl_add_u64 v[2:3], v[8:9], 2, s[4:5]
	global_load_dwordx2 v[2:3], v[2:3], off
	v_and_b32_e32 v9, 7, v0
	s_waitcnt vmcnt(0)
	v_subrev_u32_e32 v0, s12, v2
	v_subrev_u32_e32 v22, s12, v3
	v_add_u32_e32 v12, v0, v9
	v_cmp_lt_i32_e64 s[2:3], v12, v22
	s_cbranch_scc0 .LBB147_12
; %bb.7:
	v_mov_b64_e32 v[10:11], 0
	s_mov_b64 s[4:5], 0
	v_mov_b64_e32 v[14:15], v[10:11]
	s_and_saveexec_b64 s[14:15], s[2:3]
	s_cbranch_execz .LBB147_11
; %bb.8:
	v_mov_b64_e32 v[10:11], 0
	v_lshlrev_b32_e32 v16, 5, v12
	s_mov_b64 s[16:17], 0
	v_mov_b32_e32 v17, 0
	v_mov_b32_e32 v18, v12
	v_mov_b64_e32 v[14:15], v[10:11]
.LBB147_9:                              ; =>This Inner Loop Header: Depth=1
	v_ashrrev_i32_e32 v19, 31, v18
	v_lshl_add_u64 v[20:21], v[16:17], 3, s[8:9]
	v_lshl_add_u64 v[74:75], v[18:19], 2, s[6:7]
	global_load_dwordx4 v[24:27], v[20:21], off offset:48
	global_load_dwordx4 v[28:31], v[20:21], off offset:32
	;; [unrolled: 1-line block ×3, first 2 shown]
	global_load_dwordx4 v[36:39], v[20:21], off
	global_load_dwordx4 v[0:3], v[20:21], off offset:112
	global_load_dwordx4 v[40:43], v[20:21], off offset:96
	;; [unrolled: 1-line block ×9, first 2 shown]
	global_load_dword v13, v[74:75], off
	v_mov_b32_e32 v73, v17
	v_add_u32_e32 v18, 8, v18
	v_cmp_ge_i32_e32 vcc, v18, v22
	v_add_u32_e32 v16, 0x100, v16
	s_or_b64 s[16:17], vcc, s[16:17]
	s_waitcnt vmcnt(0)
	v_subrev_u32_e32 v13, s12, v13
	v_lshlrev_b32_e32 v72, 4, v13
	v_lshl_add_u64 v[84:85], v[72:73], 3, s[10:11]
	global_load_dwordx4 v[72:75], v[84:85], off
	global_load_dwordx4 v[76:79], v[84:85], off offset:16
	s_waitcnt vmcnt(1)
	v_fmac_f64_e32 v[10:11], v[36:37], v[72:73]
	v_fmac_f64_e32 v[14:15], v[38:39], v[72:73]
	global_load_dwordx4 v[36:39], v[20:21], off offset:208
	v_fmac_f64_e32 v[10:11], v[32:33], v[74:75]
	v_fmac_f64_e32 v[14:15], v[34:35], v[74:75]
	global_load_dwordx4 v[32:35], v[20:21], off offset:192
	global_load_dwordx4 v[72:75], v[84:85], off offset:32
	s_waitcnt vmcnt(3)
	v_fmac_f64_e32 v[10:11], v[28:29], v[76:77]
	v_fmac_f64_e32 v[14:15], v[30:31], v[76:77]
	global_load_dwordx4 v[28:31], v[84:85], off offset:48
	v_fmac_f64_e32 v[10:11], v[24:25], v[78:79]
	v_fmac_f64_e32 v[14:15], v[26:27], v[78:79]
	global_load_dwordx4 v[24:27], v[84:85], off offset:64
	global_load_dwordx4 v[76:79], v[84:85], off offset:80
	s_waitcnt vmcnt(3)
	v_fmac_f64_e32 v[10:11], v[48:49], v[72:73]
	v_fmac_f64_e32 v[14:15], v[50:51], v[72:73]
	global_load_dwordx4 v[48:51], v[84:85], off offset:96
	global_load_dwordx4 v[80:83], v[84:85], off offset:112
	v_fmac_f64_e32 v[10:11], v[44:45], v[74:75]
	v_fmac_f64_e32 v[14:15], v[46:47], v[74:75]
	global_load_dwordx4 v[44:47], v[20:21], off offset:240
	s_waitcnt vmcnt(5)
	v_fmac_f64_e32 v[10:11], v[40:41], v[28:29]
	v_fmac_f64_e32 v[14:15], v[42:43], v[28:29]
	v_fmac_f64_e32 v[10:11], v[0:1], v[30:31]
	v_fmac_f64_e32 v[14:15], v[2:3], v[30:31]
	s_waitcnt vmcnt(4)
	v_fmac_f64_e32 v[10:11], v[64:65], v[24:25]
	v_fmac_f64_e32 v[14:15], v[66:67], v[24:25]
	v_fmac_f64_e32 v[10:11], v[60:61], v[26:27]
	v_fmac_f64_e32 v[14:15], v[62:63], v[26:27]
	;; [unrolled: 5-line block ×4, first 2 shown]
	s_waitcnt vmcnt(1)
	v_fmac_f64_e32 v[10:11], v[68:69], v[80:81]
	v_fmac_f64_e32 v[14:15], v[70:71], v[80:81]
	s_waitcnt vmcnt(0)
	v_fmac_f64_e32 v[10:11], v[44:45], v[82:83]
	v_fmac_f64_e32 v[14:15], v[46:47], v[82:83]
	s_andn2_b64 exec, exec, s[16:17]
	s_cbranch_execnz .LBB147_9
; %bb.10:
	s_or_b64 exec, exec, s[16:17]
.LBB147_11:
	s_or_b64 exec, exec, s[14:15]
	s_andn2_b64 vcc, exec, s[4:5]
	s_cbranch_vccz .LBB147_13
	s_branch .LBB147_18
.LBB147_12:
                                        ; implicit-def: $vgpr10_vgpr11
                                        ; implicit-def: $vgpr14_vgpr15
.LBB147_13:
	v_mov_b64_e32 v[10:11], 0
	v_mov_b64_e32 v[14:15], v[10:11]
	s_and_saveexec_b64 s[4:5], s[2:3]
	s_cbranch_execz .LBB147_17
; %bb.14:
	v_mov_b64_e32 v[10:11], 0
	v_lshlrev_b32_e32 v16, 5, v12
	s_mov_b64 s[2:3], 0
	v_mov_b32_e32 v17, 0
	v_mov_b64_e32 v[14:15], v[10:11]
.LBB147_15:                             ; =>This Inner Loop Header: Depth=1
	v_ashrrev_i32_e32 v13, 31, v12
	v_lshl_add_u64 v[18:19], v[16:17], 3, s[8:9]
	v_lshl_add_u64 v[64:65], v[12:13], 2, s[6:7]
	global_load_dwordx4 v[24:27], v[18:19], off offset:48
	global_load_dwordx4 v[28:31], v[18:19], off offset:32
	;; [unrolled: 1-line block ×3, first 2 shown]
	global_load_dwordx4 v[36:39], v[18:19], off
	global_load_dwordx4 v[0:3], v[18:19], off offset:176
	global_load_dwordx4 v[40:43], v[18:19], off offset:160
	;; [unrolled: 1-line block ×7, first 2 shown]
	global_load_dword v13, v[64:65], off
	v_mov_b32_e32 v21, v17
	v_add_u32_e32 v12, 8, v12
	v_cmp_ge_i32_e32 vcc, v12, v22
	v_add_u32_e32 v16, 0x100, v16
	s_or_b64 s[2:3], vcc, s[2:3]
	s_waitcnt vmcnt(0)
	v_subrev_u32_e32 v13, s12, v13
	v_lshlrev_b32_e32 v20, 4, v13
	v_lshl_add_u64 v[76:77], v[20:21], 3, s[10:11]
	global_load_dwordx4 v[64:67], v[76:77], off
	global_load_dwordx4 v[68:71], v[76:77], off offset:16
	s_waitcnt vmcnt(1)
	v_fmac_f64_e32 v[10:11], v[36:37], v[64:65]
	v_fmac_f64_e32 v[14:15], v[48:49], v[64:65]
	;; [unrolled: 1-line block ×4, first 2 shown]
	s_waitcnt vmcnt(0)
	v_fmac_f64_e32 v[10:11], v[32:33], v[68:69]
	v_fmac_f64_e32 v[14:15], v[44:45], v[68:69]
	global_load_dwordx4 v[36:39], v[18:19], off offset:64
	global_load_dwordx4 v[48:51], v[18:19], off offset:240
	;; [unrolled: 1-line block ×3, first 2 shown]
	v_fmac_f64_e32 v[10:11], v[34:35], v[70:71]
	global_load_dwordx4 v[32:35], v[18:19], off offset:208
	global_load_dwordx4 v[72:75], v[18:19], off offset:192
	v_fmac_f64_e32 v[14:15], v[46:47], v[70:71]
	global_load_dwordx4 v[18:21], v[76:77], off offset:32
	global_load_dwordx4 v[44:47], v[76:77], off offset:48
	s_waitcnt vmcnt(1)
	v_fmac_f64_e32 v[10:11], v[28:29], v[18:19]
	v_fmac_f64_e32 v[10:11], v[30:31], v[20:21]
	global_load_dwordx4 v[28:31], v[76:77], off offset:64
	v_fmac_f64_e32 v[14:15], v[40:41], v[18:19]
	v_fmac_f64_e32 v[14:15], v[42:43], v[20:21]
	global_load_dwordx4 v[18:21], v[76:77], off offset:80
	global_load_dwordx4 v[40:43], v[76:77], off offset:96
	s_waitcnt vmcnt(3)
	v_fmac_f64_e32 v[10:11], v[24:25], v[44:45]
	v_fmac_f64_e32 v[10:11], v[26:27], v[46:47]
	global_load_dwordx4 v[24:27], v[76:77], off offset:112
	v_fmac_f64_e32 v[14:15], v[0:1], v[44:45]
	v_fmac_f64_e32 v[14:15], v[2:3], v[46:47]
	s_waitcnt vmcnt(3)
	v_fmac_f64_e32 v[10:11], v[36:37], v[28:29]
	v_fmac_f64_e32 v[14:15], v[72:73], v[28:29]
	v_fmac_f64_e32 v[10:11], v[38:39], v[30:31]
	v_fmac_f64_e32 v[14:15], v[74:75], v[30:31]
	s_waitcnt vmcnt(2)
	v_fmac_f64_e32 v[10:11], v[60:61], v[18:19]
	v_fmac_f64_e32 v[14:15], v[32:33], v[18:19]
	;; [unrolled: 5-line block ×4, first 2 shown]
	v_fmac_f64_e32 v[10:11], v[54:55], v[26:27]
	v_fmac_f64_e32 v[14:15], v[50:51], v[26:27]
	s_andn2_b64 exec, exec, s[2:3]
	s_cbranch_execnz .LBB147_15
; %bb.16:
	s_or_b64 exec, exec, s[2:3]
.LBB147_17:
	s_or_b64 exec, exec, s[4:5]
.LBB147_18:
	v_mov_b32_dpp v0, v10 row_shr:1 row_mask:0xf bank_mask:0xf
	v_mov_b32_dpp v1, v11 row_shr:1 row_mask:0xf bank_mask:0xf
	v_add_f64 v[0:1], v[10:11], v[0:1]
	v_mov_b32_dpp v10, v14 row_shr:1 row_mask:0xf bank_mask:0xf
	v_mov_b32_dpp v11, v15 row_shr:1 row_mask:0xf bank_mask:0xf
	v_add_f64 v[10:11], v[14:15], v[10:11]
	v_mov_b32_dpp v2, v0 row_shr:2 row_mask:0xf bank_mask:0xf
	v_mov_b32_dpp v3, v1 row_shr:2 row_mask:0xf bank_mask:0xf
	;; [unrolled: 1-line block ×4, first 2 shown]
	v_add_f64 v[0:1], v[0:1], v[2:3]
	v_add_f64 v[10:11], v[10:11], v[12:13]
	v_cmp_eq_u32_e32 vcc, 7, v9
	v_mov_b32_dpp v2, v0 row_shr:4 row_mask:0xf bank_mask:0xe
	v_mov_b32_dpp v3, v1 row_shr:4 row_mask:0xf bank_mask:0xe
	;; [unrolled: 1-line block ×4, first 2 shown]
	s_and_b64 exec, exec, vcc
	s_cbranch_execz .LBB147_23
; %bb.19:
	s_load_dwordx2 s[0:1], s[0:1], 0x38
	v_add_f64 v[2:3], v[0:1], v[2:3]
	v_add_f64 v[0:1], v[10:11], v[12:13]
	v_cmp_eq_f64_e32 vcc, 0, v[6:7]
	s_and_saveexec_b64 s[2:3], vcc
	s_xor_b64 s[2:3], exec, s[2:3]
	s_cbranch_execz .LBB147_21
; %bb.20:
	v_lshlrev_b32_e32 v6, 1, v8
	v_ashrrev_i32_e32 v7, 31, v6
	v_mul_f64 v[2:3], v[4:5], v[2:3]
	s_waitcnt lgkmcnt(0)
	v_lshl_add_u64 v[6:7], v[6:7], 3, s[0:1]
	v_mul_f64 v[4:5], v[4:5], v[0:1]
	global_store_dwordx4 v[6:7], v[2:5], off
                                        ; implicit-def: $vgpr8
                                        ; implicit-def: $vgpr4_vgpr5
                                        ; implicit-def: $vgpr2_vgpr3
                                        ; implicit-def: $vgpr6_vgpr7
                                        ; implicit-def: $vgpr0_vgpr1
.LBB147_21:
	s_andn2_saveexec_b64 s[2:3], s[2:3]
	s_cbranch_execz .LBB147_23
; %bb.22:
	v_lshlrev_b32_e32 v8, 1, v8
	v_ashrrev_i32_e32 v9, 31, v8
	s_waitcnt lgkmcnt(0)
	v_lshl_add_u64 v[12:13], v[8:9], 3, s[0:1]
	global_load_dwordx4 v[8:11], v[12:13], off
	v_mul_f64 v[2:3], v[4:5], v[2:3]
	v_mul_f64 v[4:5], v[4:5], v[0:1]
	s_waitcnt vmcnt(0)
	v_fmac_f64_e32 v[2:3], v[6:7], v[8:9]
	v_fmac_f64_e32 v[4:5], v[6:7], v[10:11]
	global_store_dwordx4 v[12:13], v[2:5], off
.LBB147_23:
	s_endpgm
	.section	.rodata,"a",@progbits
	.p2align	6, 0x0
	.amdhsa_kernel _ZN9rocsparseL19gebsrmvn_2xn_kernelILj128ELj16ELj8EdEEvi20rocsparse_direction_NS_24const_host_device_scalarIT2_EEPKiS6_PKS3_S8_S4_PS3_21rocsparse_index_base_b
		.amdhsa_group_segment_fixed_size 0
		.amdhsa_private_segment_fixed_size 0
		.amdhsa_kernarg_size 72
		.amdhsa_user_sgpr_count 2
		.amdhsa_user_sgpr_dispatch_ptr 0
		.amdhsa_user_sgpr_queue_ptr 0
		.amdhsa_user_sgpr_kernarg_segment_ptr 1
		.amdhsa_user_sgpr_dispatch_id 0
		.amdhsa_user_sgpr_kernarg_preload_length 0
		.amdhsa_user_sgpr_kernarg_preload_offset 0
		.amdhsa_user_sgpr_private_segment_size 0
		.amdhsa_uses_dynamic_stack 0
		.amdhsa_enable_private_segment 0
		.amdhsa_system_sgpr_workgroup_id_x 1
		.amdhsa_system_sgpr_workgroup_id_y 0
		.amdhsa_system_sgpr_workgroup_id_z 0
		.amdhsa_system_sgpr_workgroup_info 0
		.amdhsa_system_vgpr_workitem_id 0
		.amdhsa_next_free_vgpr 86
		.amdhsa_next_free_sgpr 18
		.amdhsa_accum_offset 88
		.amdhsa_reserve_vcc 1
		.amdhsa_float_round_mode_32 0
		.amdhsa_float_round_mode_16_64 0
		.amdhsa_float_denorm_mode_32 3
		.amdhsa_float_denorm_mode_16_64 3
		.amdhsa_dx10_clamp 1
		.amdhsa_ieee_mode 1
		.amdhsa_fp16_overflow 0
		.amdhsa_tg_split 0
		.amdhsa_exception_fp_ieee_invalid_op 0
		.amdhsa_exception_fp_denorm_src 0
		.amdhsa_exception_fp_ieee_div_zero 0
		.amdhsa_exception_fp_ieee_overflow 0
		.amdhsa_exception_fp_ieee_underflow 0
		.amdhsa_exception_fp_ieee_inexact 0
		.amdhsa_exception_int_div_zero 0
	.end_amdhsa_kernel
	.section	.text._ZN9rocsparseL19gebsrmvn_2xn_kernelILj128ELj16ELj8EdEEvi20rocsparse_direction_NS_24const_host_device_scalarIT2_EEPKiS6_PKS3_S8_S4_PS3_21rocsparse_index_base_b,"axG",@progbits,_ZN9rocsparseL19gebsrmvn_2xn_kernelILj128ELj16ELj8EdEEvi20rocsparse_direction_NS_24const_host_device_scalarIT2_EEPKiS6_PKS3_S8_S4_PS3_21rocsparse_index_base_b,comdat
.Lfunc_end147:
	.size	_ZN9rocsparseL19gebsrmvn_2xn_kernelILj128ELj16ELj8EdEEvi20rocsparse_direction_NS_24const_host_device_scalarIT2_EEPKiS6_PKS3_S8_S4_PS3_21rocsparse_index_base_b, .Lfunc_end147-_ZN9rocsparseL19gebsrmvn_2xn_kernelILj128ELj16ELj8EdEEvi20rocsparse_direction_NS_24const_host_device_scalarIT2_EEPKiS6_PKS3_S8_S4_PS3_21rocsparse_index_base_b
                                        ; -- End function
	.section	.AMDGPU.csdata,"",@progbits
; Kernel info:
; codeLenInByte = 1496
; NumSgprs: 24
; NumVgprs: 86
; NumAgprs: 0
; TotalNumVgprs: 86
; ScratchSize: 0
; MemoryBound: 1
; FloatMode: 240
; IeeeMode: 1
; LDSByteSize: 0 bytes/workgroup (compile time only)
; SGPRBlocks: 2
; VGPRBlocks: 10
; NumSGPRsForWavesPerEU: 24
; NumVGPRsForWavesPerEU: 86
; AccumOffset: 88
; Occupancy: 5
; WaveLimiterHint : 1
; COMPUTE_PGM_RSRC2:SCRATCH_EN: 0
; COMPUTE_PGM_RSRC2:USER_SGPR: 2
; COMPUTE_PGM_RSRC2:TRAP_HANDLER: 0
; COMPUTE_PGM_RSRC2:TGID_X_EN: 1
; COMPUTE_PGM_RSRC2:TGID_Y_EN: 0
; COMPUTE_PGM_RSRC2:TGID_Z_EN: 0
; COMPUTE_PGM_RSRC2:TIDIG_COMP_CNT: 0
; COMPUTE_PGM_RSRC3_GFX90A:ACCUM_OFFSET: 21
; COMPUTE_PGM_RSRC3_GFX90A:TG_SPLIT: 0
	.section	.text._ZN9rocsparseL19gebsrmvn_2xn_kernelILj128ELj16ELj16EdEEvi20rocsparse_direction_NS_24const_host_device_scalarIT2_EEPKiS6_PKS3_S8_S4_PS3_21rocsparse_index_base_b,"axG",@progbits,_ZN9rocsparseL19gebsrmvn_2xn_kernelILj128ELj16ELj16EdEEvi20rocsparse_direction_NS_24const_host_device_scalarIT2_EEPKiS6_PKS3_S8_S4_PS3_21rocsparse_index_base_b,comdat
	.globl	_ZN9rocsparseL19gebsrmvn_2xn_kernelILj128ELj16ELj16EdEEvi20rocsparse_direction_NS_24const_host_device_scalarIT2_EEPKiS6_PKS3_S8_S4_PS3_21rocsparse_index_base_b ; -- Begin function _ZN9rocsparseL19gebsrmvn_2xn_kernelILj128ELj16ELj16EdEEvi20rocsparse_direction_NS_24const_host_device_scalarIT2_EEPKiS6_PKS3_S8_S4_PS3_21rocsparse_index_base_b
	.p2align	8
	.type	_ZN9rocsparseL19gebsrmvn_2xn_kernelILj128ELj16ELj16EdEEvi20rocsparse_direction_NS_24const_host_device_scalarIT2_EEPKiS6_PKS3_S8_S4_PS3_21rocsparse_index_base_b,@function
_ZN9rocsparseL19gebsrmvn_2xn_kernelILj128ELj16ELj16EdEEvi20rocsparse_direction_NS_24const_host_device_scalarIT2_EEPKiS6_PKS3_S8_S4_PS3_21rocsparse_index_base_b: ; @_ZN9rocsparseL19gebsrmvn_2xn_kernelILj128ELj16ELj16EdEEvi20rocsparse_direction_NS_24const_host_device_scalarIT2_EEPKiS6_PKS3_S8_S4_PS3_21rocsparse_index_base_b
; %bb.0:
	s_load_dwordx2 s[12:13], s[0:1], 0x40
	s_load_dwordx2 s[8:9], s[0:1], 0x8
	;; [unrolled: 1-line block ×3, first 2 shown]
	s_waitcnt lgkmcnt(0)
	s_bitcmp1_b32 s13, 0
	s_cselect_b64 s[10:11], -1, 0
	s_xor_b64 s[6:7], s[10:11], -1
	s_and_b64 vcc, exec, s[10:11]
	v_mov_b64_e32 v[4:5], s[8:9]
	s_cbranch_vccnz .LBB148_2
; %bb.1:
	v_mov_b64_e32 v[2:3], s[8:9]
	flat_load_dwordx2 v[4:5], v[2:3]
.LBB148_2:
	s_andn2_b64 vcc, exec, s[6:7]
	v_mov_b64_e32 v[6:7], s[4:5]
	s_cbranch_vccnz .LBB148_4
; %bb.3:
	v_mov_b64_e32 v[2:3], s[4:5]
	flat_load_dwordx2 v[6:7], v[2:3]
.LBB148_4:
	s_waitcnt vmcnt(0) lgkmcnt(0)
	v_cmp_neq_f64_e32 vcc, 0, v[4:5]
	v_cmp_neq_f64_e64 s[4:5], 1.0, v[6:7]
	s_or_b64 s[4:5], vcc, s[4:5]
	s_and_saveexec_b64 s[6:7], s[4:5]
	s_cbranch_execz .LBB148_23
; %bb.5:
	s_load_dwordx2 s[14:15], s[0:1], 0x0
	v_lshrrev_b32_e32 v1, 4, v0
	v_lshl_or_b32 v8, s2, 3, v1
	s_waitcnt lgkmcnt(0)
	v_cmp_gt_i32_e32 vcc, s14, v8
	s_and_b64 exec, exec, vcc
	s_cbranch_execz .LBB148_23
; %bb.6:
	s_load_dwordx8 s[4:11], s[0:1], 0x10
	v_ashrrev_i32_e32 v9, 31, v8
	s_cmp_lg_u32 s15, 0
	s_waitcnt lgkmcnt(0)
	v_lshl_add_u64 v[2:3], v[8:9], 2, s[4:5]
	global_load_dwordx2 v[2:3], v[2:3], off
	v_and_b32_e32 v9, 15, v0
	s_waitcnt vmcnt(0)
	v_subrev_u32_e32 v0, s12, v2
	v_subrev_u32_e32 v22, s12, v3
	v_add_u32_e32 v14, v0, v9
	v_cmp_lt_i32_e64 s[2:3], v14, v22
	s_cbranch_scc0 .LBB148_12
; %bb.7:
	v_mov_b64_e32 v[10:11], 0
	s_mov_b64 s[4:5], 0
	v_mov_b64_e32 v[12:13], v[10:11]
	s_and_saveexec_b64 s[14:15], s[2:3]
	s_cbranch_execz .LBB148_11
; %bb.8:
	v_mov_b64_e32 v[10:11], 0
	v_lshlrev_b32_e32 v16, 5, v14
	s_mov_b64 s[16:17], 0
	v_mov_b32_e32 v17, 0
	v_mov_b32_e32 v18, v14
	v_mov_b64_e32 v[12:13], v[10:11]
.LBB148_9:                              ; =>This Inner Loop Header: Depth=1
	v_ashrrev_i32_e32 v19, 31, v18
	v_lshl_add_u64 v[20:21], v[16:17], 3, s[8:9]
	v_lshl_add_u64 v[74:75], v[18:19], 2, s[6:7]
	global_load_dwordx4 v[24:27], v[20:21], off offset:48
	global_load_dwordx4 v[28:31], v[20:21], off offset:32
	;; [unrolled: 1-line block ×3, first 2 shown]
	global_load_dwordx4 v[36:39], v[20:21], off
	global_load_dwordx4 v[0:3], v[20:21], off offset:112
	global_load_dwordx4 v[40:43], v[20:21], off offset:96
	;; [unrolled: 1-line block ×9, first 2 shown]
	global_load_dword v15, v[74:75], off
	v_mov_b32_e32 v73, v17
	v_add_u32_e32 v18, 16, v18
	v_cmp_ge_i32_e32 vcc, v18, v22
	v_add_u32_e32 v16, 0x200, v16
	s_or_b64 s[16:17], vcc, s[16:17]
	s_waitcnt vmcnt(0)
	v_subrev_u32_e32 v15, s12, v15
	v_lshlrev_b32_e32 v72, 4, v15
	v_lshl_add_u64 v[84:85], v[72:73], 3, s[10:11]
	global_load_dwordx4 v[72:75], v[84:85], off
	global_load_dwordx4 v[76:79], v[84:85], off offset:16
	s_waitcnt vmcnt(1)
	v_fmac_f64_e32 v[10:11], v[36:37], v[72:73]
	v_fmac_f64_e32 v[12:13], v[38:39], v[72:73]
	global_load_dwordx4 v[36:39], v[20:21], off offset:208
	v_fmac_f64_e32 v[10:11], v[32:33], v[74:75]
	v_fmac_f64_e32 v[12:13], v[34:35], v[74:75]
	global_load_dwordx4 v[32:35], v[20:21], off offset:192
	global_load_dwordx4 v[72:75], v[84:85], off offset:32
	s_waitcnt vmcnt(3)
	v_fmac_f64_e32 v[10:11], v[28:29], v[76:77]
	v_fmac_f64_e32 v[12:13], v[30:31], v[76:77]
	global_load_dwordx4 v[28:31], v[84:85], off offset:48
	v_fmac_f64_e32 v[10:11], v[24:25], v[78:79]
	v_fmac_f64_e32 v[12:13], v[26:27], v[78:79]
	global_load_dwordx4 v[24:27], v[84:85], off offset:64
	global_load_dwordx4 v[76:79], v[84:85], off offset:80
	s_waitcnt vmcnt(3)
	v_fmac_f64_e32 v[10:11], v[48:49], v[72:73]
	v_fmac_f64_e32 v[12:13], v[50:51], v[72:73]
	global_load_dwordx4 v[48:51], v[84:85], off offset:96
	global_load_dwordx4 v[80:83], v[84:85], off offset:112
	v_fmac_f64_e32 v[10:11], v[44:45], v[74:75]
	v_fmac_f64_e32 v[12:13], v[46:47], v[74:75]
	global_load_dwordx4 v[44:47], v[20:21], off offset:240
	s_waitcnt vmcnt(5)
	v_fmac_f64_e32 v[10:11], v[40:41], v[28:29]
	v_fmac_f64_e32 v[12:13], v[42:43], v[28:29]
	v_fmac_f64_e32 v[10:11], v[0:1], v[30:31]
	v_fmac_f64_e32 v[12:13], v[2:3], v[30:31]
	s_waitcnt vmcnt(4)
	v_fmac_f64_e32 v[10:11], v[64:65], v[24:25]
	v_fmac_f64_e32 v[12:13], v[66:67], v[24:25]
	v_fmac_f64_e32 v[10:11], v[60:61], v[26:27]
	v_fmac_f64_e32 v[12:13], v[62:63], v[26:27]
	;; [unrolled: 5-line block ×4, first 2 shown]
	s_waitcnt vmcnt(1)
	v_fmac_f64_e32 v[10:11], v[68:69], v[80:81]
	v_fmac_f64_e32 v[12:13], v[70:71], v[80:81]
	s_waitcnt vmcnt(0)
	v_fmac_f64_e32 v[10:11], v[44:45], v[82:83]
	v_fmac_f64_e32 v[12:13], v[46:47], v[82:83]
	s_andn2_b64 exec, exec, s[16:17]
	s_cbranch_execnz .LBB148_9
; %bb.10:
	s_or_b64 exec, exec, s[16:17]
.LBB148_11:
	s_or_b64 exec, exec, s[14:15]
	s_andn2_b64 vcc, exec, s[4:5]
	s_cbranch_vccz .LBB148_13
	s_branch .LBB148_18
.LBB148_12:
                                        ; implicit-def: $vgpr10_vgpr11
                                        ; implicit-def: $vgpr12_vgpr13
.LBB148_13:
	v_mov_b64_e32 v[10:11], 0
	v_mov_b64_e32 v[12:13], v[10:11]
	s_and_saveexec_b64 s[4:5], s[2:3]
	s_cbranch_execz .LBB148_17
; %bb.14:
	v_mov_b64_e32 v[10:11], 0
	v_lshlrev_b32_e32 v16, 5, v14
	s_mov_b64 s[2:3], 0
	v_mov_b32_e32 v17, 0
	v_mov_b64_e32 v[12:13], v[10:11]
.LBB148_15:                             ; =>This Inner Loop Header: Depth=1
	v_ashrrev_i32_e32 v15, 31, v14
	v_lshl_add_u64 v[18:19], v[16:17], 3, s[8:9]
	v_lshl_add_u64 v[64:65], v[14:15], 2, s[6:7]
	global_load_dwordx4 v[24:27], v[18:19], off offset:48
	global_load_dwordx4 v[28:31], v[18:19], off offset:32
	;; [unrolled: 1-line block ×3, first 2 shown]
	global_load_dwordx4 v[36:39], v[18:19], off
	global_load_dwordx4 v[0:3], v[18:19], off offset:176
	global_load_dwordx4 v[40:43], v[18:19], off offset:160
	;; [unrolled: 1-line block ×7, first 2 shown]
	global_load_dword v15, v[64:65], off
	v_mov_b32_e32 v21, v17
	v_add_u32_e32 v14, 16, v14
	v_cmp_ge_i32_e32 vcc, v14, v22
	v_add_u32_e32 v16, 0x200, v16
	s_or_b64 s[2:3], vcc, s[2:3]
	s_waitcnt vmcnt(0)
	v_subrev_u32_e32 v15, s12, v15
	v_lshlrev_b32_e32 v20, 4, v15
	v_lshl_add_u64 v[76:77], v[20:21], 3, s[10:11]
	global_load_dwordx4 v[64:67], v[76:77], off
	global_load_dwordx4 v[68:71], v[76:77], off offset:16
	s_waitcnt vmcnt(1)
	v_fmac_f64_e32 v[10:11], v[36:37], v[64:65]
	v_fmac_f64_e32 v[12:13], v[48:49], v[64:65]
	;; [unrolled: 1-line block ×4, first 2 shown]
	s_waitcnt vmcnt(0)
	v_fmac_f64_e32 v[10:11], v[32:33], v[68:69]
	v_fmac_f64_e32 v[12:13], v[44:45], v[68:69]
	global_load_dwordx4 v[36:39], v[18:19], off offset:64
	global_load_dwordx4 v[48:51], v[18:19], off offset:240
	;; [unrolled: 1-line block ×3, first 2 shown]
	v_fmac_f64_e32 v[10:11], v[34:35], v[70:71]
	global_load_dwordx4 v[32:35], v[18:19], off offset:208
	global_load_dwordx4 v[72:75], v[18:19], off offset:192
	v_fmac_f64_e32 v[12:13], v[46:47], v[70:71]
	global_load_dwordx4 v[18:21], v[76:77], off offset:32
	global_load_dwordx4 v[44:47], v[76:77], off offset:48
	s_waitcnt vmcnt(1)
	v_fmac_f64_e32 v[10:11], v[28:29], v[18:19]
	v_fmac_f64_e32 v[10:11], v[30:31], v[20:21]
	global_load_dwordx4 v[28:31], v[76:77], off offset:64
	v_fmac_f64_e32 v[12:13], v[40:41], v[18:19]
	v_fmac_f64_e32 v[12:13], v[42:43], v[20:21]
	global_load_dwordx4 v[18:21], v[76:77], off offset:80
	global_load_dwordx4 v[40:43], v[76:77], off offset:96
	s_waitcnt vmcnt(3)
	v_fmac_f64_e32 v[10:11], v[24:25], v[44:45]
	v_fmac_f64_e32 v[10:11], v[26:27], v[46:47]
	global_load_dwordx4 v[24:27], v[76:77], off offset:112
	v_fmac_f64_e32 v[12:13], v[0:1], v[44:45]
	v_fmac_f64_e32 v[12:13], v[2:3], v[46:47]
	s_waitcnt vmcnt(3)
	v_fmac_f64_e32 v[10:11], v[36:37], v[28:29]
	v_fmac_f64_e32 v[12:13], v[72:73], v[28:29]
	v_fmac_f64_e32 v[10:11], v[38:39], v[30:31]
	v_fmac_f64_e32 v[12:13], v[74:75], v[30:31]
	s_waitcnt vmcnt(2)
	v_fmac_f64_e32 v[10:11], v[60:61], v[18:19]
	v_fmac_f64_e32 v[12:13], v[32:33], v[18:19]
	;; [unrolled: 5-line block ×4, first 2 shown]
	v_fmac_f64_e32 v[10:11], v[54:55], v[26:27]
	v_fmac_f64_e32 v[12:13], v[50:51], v[26:27]
	s_andn2_b64 exec, exec, s[2:3]
	s_cbranch_execnz .LBB148_15
; %bb.16:
	s_or_b64 exec, exec, s[2:3]
.LBB148_17:
	s_or_b64 exec, exec, s[4:5]
.LBB148_18:
	v_mov_b32_dpp v0, v10 row_shr:1 row_mask:0xf bank_mask:0xf
	v_mov_b32_dpp v1, v11 row_shr:1 row_mask:0xf bank_mask:0xf
	v_add_f64 v[0:1], v[10:11], v[0:1]
	v_mov_b32_dpp v10, v12 row_shr:1 row_mask:0xf bank_mask:0xf
	v_mov_b32_dpp v11, v13 row_shr:1 row_mask:0xf bank_mask:0xf
	v_add_f64 v[10:11], v[12:13], v[10:11]
	v_mov_b32_dpp v2, v0 row_shr:2 row_mask:0xf bank_mask:0xf
	v_mov_b32_dpp v3, v1 row_shr:2 row_mask:0xf bank_mask:0xf
	;; [unrolled: 1-line block ×4, first 2 shown]
	v_add_f64 v[0:1], v[0:1], v[2:3]
	v_add_f64 v[10:11], v[10:11], v[12:13]
	v_cmp_eq_u32_e32 vcc, 15, v9
	v_mov_b32_dpp v2, v0 row_shr:4 row_mask:0xf bank_mask:0xe
	v_mov_b32_dpp v3, v1 row_shr:4 row_mask:0xf bank_mask:0xe
	;; [unrolled: 1-line block ×4, first 2 shown]
	v_add_f64 v[0:1], v[0:1], v[2:3]
	v_add_f64 v[10:11], v[10:11], v[12:13]
	s_nop 0
	v_mov_b32_dpp v2, v0 row_shr:8 row_mask:0xf bank_mask:0xc
	v_mov_b32_dpp v3, v1 row_shr:8 row_mask:0xf bank_mask:0xc
	;; [unrolled: 1-line block ×4, first 2 shown]
	s_and_b64 exec, exec, vcc
	s_cbranch_execz .LBB148_23
; %bb.19:
	s_load_dwordx2 s[0:1], s[0:1], 0x38
	v_add_f64 v[2:3], v[0:1], v[2:3]
	v_add_f64 v[0:1], v[10:11], v[12:13]
	v_cmp_eq_f64_e32 vcc, 0, v[6:7]
	s_and_saveexec_b64 s[2:3], vcc
	s_xor_b64 s[2:3], exec, s[2:3]
	s_cbranch_execz .LBB148_21
; %bb.20:
	v_lshlrev_b32_e32 v6, 1, v8
	v_ashrrev_i32_e32 v7, 31, v6
	v_mul_f64 v[2:3], v[4:5], v[2:3]
	s_waitcnt lgkmcnt(0)
	v_lshl_add_u64 v[6:7], v[6:7], 3, s[0:1]
	v_mul_f64 v[4:5], v[4:5], v[0:1]
	global_store_dwordx4 v[6:7], v[2:5], off
                                        ; implicit-def: $vgpr8
                                        ; implicit-def: $vgpr4_vgpr5
                                        ; implicit-def: $vgpr2_vgpr3
                                        ; implicit-def: $vgpr6_vgpr7
                                        ; implicit-def: $vgpr0_vgpr1
.LBB148_21:
	s_andn2_saveexec_b64 s[2:3], s[2:3]
	s_cbranch_execz .LBB148_23
; %bb.22:
	v_lshlrev_b32_e32 v8, 1, v8
	v_ashrrev_i32_e32 v9, 31, v8
	s_waitcnt lgkmcnt(0)
	v_lshl_add_u64 v[12:13], v[8:9], 3, s[0:1]
	global_load_dwordx4 v[8:11], v[12:13], off
	v_mul_f64 v[2:3], v[4:5], v[2:3]
	v_mul_f64 v[4:5], v[4:5], v[0:1]
	s_waitcnt vmcnt(0)
	v_fmac_f64_e32 v[2:3], v[6:7], v[8:9]
	v_fmac_f64_e32 v[4:5], v[6:7], v[10:11]
	global_store_dwordx4 v[12:13], v[2:5], off
.LBB148_23:
	s_endpgm
	.section	.rodata,"a",@progbits
	.p2align	6, 0x0
	.amdhsa_kernel _ZN9rocsparseL19gebsrmvn_2xn_kernelILj128ELj16ELj16EdEEvi20rocsparse_direction_NS_24const_host_device_scalarIT2_EEPKiS6_PKS3_S8_S4_PS3_21rocsparse_index_base_b
		.amdhsa_group_segment_fixed_size 0
		.amdhsa_private_segment_fixed_size 0
		.amdhsa_kernarg_size 72
		.amdhsa_user_sgpr_count 2
		.amdhsa_user_sgpr_dispatch_ptr 0
		.amdhsa_user_sgpr_queue_ptr 0
		.amdhsa_user_sgpr_kernarg_segment_ptr 1
		.amdhsa_user_sgpr_dispatch_id 0
		.amdhsa_user_sgpr_kernarg_preload_length 0
		.amdhsa_user_sgpr_kernarg_preload_offset 0
		.amdhsa_user_sgpr_private_segment_size 0
		.amdhsa_uses_dynamic_stack 0
		.amdhsa_enable_private_segment 0
		.amdhsa_system_sgpr_workgroup_id_x 1
		.amdhsa_system_sgpr_workgroup_id_y 0
		.amdhsa_system_sgpr_workgroup_id_z 0
		.amdhsa_system_sgpr_workgroup_info 0
		.amdhsa_system_vgpr_workitem_id 0
		.amdhsa_next_free_vgpr 86
		.amdhsa_next_free_sgpr 18
		.amdhsa_accum_offset 88
		.amdhsa_reserve_vcc 1
		.amdhsa_float_round_mode_32 0
		.amdhsa_float_round_mode_16_64 0
		.amdhsa_float_denorm_mode_32 3
		.amdhsa_float_denorm_mode_16_64 3
		.amdhsa_dx10_clamp 1
		.amdhsa_ieee_mode 1
		.amdhsa_fp16_overflow 0
		.amdhsa_tg_split 0
		.amdhsa_exception_fp_ieee_invalid_op 0
		.amdhsa_exception_fp_denorm_src 0
		.amdhsa_exception_fp_ieee_div_zero 0
		.amdhsa_exception_fp_ieee_overflow 0
		.amdhsa_exception_fp_ieee_underflow 0
		.amdhsa_exception_fp_ieee_inexact 0
		.amdhsa_exception_int_div_zero 0
	.end_amdhsa_kernel
	.section	.text._ZN9rocsparseL19gebsrmvn_2xn_kernelILj128ELj16ELj16EdEEvi20rocsparse_direction_NS_24const_host_device_scalarIT2_EEPKiS6_PKS3_S8_S4_PS3_21rocsparse_index_base_b,"axG",@progbits,_ZN9rocsparseL19gebsrmvn_2xn_kernelILj128ELj16ELj16EdEEvi20rocsparse_direction_NS_24const_host_device_scalarIT2_EEPKiS6_PKS3_S8_S4_PS3_21rocsparse_index_base_b,comdat
.Lfunc_end148:
	.size	_ZN9rocsparseL19gebsrmvn_2xn_kernelILj128ELj16ELj16EdEEvi20rocsparse_direction_NS_24const_host_device_scalarIT2_EEPKiS6_PKS3_S8_S4_PS3_21rocsparse_index_base_b, .Lfunc_end148-_ZN9rocsparseL19gebsrmvn_2xn_kernelILj128ELj16ELj16EdEEvi20rocsparse_direction_NS_24const_host_device_scalarIT2_EEPKiS6_PKS3_S8_S4_PS3_21rocsparse_index_base_b
                                        ; -- End function
	.section	.AMDGPU.csdata,"",@progbits
; Kernel info:
; codeLenInByte = 1548
; NumSgprs: 24
; NumVgprs: 86
; NumAgprs: 0
; TotalNumVgprs: 86
; ScratchSize: 0
; MemoryBound: 1
; FloatMode: 240
; IeeeMode: 1
; LDSByteSize: 0 bytes/workgroup (compile time only)
; SGPRBlocks: 2
; VGPRBlocks: 10
; NumSGPRsForWavesPerEU: 24
; NumVGPRsForWavesPerEU: 86
; AccumOffset: 88
; Occupancy: 5
; WaveLimiterHint : 1
; COMPUTE_PGM_RSRC2:SCRATCH_EN: 0
; COMPUTE_PGM_RSRC2:USER_SGPR: 2
; COMPUTE_PGM_RSRC2:TRAP_HANDLER: 0
; COMPUTE_PGM_RSRC2:TGID_X_EN: 1
; COMPUTE_PGM_RSRC2:TGID_Y_EN: 0
; COMPUTE_PGM_RSRC2:TGID_Z_EN: 0
; COMPUTE_PGM_RSRC2:TIDIG_COMP_CNT: 0
; COMPUTE_PGM_RSRC3_GFX90A:ACCUM_OFFSET: 21
; COMPUTE_PGM_RSRC3_GFX90A:TG_SPLIT: 0
	.section	.text._ZN9rocsparseL19gebsrmvn_2xn_kernelILj128ELj16ELj32EdEEvi20rocsparse_direction_NS_24const_host_device_scalarIT2_EEPKiS6_PKS3_S8_S4_PS3_21rocsparse_index_base_b,"axG",@progbits,_ZN9rocsparseL19gebsrmvn_2xn_kernelILj128ELj16ELj32EdEEvi20rocsparse_direction_NS_24const_host_device_scalarIT2_EEPKiS6_PKS3_S8_S4_PS3_21rocsparse_index_base_b,comdat
	.globl	_ZN9rocsparseL19gebsrmvn_2xn_kernelILj128ELj16ELj32EdEEvi20rocsparse_direction_NS_24const_host_device_scalarIT2_EEPKiS6_PKS3_S8_S4_PS3_21rocsparse_index_base_b ; -- Begin function _ZN9rocsparseL19gebsrmvn_2xn_kernelILj128ELj16ELj32EdEEvi20rocsparse_direction_NS_24const_host_device_scalarIT2_EEPKiS6_PKS3_S8_S4_PS3_21rocsparse_index_base_b
	.p2align	8
	.type	_ZN9rocsparseL19gebsrmvn_2xn_kernelILj128ELj16ELj32EdEEvi20rocsparse_direction_NS_24const_host_device_scalarIT2_EEPKiS6_PKS3_S8_S4_PS3_21rocsparse_index_base_b,@function
_ZN9rocsparseL19gebsrmvn_2xn_kernelILj128ELj16ELj32EdEEvi20rocsparse_direction_NS_24const_host_device_scalarIT2_EEPKiS6_PKS3_S8_S4_PS3_21rocsparse_index_base_b: ; @_ZN9rocsparseL19gebsrmvn_2xn_kernelILj128ELj16ELj32EdEEvi20rocsparse_direction_NS_24const_host_device_scalarIT2_EEPKiS6_PKS3_S8_S4_PS3_21rocsparse_index_base_b
; %bb.0:
	s_load_dwordx2 s[12:13], s[0:1], 0x40
	s_load_dwordx2 s[8:9], s[0:1], 0x8
	;; [unrolled: 1-line block ×3, first 2 shown]
	s_waitcnt lgkmcnt(0)
	s_bitcmp1_b32 s13, 0
	s_cselect_b64 s[10:11], -1, 0
	s_xor_b64 s[6:7], s[10:11], -1
	s_and_b64 vcc, exec, s[10:11]
	v_mov_b64_e32 v[4:5], s[8:9]
	s_cbranch_vccnz .LBB149_2
; %bb.1:
	v_mov_b64_e32 v[2:3], s[8:9]
	flat_load_dwordx2 v[4:5], v[2:3]
.LBB149_2:
	s_andn2_b64 vcc, exec, s[6:7]
	v_mov_b64_e32 v[6:7], s[4:5]
	s_cbranch_vccnz .LBB149_4
; %bb.3:
	v_mov_b64_e32 v[2:3], s[4:5]
	flat_load_dwordx2 v[6:7], v[2:3]
.LBB149_4:
	s_waitcnt vmcnt(0) lgkmcnt(0)
	v_cmp_neq_f64_e32 vcc, 0, v[4:5]
	v_cmp_neq_f64_e64 s[4:5], 1.0, v[6:7]
	s_or_b64 s[4:5], vcc, s[4:5]
	s_and_saveexec_b64 s[6:7], s[4:5]
	s_cbranch_execz .LBB149_23
; %bb.5:
	s_load_dwordx2 s[14:15], s[0:1], 0x0
	v_lshrrev_b32_e32 v1, 5, v0
	v_lshl_or_b32 v8, s2, 2, v1
	s_waitcnt lgkmcnt(0)
	v_cmp_gt_i32_e32 vcc, s14, v8
	s_and_b64 exec, exec, vcc
	s_cbranch_execz .LBB149_23
; %bb.6:
	s_load_dwordx8 s[4:11], s[0:1], 0x10
	v_ashrrev_i32_e32 v9, 31, v8
	s_cmp_lg_u32 s15, 0
	s_waitcnt lgkmcnt(0)
	v_lshl_add_u64 v[2:3], v[8:9], 2, s[4:5]
	global_load_dwordx2 v[2:3], v[2:3], off
	v_and_b32_e32 v9, 31, v0
	s_waitcnt vmcnt(0)
	v_subrev_u32_e32 v0, s12, v2
	v_subrev_u32_e32 v22, s12, v3
	v_add_u32_e32 v14, v0, v9
	v_cmp_lt_i32_e64 s[2:3], v14, v22
	s_cbranch_scc0 .LBB149_12
; %bb.7:
	v_mov_b64_e32 v[12:13], 0
	s_mov_b64 s[4:5], 0
	v_mov_b64_e32 v[10:11], v[12:13]
	s_and_saveexec_b64 s[14:15], s[2:3]
	s_cbranch_execz .LBB149_11
; %bb.8:
	v_mov_b64_e32 v[12:13], 0
	v_lshlrev_b32_e32 v16, 5, v14
	s_mov_b64 s[16:17], 0
	v_mov_b32_e32 v17, 0
	v_mov_b32_e32 v18, v14
	v_mov_b64_e32 v[10:11], v[12:13]
.LBB149_9:                              ; =>This Inner Loop Header: Depth=1
	v_ashrrev_i32_e32 v19, 31, v18
	v_lshl_add_u64 v[20:21], v[16:17], 3, s[8:9]
	v_lshl_add_u64 v[74:75], v[18:19], 2, s[6:7]
	global_load_dwordx4 v[24:27], v[20:21], off offset:48
	global_load_dwordx4 v[28:31], v[20:21], off offset:32
	;; [unrolled: 1-line block ×3, first 2 shown]
	global_load_dwordx4 v[36:39], v[20:21], off
	global_load_dwordx4 v[0:3], v[20:21], off offset:112
	global_load_dwordx4 v[40:43], v[20:21], off offset:96
	;; [unrolled: 1-line block ×9, first 2 shown]
	global_load_dword v15, v[74:75], off
	v_mov_b32_e32 v73, v17
	v_add_u32_e32 v18, 32, v18
	v_cmp_ge_i32_e32 vcc, v18, v22
	v_add_u32_e32 v16, 0x400, v16
	s_or_b64 s[16:17], vcc, s[16:17]
	s_waitcnt vmcnt(0)
	v_subrev_u32_e32 v15, s12, v15
	v_lshlrev_b32_e32 v72, 4, v15
	v_lshl_add_u64 v[84:85], v[72:73], 3, s[10:11]
	global_load_dwordx4 v[72:75], v[84:85], off
	global_load_dwordx4 v[76:79], v[84:85], off offset:16
	s_waitcnt vmcnt(1)
	v_fmac_f64_e32 v[12:13], v[36:37], v[72:73]
	v_fmac_f64_e32 v[10:11], v[38:39], v[72:73]
	global_load_dwordx4 v[36:39], v[20:21], off offset:208
	v_fmac_f64_e32 v[12:13], v[32:33], v[74:75]
	v_fmac_f64_e32 v[10:11], v[34:35], v[74:75]
	global_load_dwordx4 v[32:35], v[20:21], off offset:192
	global_load_dwordx4 v[72:75], v[84:85], off offset:32
	s_waitcnt vmcnt(3)
	v_fmac_f64_e32 v[12:13], v[28:29], v[76:77]
	v_fmac_f64_e32 v[10:11], v[30:31], v[76:77]
	global_load_dwordx4 v[28:31], v[84:85], off offset:48
	v_fmac_f64_e32 v[12:13], v[24:25], v[78:79]
	v_fmac_f64_e32 v[10:11], v[26:27], v[78:79]
	global_load_dwordx4 v[24:27], v[84:85], off offset:64
	global_load_dwordx4 v[76:79], v[84:85], off offset:80
	s_waitcnt vmcnt(3)
	v_fmac_f64_e32 v[12:13], v[48:49], v[72:73]
	v_fmac_f64_e32 v[10:11], v[50:51], v[72:73]
	global_load_dwordx4 v[48:51], v[84:85], off offset:96
	global_load_dwordx4 v[80:83], v[84:85], off offset:112
	v_fmac_f64_e32 v[12:13], v[44:45], v[74:75]
	v_fmac_f64_e32 v[10:11], v[46:47], v[74:75]
	global_load_dwordx4 v[44:47], v[20:21], off offset:240
	s_waitcnt vmcnt(5)
	v_fmac_f64_e32 v[12:13], v[40:41], v[28:29]
	v_fmac_f64_e32 v[10:11], v[42:43], v[28:29]
	v_fmac_f64_e32 v[12:13], v[0:1], v[30:31]
	v_fmac_f64_e32 v[10:11], v[2:3], v[30:31]
	s_waitcnt vmcnt(4)
	v_fmac_f64_e32 v[12:13], v[64:65], v[24:25]
	v_fmac_f64_e32 v[10:11], v[66:67], v[24:25]
	v_fmac_f64_e32 v[12:13], v[60:61], v[26:27]
	v_fmac_f64_e32 v[10:11], v[62:63], v[26:27]
	;; [unrolled: 5-line block ×4, first 2 shown]
	s_waitcnt vmcnt(1)
	v_fmac_f64_e32 v[12:13], v[68:69], v[80:81]
	v_fmac_f64_e32 v[10:11], v[70:71], v[80:81]
	s_waitcnt vmcnt(0)
	v_fmac_f64_e32 v[12:13], v[44:45], v[82:83]
	v_fmac_f64_e32 v[10:11], v[46:47], v[82:83]
	s_andn2_b64 exec, exec, s[16:17]
	s_cbranch_execnz .LBB149_9
; %bb.10:
	s_or_b64 exec, exec, s[16:17]
.LBB149_11:
	s_or_b64 exec, exec, s[14:15]
	s_andn2_b64 vcc, exec, s[4:5]
	s_cbranch_vccz .LBB149_13
	s_branch .LBB149_18
.LBB149_12:
                                        ; implicit-def: $vgpr12_vgpr13
                                        ; implicit-def: $vgpr10_vgpr11
.LBB149_13:
	v_mov_b64_e32 v[12:13], 0
	v_mov_b64_e32 v[10:11], v[12:13]
	s_and_saveexec_b64 s[4:5], s[2:3]
	s_cbranch_execz .LBB149_17
; %bb.14:
	v_mov_b64_e32 v[12:13], 0
	v_lshlrev_b32_e32 v16, 5, v14
	s_mov_b64 s[2:3], 0
	v_mov_b32_e32 v17, 0
	v_mov_b64_e32 v[10:11], v[12:13]
.LBB149_15:                             ; =>This Inner Loop Header: Depth=1
	v_ashrrev_i32_e32 v15, 31, v14
	v_lshl_add_u64 v[18:19], v[16:17], 3, s[8:9]
	v_lshl_add_u64 v[64:65], v[14:15], 2, s[6:7]
	global_load_dwordx4 v[24:27], v[18:19], off offset:48
	global_load_dwordx4 v[28:31], v[18:19], off offset:32
	;; [unrolled: 1-line block ×3, first 2 shown]
	global_load_dwordx4 v[36:39], v[18:19], off
	global_load_dwordx4 v[0:3], v[18:19], off offset:176
	global_load_dwordx4 v[40:43], v[18:19], off offset:160
	;; [unrolled: 1-line block ×7, first 2 shown]
	global_load_dword v15, v[64:65], off
	v_mov_b32_e32 v21, v17
	v_add_u32_e32 v14, 32, v14
	v_cmp_ge_i32_e32 vcc, v14, v22
	v_add_u32_e32 v16, 0x400, v16
	s_or_b64 s[2:3], vcc, s[2:3]
	s_waitcnt vmcnt(0)
	v_subrev_u32_e32 v15, s12, v15
	v_lshlrev_b32_e32 v20, 4, v15
	v_lshl_add_u64 v[76:77], v[20:21], 3, s[10:11]
	global_load_dwordx4 v[64:67], v[76:77], off
	global_load_dwordx4 v[68:71], v[76:77], off offset:16
	s_waitcnt vmcnt(1)
	v_fmac_f64_e32 v[12:13], v[36:37], v[64:65]
	v_fmac_f64_e32 v[10:11], v[48:49], v[64:65]
	v_fmac_f64_e32 v[12:13], v[38:39], v[66:67]
	v_fmac_f64_e32 v[10:11], v[50:51], v[66:67]
	s_waitcnt vmcnt(0)
	v_fmac_f64_e32 v[12:13], v[32:33], v[68:69]
	v_fmac_f64_e32 v[10:11], v[44:45], v[68:69]
	global_load_dwordx4 v[36:39], v[18:19], off offset:64
	global_load_dwordx4 v[48:51], v[18:19], off offset:240
	;; [unrolled: 1-line block ×3, first 2 shown]
	v_fmac_f64_e32 v[12:13], v[34:35], v[70:71]
	global_load_dwordx4 v[32:35], v[18:19], off offset:208
	global_load_dwordx4 v[72:75], v[18:19], off offset:192
	v_fmac_f64_e32 v[10:11], v[46:47], v[70:71]
	global_load_dwordx4 v[18:21], v[76:77], off offset:32
	global_load_dwordx4 v[44:47], v[76:77], off offset:48
	s_waitcnt vmcnt(1)
	v_fmac_f64_e32 v[12:13], v[28:29], v[18:19]
	v_fmac_f64_e32 v[12:13], v[30:31], v[20:21]
	global_load_dwordx4 v[28:31], v[76:77], off offset:64
	v_fmac_f64_e32 v[10:11], v[40:41], v[18:19]
	v_fmac_f64_e32 v[10:11], v[42:43], v[20:21]
	global_load_dwordx4 v[18:21], v[76:77], off offset:80
	global_load_dwordx4 v[40:43], v[76:77], off offset:96
	s_waitcnt vmcnt(3)
	v_fmac_f64_e32 v[12:13], v[24:25], v[44:45]
	v_fmac_f64_e32 v[12:13], v[26:27], v[46:47]
	global_load_dwordx4 v[24:27], v[76:77], off offset:112
	v_fmac_f64_e32 v[10:11], v[0:1], v[44:45]
	v_fmac_f64_e32 v[10:11], v[2:3], v[46:47]
	s_waitcnt vmcnt(3)
	v_fmac_f64_e32 v[12:13], v[36:37], v[28:29]
	v_fmac_f64_e32 v[10:11], v[72:73], v[28:29]
	v_fmac_f64_e32 v[12:13], v[38:39], v[30:31]
	v_fmac_f64_e32 v[10:11], v[74:75], v[30:31]
	s_waitcnt vmcnt(2)
	v_fmac_f64_e32 v[12:13], v[60:61], v[18:19]
	v_fmac_f64_e32 v[10:11], v[32:33], v[18:19]
	;; [unrolled: 5-line block ×4, first 2 shown]
	v_fmac_f64_e32 v[12:13], v[54:55], v[26:27]
	v_fmac_f64_e32 v[10:11], v[50:51], v[26:27]
	s_andn2_b64 exec, exec, s[2:3]
	s_cbranch_execnz .LBB149_15
; %bb.16:
	s_or_b64 exec, exec, s[2:3]
.LBB149_17:
	s_or_b64 exec, exec, s[4:5]
.LBB149_18:
	v_mov_b32_dpp v0, v12 row_shr:1 row_mask:0xf bank_mask:0xf
	v_mov_b32_dpp v1, v13 row_shr:1 row_mask:0xf bank_mask:0xf
	v_add_f64 v[0:1], v[12:13], v[0:1]
	v_mov_b32_dpp v12, v10 row_shr:1 row_mask:0xf bank_mask:0xf
	v_mov_b32_dpp v13, v11 row_shr:1 row_mask:0xf bank_mask:0xf
	v_add_f64 v[10:11], v[10:11], v[12:13]
	v_mov_b32_dpp v2, v0 row_shr:2 row_mask:0xf bank_mask:0xf
	v_mov_b32_dpp v3, v1 row_shr:2 row_mask:0xf bank_mask:0xf
	;; [unrolled: 1-line block ×4, first 2 shown]
	v_add_f64 v[0:1], v[0:1], v[2:3]
	v_add_f64 v[10:11], v[10:11], v[12:13]
	v_cmp_eq_u32_e32 vcc, 31, v9
	v_mov_b32_dpp v2, v0 row_shr:4 row_mask:0xf bank_mask:0xe
	v_mov_b32_dpp v3, v1 row_shr:4 row_mask:0xf bank_mask:0xe
	;; [unrolled: 1-line block ×4, first 2 shown]
	v_add_f64 v[0:1], v[0:1], v[2:3]
	v_add_f64 v[10:11], v[10:11], v[12:13]
	s_nop 0
	v_mov_b32_dpp v2, v0 row_shr:8 row_mask:0xf bank_mask:0xc
	v_mov_b32_dpp v3, v1 row_shr:8 row_mask:0xf bank_mask:0xc
	;; [unrolled: 1-line block ×4, first 2 shown]
	v_add_f64 v[0:1], v[0:1], v[2:3]
	v_add_f64 v[10:11], v[10:11], v[12:13]
	s_nop 0
	v_mov_b32_dpp v2, v0 row_bcast:15 row_mask:0xa bank_mask:0xf
	v_mov_b32_dpp v3, v1 row_bcast:15 row_mask:0xa bank_mask:0xf
	;; [unrolled: 1-line block ×4, first 2 shown]
	s_and_b64 exec, exec, vcc
	s_cbranch_execz .LBB149_23
; %bb.19:
	s_load_dwordx2 s[0:1], s[0:1], 0x38
	v_add_f64 v[2:3], v[0:1], v[2:3]
	v_add_f64 v[0:1], v[10:11], v[12:13]
	v_cmp_eq_f64_e32 vcc, 0, v[6:7]
	s_and_saveexec_b64 s[2:3], vcc
	s_xor_b64 s[2:3], exec, s[2:3]
	s_cbranch_execz .LBB149_21
; %bb.20:
	v_lshlrev_b32_e32 v6, 1, v8
	v_ashrrev_i32_e32 v7, 31, v6
	v_mul_f64 v[2:3], v[4:5], v[2:3]
	s_waitcnt lgkmcnt(0)
	v_lshl_add_u64 v[6:7], v[6:7], 3, s[0:1]
	v_mul_f64 v[4:5], v[4:5], v[0:1]
	global_store_dwordx4 v[6:7], v[2:5], off
                                        ; implicit-def: $vgpr8
                                        ; implicit-def: $vgpr4_vgpr5
                                        ; implicit-def: $vgpr2_vgpr3
                                        ; implicit-def: $vgpr6_vgpr7
                                        ; implicit-def: $vgpr0_vgpr1
.LBB149_21:
	s_andn2_saveexec_b64 s[2:3], s[2:3]
	s_cbranch_execz .LBB149_23
; %bb.22:
	v_lshlrev_b32_e32 v8, 1, v8
	v_ashrrev_i32_e32 v9, 31, v8
	s_waitcnt lgkmcnt(0)
	v_lshl_add_u64 v[12:13], v[8:9], 3, s[0:1]
	global_load_dwordx4 v[8:11], v[12:13], off
	v_mul_f64 v[2:3], v[4:5], v[2:3]
	v_mul_f64 v[4:5], v[4:5], v[0:1]
	s_waitcnt vmcnt(0)
	v_fmac_f64_e32 v[2:3], v[6:7], v[8:9]
	v_fmac_f64_e32 v[4:5], v[6:7], v[10:11]
	global_store_dwordx4 v[12:13], v[2:5], off
.LBB149_23:
	s_endpgm
	.section	.rodata,"a",@progbits
	.p2align	6, 0x0
	.amdhsa_kernel _ZN9rocsparseL19gebsrmvn_2xn_kernelILj128ELj16ELj32EdEEvi20rocsparse_direction_NS_24const_host_device_scalarIT2_EEPKiS6_PKS3_S8_S4_PS3_21rocsparse_index_base_b
		.amdhsa_group_segment_fixed_size 0
		.amdhsa_private_segment_fixed_size 0
		.amdhsa_kernarg_size 72
		.amdhsa_user_sgpr_count 2
		.amdhsa_user_sgpr_dispatch_ptr 0
		.amdhsa_user_sgpr_queue_ptr 0
		.amdhsa_user_sgpr_kernarg_segment_ptr 1
		.amdhsa_user_sgpr_dispatch_id 0
		.amdhsa_user_sgpr_kernarg_preload_length 0
		.amdhsa_user_sgpr_kernarg_preload_offset 0
		.amdhsa_user_sgpr_private_segment_size 0
		.amdhsa_uses_dynamic_stack 0
		.amdhsa_enable_private_segment 0
		.amdhsa_system_sgpr_workgroup_id_x 1
		.amdhsa_system_sgpr_workgroup_id_y 0
		.amdhsa_system_sgpr_workgroup_id_z 0
		.amdhsa_system_sgpr_workgroup_info 0
		.amdhsa_system_vgpr_workitem_id 0
		.amdhsa_next_free_vgpr 86
		.amdhsa_next_free_sgpr 18
		.amdhsa_accum_offset 88
		.amdhsa_reserve_vcc 1
		.amdhsa_float_round_mode_32 0
		.amdhsa_float_round_mode_16_64 0
		.amdhsa_float_denorm_mode_32 3
		.amdhsa_float_denorm_mode_16_64 3
		.amdhsa_dx10_clamp 1
		.amdhsa_ieee_mode 1
		.amdhsa_fp16_overflow 0
		.amdhsa_tg_split 0
		.amdhsa_exception_fp_ieee_invalid_op 0
		.amdhsa_exception_fp_denorm_src 0
		.amdhsa_exception_fp_ieee_div_zero 0
		.amdhsa_exception_fp_ieee_overflow 0
		.amdhsa_exception_fp_ieee_underflow 0
		.amdhsa_exception_fp_ieee_inexact 0
		.amdhsa_exception_int_div_zero 0
	.end_amdhsa_kernel
	.section	.text._ZN9rocsparseL19gebsrmvn_2xn_kernelILj128ELj16ELj32EdEEvi20rocsparse_direction_NS_24const_host_device_scalarIT2_EEPKiS6_PKS3_S8_S4_PS3_21rocsparse_index_base_b,"axG",@progbits,_ZN9rocsparseL19gebsrmvn_2xn_kernelILj128ELj16ELj32EdEEvi20rocsparse_direction_NS_24const_host_device_scalarIT2_EEPKiS6_PKS3_S8_S4_PS3_21rocsparse_index_base_b,comdat
.Lfunc_end149:
	.size	_ZN9rocsparseL19gebsrmvn_2xn_kernelILj128ELj16ELj32EdEEvi20rocsparse_direction_NS_24const_host_device_scalarIT2_EEPKiS6_PKS3_S8_S4_PS3_21rocsparse_index_base_b, .Lfunc_end149-_ZN9rocsparseL19gebsrmvn_2xn_kernelILj128ELj16ELj32EdEEvi20rocsparse_direction_NS_24const_host_device_scalarIT2_EEPKiS6_PKS3_S8_S4_PS3_21rocsparse_index_base_b
                                        ; -- End function
	.section	.AMDGPU.csdata,"",@progbits
; Kernel info:
; codeLenInByte = 1600
; NumSgprs: 24
; NumVgprs: 86
; NumAgprs: 0
; TotalNumVgprs: 86
; ScratchSize: 0
; MemoryBound: 1
; FloatMode: 240
; IeeeMode: 1
; LDSByteSize: 0 bytes/workgroup (compile time only)
; SGPRBlocks: 2
; VGPRBlocks: 10
; NumSGPRsForWavesPerEU: 24
; NumVGPRsForWavesPerEU: 86
; AccumOffset: 88
; Occupancy: 5
; WaveLimiterHint : 1
; COMPUTE_PGM_RSRC2:SCRATCH_EN: 0
; COMPUTE_PGM_RSRC2:USER_SGPR: 2
; COMPUTE_PGM_RSRC2:TRAP_HANDLER: 0
; COMPUTE_PGM_RSRC2:TGID_X_EN: 1
; COMPUTE_PGM_RSRC2:TGID_Y_EN: 0
; COMPUTE_PGM_RSRC2:TGID_Z_EN: 0
; COMPUTE_PGM_RSRC2:TIDIG_COMP_CNT: 0
; COMPUTE_PGM_RSRC3_GFX90A:ACCUM_OFFSET: 21
; COMPUTE_PGM_RSRC3_GFX90A:TG_SPLIT: 0
	.section	.text._ZN9rocsparseL19gebsrmvn_2xn_kernelILj128ELj16ELj64EdEEvi20rocsparse_direction_NS_24const_host_device_scalarIT2_EEPKiS6_PKS3_S8_S4_PS3_21rocsparse_index_base_b,"axG",@progbits,_ZN9rocsparseL19gebsrmvn_2xn_kernelILj128ELj16ELj64EdEEvi20rocsparse_direction_NS_24const_host_device_scalarIT2_EEPKiS6_PKS3_S8_S4_PS3_21rocsparse_index_base_b,comdat
	.globl	_ZN9rocsparseL19gebsrmvn_2xn_kernelILj128ELj16ELj64EdEEvi20rocsparse_direction_NS_24const_host_device_scalarIT2_EEPKiS6_PKS3_S8_S4_PS3_21rocsparse_index_base_b ; -- Begin function _ZN9rocsparseL19gebsrmvn_2xn_kernelILj128ELj16ELj64EdEEvi20rocsparse_direction_NS_24const_host_device_scalarIT2_EEPKiS6_PKS3_S8_S4_PS3_21rocsparse_index_base_b
	.p2align	8
	.type	_ZN9rocsparseL19gebsrmvn_2xn_kernelILj128ELj16ELj64EdEEvi20rocsparse_direction_NS_24const_host_device_scalarIT2_EEPKiS6_PKS3_S8_S4_PS3_21rocsparse_index_base_b,@function
_ZN9rocsparseL19gebsrmvn_2xn_kernelILj128ELj16ELj64EdEEvi20rocsparse_direction_NS_24const_host_device_scalarIT2_EEPKiS6_PKS3_S8_S4_PS3_21rocsparse_index_base_b: ; @_ZN9rocsparseL19gebsrmvn_2xn_kernelILj128ELj16ELj64EdEEvi20rocsparse_direction_NS_24const_host_device_scalarIT2_EEPKiS6_PKS3_S8_S4_PS3_21rocsparse_index_base_b
; %bb.0:
	s_load_dwordx2 s[12:13], s[0:1], 0x40
	s_load_dwordx2 s[8:9], s[0:1], 0x8
	;; [unrolled: 1-line block ×3, first 2 shown]
	s_waitcnt lgkmcnt(0)
	s_bitcmp1_b32 s13, 0
	s_cselect_b64 s[10:11], -1, 0
	s_xor_b64 s[6:7], s[10:11], -1
	s_and_b64 vcc, exec, s[10:11]
	v_mov_b64_e32 v[4:5], s[8:9]
	s_cbranch_vccnz .LBB150_2
; %bb.1:
	v_mov_b64_e32 v[2:3], s[8:9]
	flat_load_dwordx2 v[4:5], v[2:3]
.LBB150_2:
	s_andn2_b64 vcc, exec, s[6:7]
	v_mov_b64_e32 v[6:7], s[4:5]
	s_cbranch_vccnz .LBB150_4
; %bb.3:
	v_mov_b64_e32 v[2:3], s[4:5]
	flat_load_dwordx2 v[6:7], v[2:3]
.LBB150_4:
	s_waitcnt vmcnt(0) lgkmcnt(0)
	v_cmp_neq_f64_e32 vcc, 0, v[4:5]
	v_cmp_neq_f64_e64 s[4:5], 1.0, v[6:7]
	s_or_b64 s[4:5], vcc, s[4:5]
	s_and_saveexec_b64 s[6:7], s[4:5]
	s_cbranch_execz .LBB150_23
; %bb.5:
	s_load_dwordx2 s[14:15], s[0:1], 0x0
	v_lshrrev_b32_e32 v1, 6, v0
	v_lshl_or_b32 v8, s2, 1, v1
	s_waitcnt lgkmcnt(0)
	v_cmp_gt_i32_e32 vcc, s14, v8
	s_and_b64 exec, exec, vcc
	s_cbranch_execz .LBB150_23
; %bb.6:
	s_load_dwordx8 s[4:11], s[0:1], 0x10
	v_ashrrev_i32_e32 v9, 31, v8
	s_cmp_lg_u32 s15, 0
	s_waitcnt lgkmcnt(0)
	v_lshl_add_u64 v[2:3], v[8:9], 2, s[4:5]
	global_load_dwordx2 v[2:3], v[2:3], off
	v_and_b32_e32 v9, 63, v0
	s_waitcnt vmcnt(0)
	v_subrev_u32_e32 v0, s12, v2
	v_subrev_u32_e32 v22, s12, v3
	v_add_u32_e32 v14, v0, v9
	v_cmp_lt_i32_e64 s[2:3], v14, v22
	s_cbranch_scc0 .LBB150_12
; %bb.7:
	v_mov_b64_e32 v[12:13], 0
	s_mov_b64 s[4:5], 0
	v_mov_b64_e32 v[10:11], v[12:13]
	s_and_saveexec_b64 s[14:15], s[2:3]
	s_cbranch_execz .LBB150_11
; %bb.8:
	v_mov_b64_e32 v[12:13], 0
	v_lshlrev_b32_e32 v16, 5, v14
	s_mov_b64 s[16:17], 0
	v_mov_b32_e32 v17, 0
	v_mov_b32_e32 v18, v14
	v_mov_b64_e32 v[10:11], v[12:13]
.LBB150_9:                              ; =>This Inner Loop Header: Depth=1
	v_ashrrev_i32_e32 v19, 31, v18
	v_lshl_add_u64 v[20:21], v[16:17], 3, s[8:9]
	v_lshl_add_u64 v[74:75], v[18:19], 2, s[6:7]
	global_load_dwordx4 v[24:27], v[20:21], off offset:48
	global_load_dwordx4 v[28:31], v[20:21], off offset:32
	;; [unrolled: 1-line block ×3, first 2 shown]
	global_load_dwordx4 v[36:39], v[20:21], off
	global_load_dwordx4 v[0:3], v[20:21], off offset:112
	global_load_dwordx4 v[40:43], v[20:21], off offset:96
	;; [unrolled: 1-line block ×9, first 2 shown]
	global_load_dword v15, v[74:75], off
	v_mov_b32_e32 v73, v17
	v_add_u32_e32 v18, 64, v18
	v_cmp_ge_i32_e32 vcc, v18, v22
	v_add_u32_e32 v16, 0x800, v16
	s_or_b64 s[16:17], vcc, s[16:17]
	s_waitcnt vmcnt(0)
	v_subrev_u32_e32 v15, s12, v15
	v_lshlrev_b32_e32 v72, 4, v15
	v_lshl_add_u64 v[84:85], v[72:73], 3, s[10:11]
	global_load_dwordx4 v[72:75], v[84:85], off
	global_load_dwordx4 v[76:79], v[84:85], off offset:16
	s_waitcnt vmcnt(1)
	v_fmac_f64_e32 v[12:13], v[36:37], v[72:73]
	v_fmac_f64_e32 v[10:11], v[38:39], v[72:73]
	global_load_dwordx4 v[36:39], v[20:21], off offset:208
	v_fmac_f64_e32 v[12:13], v[32:33], v[74:75]
	v_fmac_f64_e32 v[10:11], v[34:35], v[74:75]
	global_load_dwordx4 v[32:35], v[20:21], off offset:192
	global_load_dwordx4 v[72:75], v[84:85], off offset:32
	s_waitcnt vmcnt(3)
	v_fmac_f64_e32 v[12:13], v[28:29], v[76:77]
	v_fmac_f64_e32 v[10:11], v[30:31], v[76:77]
	global_load_dwordx4 v[28:31], v[84:85], off offset:48
	v_fmac_f64_e32 v[12:13], v[24:25], v[78:79]
	v_fmac_f64_e32 v[10:11], v[26:27], v[78:79]
	global_load_dwordx4 v[24:27], v[84:85], off offset:64
	global_load_dwordx4 v[76:79], v[84:85], off offset:80
	s_waitcnt vmcnt(3)
	v_fmac_f64_e32 v[12:13], v[48:49], v[72:73]
	v_fmac_f64_e32 v[10:11], v[50:51], v[72:73]
	global_load_dwordx4 v[48:51], v[84:85], off offset:96
	global_load_dwordx4 v[80:83], v[84:85], off offset:112
	v_fmac_f64_e32 v[12:13], v[44:45], v[74:75]
	v_fmac_f64_e32 v[10:11], v[46:47], v[74:75]
	global_load_dwordx4 v[44:47], v[20:21], off offset:240
	s_waitcnt vmcnt(5)
	v_fmac_f64_e32 v[12:13], v[40:41], v[28:29]
	v_fmac_f64_e32 v[10:11], v[42:43], v[28:29]
	v_fmac_f64_e32 v[12:13], v[0:1], v[30:31]
	v_fmac_f64_e32 v[10:11], v[2:3], v[30:31]
	s_waitcnt vmcnt(4)
	v_fmac_f64_e32 v[12:13], v[64:65], v[24:25]
	v_fmac_f64_e32 v[10:11], v[66:67], v[24:25]
	v_fmac_f64_e32 v[12:13], v[60:61], v[26:27]
	v_fmac_f64_e32 v[10:11], v[62:63], v[26:27]
	;; [unrolled: 5-line block ×4, first 2 shown]
	s_waitcnt vmcnt(1)
	v_fmac_f64_e32 v[12:13], v[68:69], v[80:81]
	v_fmac_f64_e32 v[10:11], v[70:71], v[80:81]
	s_waitcnt vmcnt(0)
	v_fmac_f64_e32 v[12:13], v[44:45], v[82:83]
	v_fmac_f64_e32 v[10:11], v[46:47], v[82:83]
	s_andn2_b64 exec, exec, s[16:17]
	s_cbranch_execnz .LBB150_9
; %bb.10:
	s_or_b64 exec, exec, s[16:17]
.LBB150_11:
	s_or_b64 exec, exec, s[14:15]
	s_andn2_b64 vcc, exec, s[4:5]
	s_cbranch_vccz .LBB150_13
	s_branch .LBB150_18
.LBB150_12:
                                        ; implicit-def: $vgpr12_vgpr13
                                        ; implicit-def: $vgpr10_vgpr11
.LBB150_13:
	v_mov_b64_e32 v[12:13], 0
	v_mov_b64_e32 v[10:11], v[12:13]
	s_and_saveexec_b64 s[4:5], s[2:3]
	s_cbranch_execz .LBB150_17
; %bb.14:
	v_mov_b64_e32 v[12:13], 0
	v_lshlrev_b32_e32 v16, 5, v14
	s_mov_b64 s[2:3], 0
	v_mov_b32_e32 v17, 0
	v_mov_b64_e32 v[10:11], v[12:13]
.LBB150_15:                             ; =>This Inner Loop Header: Depth=1
	v_ashrrev_i32_e32 v15, 31, v14
	v_lshl_add_u64 v[18:19], v[16:17], 3, s[8:9]
	v_lshl_add_u64 v[64:65], v[14:15], 2, s[6:7]
	global_load_dwordx4 v[24:27], v[18:19], off offset:48
	global_load_dwordx4 v[28:31], v[18:19], off offset:32
	;; [unrolled: 1-line block ×3, first 2 shown]
	global_load_dwordx4 v[36:39], v[18:19], off
	global_load_dwordx4 v[0:3], v[18:19], off offset:176
	global_load_dwordx4 v[40:43], v[18:19], off offset:160
	;; [unrolled: 1-line block ×7, first 2 shown]
	global_load_dword v15, v[64:65], off
	v_mov_b32_e32 v21, v17
	v_add_u32_e32 v14, 64, v14
	v_cmp_ge_i32_e32 vcc, v14, v22
	v_add_u32_e32 v16, 0x800, v16
	s_or_b64 s[2:3], vcc, s[2:3]
	s_waitcnt vmcnt(0)
	v_subrev_u32_e32 v15, s12, v15
	v_lshlrev_b32_e32 v20, 4, v15
	v_lshl_add_u64 v[76:77], v[20:21], 3, s[10:11]
	global_load_dwordx4 v[64:67], v[76:77], off
	global_load_dwordx4 v[68:71], v[76:77], off offset:16
	s_waitcnt vmcnt(1)
	v_fmac_f64_e32 v[12:13], v[36:37], v[64:65]
	v_fmac_f64_e32 v[10:11], v[48:49], v[64:65]
	;; [unrolled: 1-line block ×4, first 2 shown]
	s_waitcnt vmcnt(0)
	v_fmac_f64_e32 v[12:13], v[32:33], v[68:69]
	v_fmac_f64_e32 v[10:11], v[44:45], v[68:69]
	global_load_dwordx4 v[36:39], v[18:19], off offset:64
	global_load_dwordx4 v[48:51], v[18:19], off offset:240
	global_load_dwordx4 v[64:67], v[18:19], off offset:224
	v_fmac_f64_e32 v[12:13], v[34:35], v[70:71]
	global_load_dwordx4 v[32:35], v[18:19], off offset:208
	global_load_dwordx4 v[72:75], v[18:19], off offset:192
	v_fmac_f64_e32 v[10:11], v[46:47], v[70:71]
	global_load_dwordx4 v[18:21], v[76:77], off offset:32
	global_load_dwordx4 v[44:47], v[76:77], off offset:48
	s_waitcnt vmcnt(1)
	v_fmac_f64_e32 v[12:13], v[28:29], v[18:19]
	v_fmac_f64_e32 v[12:13], v[30:31], v[20:21]
	global_load_dwordx4 v[28:31], v[76:77], off offset:64
	v_fmac_f64_e32 v[10:11], v[40:41], v[18:19]
	v_fmac_f64_e32 v[10:11], v[42:43], v[20:21]
	global_load_dwordx4 v[18:21], v[76:77], off offset:80
	global_load_dwordx4 v[40:43], v[76:77], off offset:96
	s_waitcnt vmcnt(3)
	v_fmac_f64_e32 v[12:13], v[24:25], v[44:45]
	v_fmac_f64_e32 v[12:13], v[26:27], v[46:47]
	global_load_dwordx4 v[24:27], v[76:77], off offset:112
	v_fmac_f64_e32 v[10:11], v[0:1], v[44:45]
	v_fmac_f64_e32 v[10:11], v[2:3], v[46:47]
	s_waitcnt vmcnt(3)
	v_fmac_f64_e32 v[12:13], v[36:37], v[28:29]
	v_fmac_f64_e32 v[10:11], v[72:73], v[28:29]
	v_fmac_f64_e32 v[12:13], v[38:39], v[30:31]
	v_fmac_f64_e32 v[10:11], v[74:75], v[30:31]
	s_waitcnt vmcnt(2)
	v_fmac_f64_e32 v[12:13], v[60:61], v[18:19]
	v_fmac_f64_e32 v[10:11], v[32:33], v[18:19]
	;; [unrolled: 5-line block ×4, first 2 shown]
	v_fmac_f64_e32 v[12:13], v[54:55], v[26:27]
	v_fmac_f64_e32 v[10:11], v[50:51], v[26:27]
	s_andn2_b64 exec, exec, s[2:3]
	s_cbranch_execnz .LBB150_15
; %bb.16:
	s_or_b64 exec, exec, s[2:3]
.LBB150_17:
	s_or_b64 exec, exec, s[4:5]
.LBB150_18:
	v_mov_b32_dpp v0, v12 row_shr:1 row_mask:0xf bank_mask:0xf
	v_mov_b32_dpp v1, v13 row_shr:1 row_mask:0xf bank_mask:0xf
	v_add_f64 v[0:1], v[12:13], v[0:1]
	v_mov_b32_dpp v12, v10 row_shr:1 row_mask:0xf bank_mask:0xf
	v_mov_b32_dpp v13, v11 row_shr:1 row_mask:0xf bank_mask:0xf
	v_add_f64 v[10:11], v[10:11], v[12:13]
	v_mov_b32_dpp v2, v0 row_shr:2 row_mask:0xf bank_mask:0xf
	v_mov_b32_dpp v3, v1 row_shr:2 row_mask:0xf bank_mask:0xf
	;; [unrolled: 1-line block ×4, first 2 shown]
	v_add_f64 v[0:1], v[0:1], v[2:3]
	v_add_f64 v[10:11], v[10:11], v[12:13]
	v_cmp_eq_u32_e32 vcc, 63, v9
	v_mov_b32_dpp v2, v0 row_shr:4 row_mask:0xf bank_mask:0xe
	v_mov_b32_dpp v3, v1 row_shr:4 row_mask:0xf bank_mask:0xe
	;; [unrolled: 1-line block ×4, first 2 shown]
	v_add_f64 v[0:1], v[0:1], v[2:3]
	v_add_f64 v[10:11], v[10:11], v[12:13]
	s_nop 0
	v_mov_b32_dpp v2, v0 row_shr:8 row_mask:0xf bank_mask:0xc
	v_mov_b32_dpp v3, v1 row_shr:8 row_mask:0xf bank_mask:0xc
	v_mov_b32_dpp v12, v10 row_shr:8 row_mask:0xf bank_mask:0xc
	v_mov_b32_dpp v13, v11 row_shr:8 row_mask:0xf bank_mask:0xc
	v_add_f64 v[0:1], v[0:1], v[2:3]
	v_add_f64 v[10:11], v[10:11], v[12:13]
	s_nop 0
	v_mov_b32_dpp v2, v0 row_bcast:15 row_mask:0xa bank_mask:0xf
	v_mov_b32_dpp v3, v1 row_bcast:15 row_mask:0xa bank_mask:0xf
	;; [unrolled: 1-line block ×4, first 2 shown]
	v_add_f64 v[0:1], v[0:1], v[2:3]
	v_add_f64 v[10:11], v[10:11], v[12:13]
	s_nop 0
	v_mov_b32_dpp v2, v0 row_bcast:31 row_mask:0xc bank_mask:0xf
	v_mov_b32_dpp v3, v1 row_bcast:31 row_mask:0xc bank_mask:0xf
	;; [unrolled: 1-line block ×4, first 2 shown]
	s_and_b64 exec, exec, vcc
	s_cbranch_execz .LBB150_23
; %bb.19:
	s_load_dwordx2 s[0:1], s[0:1], 0x38
	v_add_f64 v[2:3], v[0:1], v[2:3]
	v_add_f64 v[0:1], v[10:11], v[12:13]
	v_cmp_eq_f64_e32 vcc, 0, v[6:7]
	s_and_saveexec_b64 s[2:3], vcc
	s_xor_b64 s[2:3], exec, s[2:3]
	s_cbranch_execz .LBB150_21
; %bb.20:
	v_lshlrev_b32_e32 v6, 1, v8
	v_ashrrev_i32_e32 v7, 31, v6
	v_mul_f64 v[2:3], v[4:5], v[2:3]
	s_waitcnt lgkmcnt(0)
	v_lshl_add_u64 v[6:7], v[6:7], 3, s[0:1]
	v_mul_f64 v[4:5], v[4:5], v[0:1]
	global_store_dwordx4 v[6:7], v[2:5], off
                                        ; implicit-def: $vgpr8
                                        ; implicit-def: $vgpr4_vgpr5
                                        ; implicit-def: $vgpr2_vgpr3
                                        ; implicit-def: $vgpr6_vgpr7
                                        ; implicit-def: $vgpr0_vgpr1
.LBB150_21:
	s_andn2_saveexec_b64 s[2:3], s[2:3]
	s_cbranch_execz .LBB150_23
; %bb.22:
	v_lshlrev_b32_e32 v8, 1, v8
	v_ashrrev_i32_e32 v9, 31, v8
	s_waitcnt lgkmcnt(0)
	v_lshl_add_u64 v[12:13], v[8:9], 3, s[0:1]
	global_load_dwordx4 v[8:11], v[12:13], off
	v_mul_f64 v[2:3], v[4:5], v[2:3]
	v_mul_f64 v[4:5], v[4:5], v[0:1]
	s_waitcnt vmcnt(0)
	v_fmac_f64_e32 v[2:3], v[6:7], v[8:9]
	v_fmac_f64_e32 v[4:5], v[6:7], v[10:11]
	global_store_dwordx4 v[12:13], v[2:5], off
.LBB150_23:
	s_endpgm
	.section	.rodata,"a",@progbits
	.p2align	6, 0x0
	.amdhsa_kernel _ZN9rocsparseL19gebsrmvn_2xn_kernelILj128ELj16ELj64EdEEvi20rocsparse_direction_NS_24const_host_device_scalarIT2_EEPKiS6_PKS3_S8_S4_PS3_21rocsparse_index_base_b
		.amdhsa_group_segment_fixed_size 0
		.amdhsa_private_segment_fixed_size 0
		.amdhsa_kernarg_size 72
		.amdhsa_user_sgpr_count 2
		.amdhsa_user_sgpr_dispatch_ptr 0
		.amdhsa_user_sgpr_queue_ptr 0
		.amdhsa_user_sgpr_kernarg_segment_ptr 1
		.amdhsa_user_sgpr_dispatch_id 0
		.amdhsa_user_sgpr_kernarg_preload_length 0
		.amdhsa_user_sgpr_kernarg_preload_offset 0
		.amdhsa_user_sgpr_private_segment_size 0
		.amdhsa_uses_dynamic_stack 0
		.amdhsa_enable_private_segment 0
		.amdhsa_system_sgpr_workgroup_id_x 1
		.amdhsa_system_sgpr_workgroup_id_y 0
		.amdhsa_system_sgpr_workgroup_id_z 0
		.amdhsa_system_sgpr_workgroup_info 0
		.amdhsa_system_vgpr_workitem_id 0
		.amdhsa_next_free_vgpr 86
		.amdhsa_next_free_sgpr 18
		.amdhsa_accum_offset 88
		.amdhsa_reserve_vcc 1
		.amdhsa_float_round_mode_32 0
		.amdhsa_float_round_mode_16_64 0
		.amdhsa_float_denorm_mode_32 3
		.amdhsa_float_denorm_mode_16_64 3
		.amdhsa_dx10_clamp 1
		.amdhsa_ieee_mode 1
		.amdhsa_fp16_overflow 0
		.amdhsa_tg_split 0
		.amdhsa_exception_fp_ieee_invalid_op 0
		.amdhsa_exception_fp_denorm_src 0
		.amdhsa_exception_fp_ieee_div_zero 0
		.amdhsa_exception_fp_ieee_overflow 0
		.amdhsa_exception_fp_ieee_underflow 0
		.amdhsa_exception_fp_ieee_inexact 0
		.amdhsa_exception_int_div_zero 0
	.end_amdhsa_kernel
	.section	.text._ZN9rocsparseL19gebsrmvn_2xn_kernelILj128ELj16ELj64EdEEvi20rocsparse_direction_NS_24const_host_device_scalarIT2_EEPKiS6_PKS3_S8_S4_PS3_21rocsparse_index_base_b,"axG",@progbits,_ZN9rocsparseL19gebsrmvn_2xn_kernelILj128ELj16ELj64EdEEvi20rocsparse_direction_NS_24const_host_device_scalarIT2_EEPKiS6_PKS3_S8_S4_PS3_21rocsparse_index_base_b,comdat
.Lfunc_end150:
	.size	_ZN9rocsparseL19gebsrmvn_2xn_kernelILj128ELj16ELj64EdEEvi20rocsparse_direction_NS_24const_host_device_scalarIT2_EEPKiS6_PKS3_S8_S4_PS3_21rocsparse_index_base_b, .Lfunc_end150-_ZN9rocsparseL19gebsrmvn_2xn_kernelILj128ELj16ELj64EdEEvi20rocsparse_direction_NS_24const_host_device_scalarIT2_EEPKiS6_PKS3_S8_S4_PS3_21rocsparse_index_base_b
                                        ; -- End function
	.section	.AMDGPU.csdata,"",@progbits
; Kernel info:
; codeLenInByte = 1652
; NumSgprs: 24
; NumVgprs: 86
; NumAgprs: 0
; TotalNumVgprs: 86
; ScratchSize: 0
; MemoryBound: 1
; FloatMode: 240
; IeeeMode: 1
; LDSByteSize: 0 bytes/workgroup (compile time only)
; SGPRBlocks: 2
; VGPRBlocks: 10
; NumSGPRsForWavesPerEU: 24
; NumVGPRsForWavesPerEU: 86
; AccumOffset: 88
; Occupancy: 5
; WaveLimiterHint : 1
; COMPUTE_PGM_RSRC2:SCRATCH_EN: 0
; COMPUTE_PGM_RSRC2:USER_SGPR: 2
; COMPUTE_PGM_RSRC2:TRAP_HANDLER: 0
; COMPUTE_PGM_RSRC2:TGID_X_EN: 1
; COMPUTE_PGM_RSRC2:TGID_Y_EN: 0
; COMPUTE_PGM_RSRC2:TGID_Z_EN: 0
; COMPUTE_PGM_RSRC2:TIDIG_COMP_CNT: 0
; COMPUTE_PGM_RSRC3_GFX90A:ACCUM_OFFSET: 21
; COMPUTE_PGM_RSRC3_GFX90A:TG_SPLIT: 0
	.section	.text._ZN9rocsparseL23gebsrmvn_general_kernelILj32ELj32EdEEvi20rocsparse_direction_NS_24const_host_device_scalarIT1_EEPKiS6_PKS3_iiS8_S4_PS3_21rocsparse_index_base_b,"axG",@progbits,_ZN9rocsparseL23gebsrmvn_general_kernelILj32ELj32EdEEvi20rocsparse_direction_NS_24const_host_device_scalarIT1_EEPKiS6_PKS3_iiS8_S4_PS3_21rocsparse_index_base_b,comdat
	.globl	_ZN9rocsparseL23gebsrmvn_general_kernelILj32ELj32EdEEvi20rocsparse_direction_NS_24const_host_device_scalarIT1_EEPKiS6_PKS3_iiS8_S4_PS3_21rocsparse_index_base_b ; -- Begin function _ZN9rocsparseL23gebsrmvn_general_kernelILj32ELj32EdEEvi20rocsparse_direction_NS_24const_host_device_scalarIT1_EEPKiS6_PKS3_iiS8_S4_PS3_21rocsparse_index_base_b
	.p2align	8
	.type	_ZN9rocsparseL23gebsrmvn_general_kernelILj32ELj32EdEEvi20rocsparse_direction_NS_24const_host_device_scalarIT1_EEPKiS6_PKS3_iiS8_S4_PS3_21rocsparse_index_base_b,@function
_ZN9rocsparseL23gebsrmvn_general_kernelILj32ELj32EdEEvi20rocsparse_direction_NS_24const_host_device_scalarIT1_EEPKiS6_PKS3_iiS8_S4_PS3_21rocsparse_index_base_b: ; @_ZN9rocsparseL23gebsrmvn_general_kernelILj32ELj32EdEEvi20rocsparse_direction_NS_24const_host_device_scalarIT1_EEPKiS6_PKS3_iiS8_S4_PS3_21rocsparse_index_base_b
; %bb.0:
	s_load_dwordx2 s[12:13], s[0:1], 0x48
	s_load_dwordx2 s[8:9], s[0:1], 0x8
	;; [unrolled: 1-line block ×3, first 2 shown]
	s_waitcnt lgkmcnt(0)
	s_bitcmp1_b32 s13, 0
	s_cselect_b64 s[10:11], -1, 0
	s_xor_b64 s[6:7], s[10:11], -1
	s_and_b64 vcc, exec, s[10:11]
	v_mov_b64_e32 v[2:3], s[8:9]
	s_cbranch_vccnz .LBB151_2
; %bb.1:
	v_mov_b64_e32 v[2:3], s[8:9]
	flat_load_dwordx2 v[2:3], v[2:3]
.LBB151_2:
	s_andn2_b64 vcc, exec, s[6:7]
	v_mov_b64_e32 v[4:5], s[4:5]
	s_cbranch_vccnz .LBB151_4
; %bb.3:
	v_mov_b64_e32 v[4:5], s[4:5]
	flat_load_dwordx2 v[4:5], v[4:5]
.LBB151_4:
	s_waitcnt vmcnt(0) lgkmcnt(0)
	v_cmp_neq_f64_e32 vcc, 0, v[2:3]
	v_cmp_neq_f64_e64 s[4:5], 1.0, v[4:5]
	s_or_b64 s[4:5], vcc, s[4:5]
	s_and_saveexec_b64 s[6:7], s[4:5]
	s_cbranch_execz .LBB151_24
; %bb.5:
	s_load_dwordx2 s[14:15], s[0:1], 0x28
	s_waitcnt lgkmcnt(0)
	s_cmp_gt_i32 s14, 0
	s_cselect_b64 s[4:5], -1, 0
	s_and_b64 exec, exec, s[4:5]
	s_cbranch_execz .LBB151_24
; %bb.6:
	s_load_dwordx4 s[8:11], s[0:1], 0x10
	s_load_dword s22, s[0:1], 0x4
	s_ashr_i32 s3, s2, 31
	s_lshl_b64 s[4:5], s[2:3], 2
	s_mul_i32 s34, s2, s14
	s_waitcnt lgkmcnt(0)
	s_add_u32 s4, s8, s4
	s_addc_u32 s5, s9, s5
	s_load_dwordx2 s[6:7], s[4:5], 0x0
	s_load_dwordx2 s[16:17], s[0:1], 0x20
	;; [unrolled: 1-line block ×4, first 2 shown]
	v_mov_b32_e32 v6, 0
	s_waitcnt lgkmcnt(0)
	s_sub_i32 s13, s6, s12
	s_sub_i32 s33, s7, s12
	s_cmp_lt_i32 s6, s7
	s_cselect_b64 s[6:7], -1, 0
	s_mul_i32 s2, s14, s13
	s_cmp_lg_u32 s22, 0
	s_mul_i32 s2, s15, s2
	v_cndmask_b32_e64 v7, 0, 1, s[6:7]
	v_cmp_gt_i32_e64 s[0:1], s15, v0
	s_cselect_b64 s[22:23], -1, 0
	v_cmp_eq_u32_e64 s[8:9], 31, v0
	s_mov_b64 s[24:25], 0
	v_cmp_eq_f64_e64 s[4:5], 0, v[4:5]
	v_mov_b32_e32 v1, s2
	s_mul_i32 s35, s15, s14
	v_cmp_ne_u32_e64 s[6:7], 1, v7
	s_branch .LBB151_8
.LBB151_7:                              ;   in Loop: Header=BB151_8 Depth=1
	s_or_b64 exec, exec, s[2:3]
	v_add_u32_e32 v6, 1, v6
	v_cmp_le_i32_e32 vcc, s14, v6
	s_or_b64 s[24:25], vcc, s[24:25]
	v_add_u32_e32 v1, s15, v1
	s_andn2_b64 exec, exec, s[24:25]
	s_cbranch_execz .LBB151_24
.LBB151_8:                              ; =>This Loop Header: Depth=1
                                        ;     Child Loop BB151_12 Depth 2
                                        ;       Child Loop BB151_15 Depth 3
	s_and_b64 vcc, exec, s[6:7]
	v_mov_b64_e32 v[8:9], 0
	s_cbranch_vccnz .LBB151_19
; %bb.9:                                ;   in Loop: Header=BB151_8 Depth=1
	v_mov_b64_e32 v[8:9], 0
	v_mov_b32_e32 v7, v1
	s_mov_b32 s2, s13
	s_branch .LBB151_12
.LBB151_10:                             ;   in Loop: Header=BB151_12 Depth=2
	s_or_b64 exec, exec, s[28:29]
.LBB151_11:                             ;   in Loop: Header=BB151_12 Depth=2
	s_or_b64 exec, exec, s[26:27]
	s_add_i32 s2, s2, 1
	s_cmp_ge_i32 s2, s33
	v_add_u32_e32 v7, s35, v7
	s_cbranch_scc1 .LBB151_19
.LBB151_12:                             ;   Parent Loop BB151_8 Depth=1
                                        ; =>  This Loop Header: Depth=2
                                        ;       Child Loop BB151_15 Depth 3
	s_and_saveexec_b64 s[26:27], s[0:1]
	s_cbranch_execz .LBB151_11
; %bb.13:                               ;   in Loop: Header=BB151_12 Depth=2
	s_ashr_i32 s3, s2, 31
	s_lshl_b64 s[28:29], s[2:3], 2
	s_add_u32 s28, s10, s28
	s_addc_u32 s29, s11, s29
	s_load_dword s30, s[28:29], 0x0
	s_mul_i32 s3, s2, s15
	s_mov_b64 s[28:29], 0
	v_mov_b32_e32 v12, v0
	s_waitcnt lgkmcnt(0)
	s_sub_i32 s36, s30, s12
	s_mul_i32 s36, s36, s15
	s_branch .LBB151_15
.LBB151_14:                             ;   in Loop: Header=BB151_15 Depth=3
	v_add_u32_e32 v14, s36, v12
	v_ashrrev_i32_e32 v11, 31, v10
	v_ashrrev_i32_e32 v15, 31, v14
	v_lshl_add_u64 v[10:11], v[10:11], 3, s[16:17]
	v_lshl_add_u64 v[14:15], v[14:15], 3, s[18:19]
	global_load_dwordx2 v[10:11], v[10:11], off
	v_add_u32_e32 v12, 32, v12
	global_load_dwordx2 v[14:15], v[14:15], off
	v_cmp_le_i32_e32 vcc, s15, v12
	s_or_b64 s[28:29], vcc, s[28:29]
	s_waitcnt vmcnt(0)
	v_fmac_f64_e32 v[8:9], v[10:11], v[14:15]
	s_andn2_b64 exec, exec, s[28:29]
	s_cbranch_execz .LBB151_10
.LBB151_15:                             ;   Parent Loop BB151_8 Depth=1
                                        ;     Parent Loop BB151_12 Depth=2
                                        ; =>    This Inner Loop Header: Depth=3
	s_and_b64 vcc, exec, s[22:23]
	s_cbranch_vccz .LBB151_17
; %bb.16:                               ;   in Loop: Header=BB151_15 Depth=3
	v_add_u32_e32 v10, s3, v12
	v_mad_u64_u32 v[10:11], s[30:31], v10, s14, v[6:7]
	s_cbranch_execnz .LBB151_14
	s_branch .LBB151_18
.LBB151_17:                             ;   in Loop: Header=BB151_15 Depth=3
                                        ; implicit-def: $vgpr10
.LBB151_18:                             ;   in Loop: Header=BB151_15 Depth=3
	v_add_u32_e32 v10, v7, v12
	s_branch .LBB151_14
.LBB151_19:                             ;   in Loop: Header=BB151_8 Depth=1
	s_nop 0
	v_mov_b32_dpp v10, v8 row_shr:1 row_mask:0xf bank_mask:0xf
	v_mov_b32_dpp v11, v9 row_shr:1 row_mask:0xf bank_mask:0xf
	v_add_f64 v[8:9], v[8:9], v[10:11]
	s_nop 1
	v_mov_b32_dpp v10, v8 row_shr:2 row_mask:0xf bank_mask:0xf
	v_mov_b32_dpp v11, v9 row_shr:2 row_mask:0xf bank_mask:0xf
	v_add_f64 v[8:9], v[8:9], v[10:11]
	;; [unrolled: 4-line block ×4, first 2 shown]
	s_nop 1
	v_mov_b32_dpp v10, v8 row_bcast:15 row_mask:0xa bank_mask:0xf
	v_mov_b32_dpp v11, v9 row_bcast:15 row_mask:0xa bank_mask:0xf
	s_and_saveexec_b64 s[2:3], s[8:9]
	s_cbranch_execz .LBB151_7
; %bb.20:                               ;   in Loop: Header=BB151_8 Depth=1
	v_add_f64 v[8:9], v[8:9], v[10:11]
	v_add_u32_e32 v10, s34, v6
	v_mul_f64 v[8:9], v[2:3], v[8:9]
	v_ashrrev_i32_e32 v11, 31, v10
	s_and_saveexec_b64 s[26:27], s[4:5]
	s_xor_b64 s[26:27], exec, s[26:27]
	s_cbranch_execz .LBB151_22
; %bb.21:                               ;   in Loop: Header=BB151_8 Depth=1
	v_lshl_add_u64 v[10:11], v[10:11], 3, s[20:21]
	global_store_dwordx2 v[10:11], v[8:9], off
                                        ; implicit-def: $vgpr10
                                        ; implicit-def: $vgpr8_vgpr9
.LBB151_22:                             ;   in Loop: Header=BB151_8 Depth=1
	s_andn2_saveexec_b64 s[26:27], s[26:27]
	s_cbranch_execz .LBB151_7
; %bb.23:                               ;   in Loop: Header=BB151_8 Depth=1
	v_lshl_add_u64 v[10:11], v[10:11], 3, s[20:21]
	global_load_dwordx2 v[12:13], v[10:11], off
	s_waitcnt vmcnt(0)
	v_fmac_f64_e32 v[8:9], v[4:5], v[12:13]
	global_store_dwordx2 v[10:11], v[8:9], off
	s_branch .LBB151_7
.LBB151_24:
	s_endpgm
	.section	.rodata,"a",@progbits
	.p2align	6, 0x0
	.amdhsa_kernel _ZN9rocsparseL23gebsrmvn_general_kernelILj32ELj32EdEEvi20rocsparse_direction_NS_24const_host_device_scalarIT1_EEPKiS6_PKS3_iiS8_S4_PS3_21rocsparse_index_base_b
		.amdhsa_group_segment_fixed_size 0
		.amdhsa_private_segment_fixed_size 0
		.amdhsa_kernarg_size 80
		.amdhsa_user_sgpr_count 2
		.amdhsa_user_sgpr_dispatch_ptr 0
		.amdhsa_user_sgpr_queue_ptr 0
		.amdhsa_user_sgpr_kernarg_segment_ptr 1
		.amdhsa_user_sgpr_dispatch_id 0
		.amdhsa_user_sgpr_kernarg_preload_length 0
		.amdhsa_user_sgpr_kernarg_preload_offset 0
		.amdhsa_user_sgpr_private_segment_size 0
		.amdhsa_uses_dynamic_stack 0
		.amdhsa_enable_private_segment 0
		.amdhsa_system_sgpr_workgroup_id_x 1
		.amdhsa_system_sgpr_workgroup_id_y 0
		.amdhsa_system_sgpr_workgroup_id_z 0
		.amdhsa_system_sgpr_workgroup_info 0
		.amdhsa_system_vgpr_workitem_id 0
		.amdhsa_next_free_vgpr 16
		.amdhsa_next_free_sgpr 37
		.amdhsa_accum_offset 16
		.amdhsa_reserve_vcc 1
		.amdhsa_float_round_mode_32 0
		.amdhsa_float_round_mode_16_64 0
		.amdhsa_float_denorm_mode_32 3
		.amdhsa_float_denorm_mode_16_64 3
		.amdhsa_dx10_clamp 1
		.amdhsa_ieee_mode 1
		.amdhsa_fp16_overflow 0
		.amdhsa_tg_split 0
		.amdhsa_exception_fp_ieee_invalid_op 0
		.amdhsa_exception_fp_denorm_src 0
		.amdhsa_exception_fp_ieee_div_zero 0
		.amdhsa_exception_fp_ieee_overflow 0
		.amdhsa_exception_fp_ieee_underflow 0
		.amdhsa_exception_fp_ieee_inexact 0
		.amdhsa_exception_int_div_zero 0
	.end_amdhsa_kernel
	.section	.text._ZN9rocsparseL23gebsrmvn_general_kernelILj32ELj32EdEEvi20rocsparse_direction_NS_24const_host_device_scalarIT1_EEPKiS6_PKS3_iiS8_S4_PS3_21rocsparse_index_base_b,"axG",@progbits,_ZN9rocsparseL23gebsrmvn_general_kernelILj32ELj32EdEEvi20rocsparse_direction_NS_24const_host_device_scalarIT1_EEPKiS6_PKS3_iiS8_S4_PS3_21rocsparse_index_base_b,comdat
.Lfunc_end151:
	.size	_ZN9rocsparseL23gebsrmvn_general_kernelILj32ELj32EdEEvi20rocsparse_direction_NS_24const_host_device_scalarIT1_EEPKiS6_PKS3_iiS8_S4_PS3_21rocsparse_index_base_b, .Lfunc_end151-_ZN9rocsparseL23gebsrmvn_general_kernelILj32ELj32EdEEvi20rocsparse_direction_NS_24const_host_device_scalarIT1_EEPKiS6_PKS3_iiS8_S4_PS3_21rocsparse_index_base_b
                                        ; -- End function
	.section	.AMDGPU.csdata,"",@progbits
; Kernel info:
; codeLenInByte = 800
; NumSgprs: 43
; NumVgprs: 16
; NumAgprs: 0
; TotalNumVgprs: 16
; ScratchSize: 0
; MemoryBound: 0
; FloatMode: 240
; IeeeMode: 1
; LDSByteSize: 0 bytes/workgroup (compile time only)
; SGPRBlocks: 5
; VGPRBlocks: 1
; NumSGPRsForWavesPerEU: 43
; NumVGPRsForWavesPerEU: 16
; AccumOffset: 16
; Occupancy: 8
; WaveLimiterHint : 1
; COMPUTE_PGM_RSRC2:SCRATCH_EN: 0
; COMPUTE_PGM_RSRC2:USER_SGPR: 2
; COMPUTE_PGM_RSRC2:TRAP_HANDLER: 0
; COMPUTE_PGM_RSRC2:TGID_X_EN: 1
; COMPUTE_PGM_RSRC2:TGID_Y_EN: 0
; COMPUTE_PGM_RSRC2:TGID_Z_EN: 0
; COMPUTE_PGM_RSRC2:TIDIG_COMP_CNT: 0
; COMPUTE_PGM_RSRC3_GFX90A:ACCUM_OFFSET: 3
; COMPUTE_PGM_RSRC3_GFX90A:TG_SPLIT: 0
	.section	.text._ZN9rocsparseL19gebsrmvn_2xn_kernelILj128ELj1ELj4E21rocsparse_complex_numIfEEEvi20rocsparse_direction_NS_24const_host_device_scalarIT2_EEPKiS8_PKS5_SA_S6_PS5_21rocsparse_index_base_b,"axG",@progbits,_ZN9rocsparseL19gebsrmvn_2xn_kernelILj128ELj1ELj4E21rocsparse_complex_numIfEEEvi20rocsparse_direction_NS_24const_host_device_scalarIT2_EEPKiS8_PKS5_SA_S6_PS5_21rocsparse_index_base_b,comdat
	.globl	_ZN9rocsparseL19gebsrmvn_2xn_kernelILj128ELj1ELj4E21rocsparse_complex_numIfEEEvi20rocsparse_direction_NS_24const_host_device_scalarIT2_EEPKiS8_PKS5_SA_S6_PS5_21rocsparse_index_base_b ; -- Begin function _ZN9rocsparseL19gebsrmvn_2xn_kernelILj128ELj1ELj4E21rocsparse_complex_numIfEEEvi20rocsparse_direction_NS_24const_host_device_scalarIT2_EEPKiS8_PKS5_SA_S6_PS5_21rocsparse_index_base_b
	.p2align	8
	.type	_ZN9rocsparseL19gebsrmvn_2xn_kernelILj128ELj1ELj4E21rocsparse_complex_numIfEEEvi20rocsparse_direction_NS_24const_host_device_scalarIT2_EEPKiS8_PKS5_SA_S6_PS5_21rocsparse_index_base_b,@function
_ZN9rocsparseL19gebsrmvn_2xn_kernelILj128ELj1ELj4E21rocsparse_complex_numIfEEEvi20rocsparse_direction_NS_24const_host_device_scalarIT2_EEPKiS8_PKS5_SA_S6_PS5_21rocsparse_index_base_b: ; @_ZN9rocsparseL19gebsrmvn_2xn_kernelILj128ELj1ELj4E21rocsparse_complex_numIfEEEvi20rocsparse_direction_NS_24const_host_device_scalarIT2_EEPKiS8_PKS5_SA_S6_PS5_21rocsparse_index_base_b
; %bb.0:
	s_load_dwordx2 s[12:13], s[0:1], 0x40
	s_load_dwordx2 s[8:9], s[0:1], 0x8
	;; [unrolled: 1-line block ×3, first 2 shown]
	s_waitcnt lgkmcnt(0)
	s_bitcmp1_b32 s13, 0
	s_cselect_b64 s[4:5], -1, 0
	s_xor_b64 s[10:11], s[4:5], -1
	s_and_b64 vcc, exec, s[4:5]
	v_mov_b32_e32 v2, s8
	s_cbranch_vccnz .LBB152_2
; %bb.1:
	v_mov_b64_e32 v[2:3], s[8:9]
	flat_load_dword v2, v[2:3]
.LBB152_2:
	v_cndmask_b32_e64 v1, 0, 1, s[10:11]
	v_cmp_ne_u32_e64 s[4:5], 1, v1
	s_andn2_b64 vcc, exec, s[10:11]
	v_mov_b32_e32 v3, s9
	s_cbranch_vccz .LBB152_16
; %bb.3:
	s_and_b64 vcc, exec, s[4:5]
	v_mov_b32_e32 v4, s6
	s_cbranch_vccz .LBB152_17
.LBB152_4:
	s_and_b64 vcc, exec, s[4:5]
	v_mov_b32_e32 v5, s7
	s_cbranch_vccnz .LBB152_6
.LBB152_5:
	v_mov_b64_e32 v[6:7], s[6:7]
	flat_load_dword v5, v[6:7] offset:4
.LBB152_6:
	s_waitcnt vmcnt(0) lgkmcnt(0)
	v_and_b32_e32 v1, 0x7fffffff, v2
	v_cmp_eq_u32_e32 vcc, 0, v1
	v_cmp_eq_f32_e64 s[4:5], 0, v3
	s_and_b64 s[8:9], vcc, s[4:5]
	s_mov_b64 s[4:5], -1
	s_and_saveexec_b64 s[6:7], s[8:9]
; %bb.7:
	v_and_b32_e32 v1, 0x7fffffff, v5
	v_cmp_neq_f32_e32 vcc, 1.0, v4
	v_cmp_ne_u32_e64 s[4:5], 0, v1
	s_or_b64 s[4:5], vcc, s[4:5]
	s_orn2_b64 s[4:5], s[4:5], exec
; %bb.8:
	s_or_b64 exec, exec, s[6:7]
	s_and_saveexec_b64 s[6:7], s[4:5]
	s_cbranch_execz .LBB152_29
; %bb.9:
	s_load_dwordx2 s[14:15], s[0:1], 0x0
	v_lshrrev_b32_e32 v1, 2, v0
	v_lshl_or_b32 v6, s2, 5, v1
	s_waitcnt lgkmcnt(0)
	v_cmp_gt_i32_e32 vcc, s14, v6
	s_and_b64 exec, exec, vcc
	s_cbranch_execz .LBB152_29
; %bb.10:
	s_load_dwordx8 s[4:11], s[0:1], 0x10
	v_ashrrev_i32_e32 v7, 31, v6
	s_cmp_lg_u32 s15, 0
	s_waitcnt lgkmcnt(0)
	v_lshl_add_u64 v[8:9], v[6:7], 2, s[4:5]
	global_load_dwordx2 v[8:9], v[8:9], off
	v_and_b32_e32 v7, 3, v0
	s_waitcnt vmcnt(0)
	v_subrev_u32_e32 v0, s12, v8
	v_subrev_u32_e32 v16, s12, v9
	v_add_u32_e32 v0, v0, v7
	v_cmp_lt_i32_e64 s[2:3], v0, v16
	s_cbranch_scc0 .LBB152_18
; %bb.11:
	v_mov_b32_e32 v11, 0
	v_mov_b32_e32 v10, v11
	;; [unrolled: 1-line block ×4, first 2 shown]
	s_and_saveexec_b64 s[4:5], s[2:3]
	s_cbranch_execz .LBB152_15
; %bb.12:
	v_mov_b32_e32 v13, 0
	v_lshlrev_b32_e32 v12, 1, v0
	s_mov_b64 s[14:15], 0
	v_mov_b32_e32 v14, v0
	v_mov_b32_e32 v8, v13
	;; [unrolled: 1-line block ×5, first 2 shown]
.LBB152_13:                             ; =>This Inner Loop Header: Depth=1
	v_ashrrev_i32_e32 v15, 31, v14
	v_lshl_add_u64 v[18:19], v[14:15], 2, s[6:7]
	global_load_dword v1, v[18:19], off
	v_mov_b32_e32 v23, v13
	v_lshl_add_u64 v[18:19], v[12:13], 3, s[8:9]
	global_load_dwordx4 v[18:21], v[18:19], off
	v_add_u32_e32 v14, 4, v14
	v_cmp_ge_i32_e32 vcc, v14, v16
	v_add_u32_e32 v12, 8, v12
	s_or_b64 s[14:15], vcc, s[14:15]
	s_waitcnt vmcnt(1)
	v_subrev_u32_e32 v22, s12, v1
	v_lshl_add_u64 v[22:23], v[22:23], 3, s[10:11]
	global_load_dwordx2 v[22:23], v[22:23], off
	s_waitcnt vmcnt(1)
	v_xor_b32_e32 v24, 0x80000000, v21
	v_mov_b32_e32 v25, v20
	s_waitcnt vmcnt(0)
	v_pk_fma_f32 v[10:11], v[18:19], v[22:23], v[10:11] op_sel_hi:[1,0,1]
	v_pk_fma_f32 v[8:9], v[20:21], v[22:23], v[8:9] op_sel_hi:[1,0,1]
	v_pk_fma_f32 v[10:11], v[18:19], v[22:23], v[10:11] op_sel:[1,1,0] op_sel_hi:[0,1,1] neg_lo:[1,0,0]
	v_pk_fma_f32 v[8:9], v[24:25], v[22:23], v[8:9] op_sel:[0,1,0]
	s_andn2_b64 exec, exec, s[14:15]
	s_cbranch_execnz .LBB152_13
; %bb.14:
	s_or_b64 exec, exec, s[14:15]
.LBB152_15:
	s_or_b64 exec, exec, s[4:5]
	s_cbranch_execz .LBB152_19
	s_branch .LBB152_24
.LBB152_16:
	v_mov_b64_e32 v[4:5], s[8:9]
	flat_load_dword v3, v[4:5] offset:4
	s_and_b64 vcc, exec, s[4:5]
	v_mov_b32_e32 v4, s6
	s_cbranch_vccnz .LBB152_4
.LBB152_17:
	v_mov_b64_e32 v[4:5], s[6:7]
	flat_load_dword v4, v[4:5]
	s_and_b64 vcc, exec, s[4:5]
	v_mov_b32_e32 v5, s7
	s_cbranch_vccz .LBB152_5
	s_branch .LBB152_6
.LBB152_18:
                                        ; implicit-def: $vgpr11
                                        ; implicit-def: $vgpr9
.LBB152_19:
	v_mov_b32_e32 v11, 0
	v_mov_b32_e32 v10, v11
	;; [unrolled: 1-line block ×4, first 2 shown]
	s_and_saveexec_b64 s[4:5], s[2:3]
	s_cbranch_execz .LBB152_23
; %bb.20:
	v_mov_b32_e32 v13, 0
	v_lshlrev_b32_e32 v12, 1, v0
	s_mov_b64 s[2:3], 0
	v_mov_b32_e32 v8, v13
	v_mov_b32_e32 v9, v13
	;; [unrolled: 1-line block ×4, first 2 shown]
.LBB152_21:                             ; =>This Inner Loop Header: Depth=1
	v_ashrrev_i32_e32 v1, 31, v0
	v_lshl_add_u64 v[14:15], v[0:1], 2, s[6:7]
	global_load_dword v1, v[14:15], off
	v_lshl_add_u64 v[14:15], v[12:13], 3, s[8:9]
	v_mov_b32_e32 v23, v13
	global_load_dwordx4 v[18:21], v[14:15], off
	v_add_u32_e32 v0, 4, v0
	v_cmp_ge_i32_e32 vcc, v0, v16
	v_add_u32_e32 v12, 8, v12
	s_or_b64 s[2:3], vcc, s[2:3]
	s_waitcnt vmcnt(1)
	v_subrev_u32_e32 v22, s12, v1
	v_lshl_add_u64 v[14:15], v[22:23], 3, s[10:11]
	global_load_dwordx2 v[14:15], v[14:15], off
	s_waitcnt vmcnt(1)
	v_xor_b32_e32 v22, 0x80000000, v21
	v_mov_b32_e32 v23, v20
	s_waitcnt vmcnt(0)
	v_pk_fma_f32 v[10:11], v[18:19], v[14:15], v[10:11] op_sel_hi:[1,0,1]
	v_pk_fma_f32 v[8:9], v[20:21], v[14:15], v[8:9] op_sel_hi:[1,0,1]
	v_pk_fma_f32 v[10:11], v[18:19], v[14:15], v[10:11] op_sel:[1,1,0] op_sel_hi:[0,1,1] neg_lo:[1,0,0]
	v_pk_fma_f32 v[8:9], v[22:23], v[14:15], v[8:9] op_sel:[0,1,0]
	s_andn2_b64 exec, exec, s[2:3]
	s_cbranch_execnz .LBB152_21
; %bb.22:
	s_or_b64 exec, exec, s[2:3]
.LBB152_23:
	s_or_b64 exec, exec, s[4:5]
.LBB152_24:
	v_mov_b32_dpp v0, v10 row_shr:1 row_mask:0xf bank_mask:0xf
	v_mov_b32_dpp v12, v8 row_shr:1 row_mask:0xf bank_mask:0xf
	v_add_f32_e32 v0, v10, v0
	v_mov_b32_dpp v10, v11 row_shr:1 row_mask:0xf bank_mask:0xf
	v_add_f32_e32 v13, v8, v12
	v_mov_b32_dpp v8, v9 row_shr:1 row_mask:0xf bank_mask:0xf
	v_add_f32_e32 v10, v11, v10
	v_add_f32_e32 v9, v9, v8
	v_mov_b32_dpp v1, v0 row_shr:2 row_mask:0xf bank_mask:0xf
	v_mov_b32_dpp v11, v10 row_shr:2 row_mask:0xf bank_mask:0xf
	;; [unrolled: 1-line block ×4, first 2 shown]
	v_cmp_eq_u32_e32 vcc, 3, v7
	s_and_b64 exec, exec, vcc
	s_cbranch_execz .LBB152_29
; %bb.25:
	s_load_dwordx2 s[2:3], s[0:1], 0x38
	v_add_f32_e32 v8, v0, v1
	v_and_b32_e32 v1, 0x7fffffff, v4
	v_cmp_eq_u32_e32 vcc, 0, v1
	v_cmp_eq_f32_e64 s[0:1], 0, v5
	v_add_f32_e32 v12, v10, v11
	v_add_f32_e32 v0, v13, v14
	;; [unrolled: 1-line block ×3, first 2 shown]
	s_and_b64 s[0:1], vcc, s[0:1]
	s_and_saveexec_b64 s[4:5], s[0:1]
	s_xor_b64 s[0:1], exec, s[4:5]
	s_cbranch_execz .LBB152_27
; %bb.26:
	v_lshlrev_b32_e32 v4, 1, v6
	v_xor_b32_e32 v14, 0x80000000, v3
	v_ashrrev_i32_e32 v5, 31, v4
	v_mov_b32_e32 v15, v2
	s_waitcnt lgkmcnt(0)
	v_lshl_add_u64 v[16:17], v[4:5], 3, s[2:3]
	v_pk_mul_f32 v[4:5], v[12:13], v[14:15] op_sel_hi:[0,1]
	v_pk_mul_f32 v[6:7], v[10:11], v[14:15] op_sel_hi:[0,1]
	v_pk_fma_f32 v[4:5], v[2:3], v[8:9], v[4:5] op_sel_hi:[1,0,1]
	v_pk_fma_f32 v[6:7], v[2:3], v[0:1], v[6:7] op_sel_hi:[1,0,1]
	global_store_dwordx4 v[16:17], v[4:7], off
                                        ; implicit-def: $vgpr3
                                        ; implicit-def: $vgpr4
                                        ; implicit-def: $vgpr6
                                        ; implicit-def: $vgpr8
                                        ; implicit-def: $vgpr12
                                        ; implicit-def: $vgpr0
                                        ; implicit-def: $vgpr10
.LBB152_27:
	s_andn2_saveexec_b64 s[0:1], s[0:1]
	s_cbranch_execz .LBB152_29
; %bb.28:
	v_lshlrev_b32_e32 v6, 1, v6
	v_ashrrev_i32_e32 v7, 31, v6
	s_waitcnt lgkmcnt(0)
	v_lshl_add_u64 v[6:7], v[6:7], 3, s[2:3]
	global_load_dwordx4 v[14:17], v[6:7], off
	v_xor_b32_e32 v18, 0x80000000, v3
	v_mov_b32_e32 v19, v2
	v_pk_mul_f32 v[12:13], v[12:13], v[18:19] op_sel_hi:[0,1]
	v_pk_mul_f32 v[10:11], v[10:11], v[18:19] op_sel_hi:[0,1]
	v_pk_fma_f32 v[8:9], v[2:3], v[8:9], v[12:13] op_sel_hi:[1,0,1]
	v_pk_fma_f32 v[0:1], v[2:3], v[0:1], v[10:11] op_sel_hi:[1,0,1]
	v_xor_b32_e32 v20, 0x80000000, v5
	v_mov_b32_e32 v21, v4
	s_waitcnt vmcnt(0)
	v_pk_fma_f32 v[2:3], v[4:5], v[14:15], v[8:9] op_sel_hi:[1,0,1]
	v_pk_fma_f32 v[4:5], v[4:5], v[16:17], v[0:1] op_sel_hi:[1,0,1]
	v_mov_b32_e32 v8, v17
	v_pk_fma_f32 v[0:1], v[20:21], v[14:15], v[2:3] op_sel:[0,1,0]
	v_pk_fma_f32 v[2:3], v[20:21], v[8:9], v[4:5] op_sel_hi:[1,0,1]
	global_store_dwordx4 v[6:7], v[0:3], off
.LBB152_29:
	s_endpgm
	.section	.rodata,"a",@progbits
	.p2align	6, 0x0
	.amdhsa_kernel _ZN9rocsparseL19gebsrmvn_2xn_kernelILj128ELj1ELj4E21rocsparse_complex_numIfEEEvi20rocsparse_direction_NS_24const_host_device_scalarIT2_EEPKiS8_PKS5_SA_S6_PS5_21rocsparse_index_base_b
		.amdhsa_group_segment_fixed_size 0
		.amdhsa_private_segment_fixed_size 0
		.amdhsa_kernarg_size 72
		.amdhsa_user_sgpr_count 2
		.amdhsa_user_sgpr_dispatch_ptr 0
		.amdhsa_user_sgpr_queue_ptr 0
		.amdhsa_user_sgpr_kernarg_segment_ptr 1
		.amdhsa_user_sgpr_dispatch_id 0
		.amdhsa_user_sgpr_kernarg_preload_length 0
		.amdhsa_user_sgpr_kernarg_preload_offset 0
		.amdhsa_user_sgpr_private_segment_size 0
		.amdhsa_uses_dynamic_stack 0
		.amdhsa_enable_private_segment 0
		.amdhsa_system_sgpr_workgroup_id_x 1
		.amdhsa_system_sgpr_workgroup_id_y 0
		.amdhsa_system_sgpr_workgroup_id_z 0
		.amdhsa_system_sgpr_workgroup_info 0
		.amdhsa_system_vgpr_workitem_id 0
		.amdhsa_next_free_vgpr 26
		.amdhsa_next_free_sgpr 16
		.amdhsa_accum_offset 28
		.amdhsa_reserve_vcc 1
		.amdhsa_float_round_mode_32 0
		.amdhsa_float_round_mode_16_64 0
		.amdhsa_float_denorm_mode_32 3
		.amdhsa_float_denorm_mode_16_64 3
		.amdhsa_dx10_clamp 1
		.amdhsa_ieee_mode 1
		.amdhsa_fp16_overflow 0
		.amdhsa_tg_split 0
		.amdhsa_exception_fp_ieee_invalid_op 0
		.amdhsa_exception_fp_denorm_src 0
		.amdhsa_exception_fp_ieee_div_zero 0
		.amdhsa_exception_fp_ieee_overflow 0
		.amdhsa_exception_fp_ieee_underflow 0
		.amdhsa_exception_fp_ieee_inexact 0
		.amdhsa_exception_int_div_zero 0
	.end_amdhsa_kernel
	.section	.text._ZN9rocsparseL19gebsrmvn_2xn_kernelILj128ELj1ELj4E21rocsparse_complex_numIfEEEvi20rocsparse_direction_NS_24const_host_device_scalarIT2_EEPKiS8_PKS5_SA_S6_PS5_21rocsparse_index_base_b,"axG",@progbits,_ZN9rocsparseL19gebsrmvn_2xn_kernelILj128ELj1ELj4E21rocsparse_complex_numIfEEEvi20rocsparse_direction_NS_24const_host_device_scalarIT2_EEPKiS8_PKS5_SA_S6_PS5_21rocsparse_index_base_b,comdat
.Lfunc_end152:
	.size	_ZN9rocsparseL19gebsrmvn_2xn_kernelILj128ELj1ELj4E21rocsparse_complex_numIfEEEvi20rocsparse_direction_NS_24const_host_device_scalarIT2_EEPKiS8_PKS5_SA_S6_PS5_21rocsparse_index_base_b, .Lfunc_end152-_ZN9rocsparseL19gebsrmvn_2xn_kernelILj128ELj1ELj4E21rocsparse_complex_numIfEEEvi20rocsparse_direction_NS_24const_host_device_scalarIT2_EEPKiS8_PKS5_SA_S6_PS5_21rocsparse_index_base_b
                                        ; -- End function
	.section	.AMDGPU.csdata,"",@progbits
; Kernel info:
; codeLenInByte = 1140
; NumSgprs: 22
; NumVgprs: 26
; NumAgprs: 0
; TotalNumVgprs: 26
; ScratchSize: 0
; MemoryBound: 0
; FloatMode: 240
; IeeeMode: 1
; LDSByteSize: 0 bytes/workgroup (compile time only)
; SGPRBlocks: 2
; VGPRBlocks: 3
; NumSGPRsForWavesPerEU: 22
; NumVGPRsForWavesPerEU: 26
; AccumOffset: 28
; Occupancy: 8
; WaveLimiterHint : 1
; COMPUTE_PGM_RSRC2:SCRATCH_EN: 0
; COMPUTE_PGM_RSRC2:USER_SGPR: 2
; COMPUTE_PGM_RSRC2:TRAP_HANDLER: 0
; COMPUTE_PGM_RSRC2:TGID_X_EN: 1
; COMPUTE_PGM_RSRC2:TGID_Y_EN: 0
; COMPUTE_PGM_RSRC2:TGID_Z_EN: 0
; COMPUTE_PGM_RSRC2:TIDIG_COMP_CNT: 0
; COMPUTE_PGM_RSRC3_GFX90A:ACCUM_OFFSET: 6
; COMPUTE_PGM_RSRC3_GFX90A:TG_SPLIT: 0
	.section	.text._ZN9rocsparseL19gebsrmvn_2xn_kernelILj128ELj1ELj8E21rocsparse_complex_numIfEEEvi20rocsparse_direction_NS_24const_host_device_scalarIT2_EEPKiS8_PKS5_SA_S6_PS5_21rocsparse_index_base_b,"axG",@progbits,_ZN9rocsparseL19gebsrmvn_2xn_kernelILj128ELj1ELj8E21rocsparse_complex_numIfEEEvi20rocsparse_direction_NS_24const_host_device_scalarIT2_EEPKiS8_PKS5_SA_S6_PS5_21rocsparse_index_base_b,comdat
	.globl	_ZN9rocsparseL19gebsrmvn_2xn_kernelILj128ELj1ELj8E21rocsparse_complex_numIfEEEvi20rocsparse_direction_NS_24const_host_device_scalarIT2_EEPKiS8_PKS5_SA_S6_PS5_21rocsparse_index_base_b ; -- Begin function _ZN9rocsparseL19gebsrmvn_2xn_kernelILj128ELj1ELj8E21rocsparse_complex_numIfEEEvi20rocsparse_direction_NS_24const_host_device_scalarIT2_EEPKiS8_PKS5_SA_S6_PS5_21rocsparse_index_base_b
	.p2align	8
	.type	_ZN9rocsparseL19gebsrmvn_2xn_kernelILj128ELj1ELj8E21rocsparse_complex_numIfEEEvi20rocsparse_direction_NS_24const_host_device_scalarIT2_EEPKiS8_PKS5_SA_S6_PS5_21rocsparse_index_base_b,@function
_ZN9rocsparseL19gebsrmvn_2xn_kernelILj128ELj1ELj8E21rocsparse_complex_numIfEEEvi20rocsparse_direction_NS_24const_host_device_scalarIT2_EEPKiS8_PKS5_SA_S6_PS5_21rocsparse_index_base_b: ; @_ZN9rocsparseL19gebsrmvn_2xn_kernelILj128ELj1ELj8E21rocsparse_complex_numIfEEEvi20rocsparse_direction_NS_24const_host_device_scalarIT2_EEPKiS8_PKS5_SA_S6_PS5_21rocsparse_index_base_b
; %bb.0:
	s_load_dwordx2 s[12:13], s[0:1], 0x40
	s_load_dwordx2 s[8:9], s[0:1], 0x8
	;; [unrolled: 1-line block ×3, first 2 shown]
	s_waitcnt lgkmcnt(0)
	s_bitcmp1_b32 s13, 0
	s_cselect_b64 s[4:5], -1, 0
	s_xor_b64 s[10:11], s[4:5], -1
	s_and_b64 vcc, exec, s[4:5]
	v_mov_b32_e32 v2, s8
	s_cbranch_vccnz .LBB153_2
; %bb.1:
	v_mov_b64_e32 v[2:3], s[8:9]
	flat_load_dword v2, v[2:3]
.LBB153_2:
	v_cndmask_b32_e64 v1, 0, 1, s[10:11]
	v_cmp_ne_u32_e64 s[4:5], 1, v1
	s_andn2_b64 vcc, exec, s[10:11]
	v_mov_b32_e32 v3, s9
	s_cbranch_vccz .LBB153_16
; %bb.3:
	s_and_b64 vcc, exec, s[4:5]
	v_mov_b32_e32 v4, s6
	s_cbranch_vccz .LBB153_17
.LBB153_4:
	s_and_b64 vcc, exec, s[4:5]
	v_mov_b32_e32 v5, s7
	s_cbranch_vccnz .LBB153_6
.LBB153_5:
	v_mov_b64_e32 v[6:7], s[6:7]
	flat_load_dword v5, v[6:7] offset:4
.LBB153_6:
	s_waitcnt vmcnt(0) lgkmcnt(0)
	v_and_b32_e32 v1, 0x7fffffff, v2
	v_cmp_eq_u32_e32 vcc, 0, v1
	v_cmp_eq_f32_e64 s[4:5], 0, v3
	s_and_b64 s[8:9], vcc, s[4:5]
	s_mov_b64 s[4:5], -1
	s_and_saveexec_b64 s[6:7], s[8:9]
; %bb.7:
	v_and_b32_e32 v1, 0x7fffffff, v5
	v_cmp_neq_f32_e32 vcc, 1.0, v4
	v_cmp_ne_u32_e64 s[4:5], 0, v1
	s_or_b64 s[4:5], vcc, s[4:5]
	s_orn2_b64 s[4:5], s[4:5], exec
; %bb.8:
	s_or_b64 exec, exec, s[6:7]
	s_and_saveexec_b64 s[6:7], s[4:5]
	s_cbranch_execz .LBB153_29
; %bb.9:
	s_load_dwordx2 s[14:15], s[0:1], 0x0
	v_lshrrev_b32_e32 v1, 3, v0
	v_lshl_or_b32 v6, s2, 4, v1
	s_waitcnt lgkmcnt(0)
	v_cmp_gt_i32_e32 vcc, s14, v6
	s_and_b64 exec, exec, vcc
	s_cbranch_execz .LBB153_29
; %bb.10:
	s_load_dwordx8 s[4:11], s[0:1], 0x10
	v_ashrrev_i32_e32 v7, 31, v6
	s_cmp_lg_u32 s15, 0
	s_waitcnt lgkmcnt(0)
	v_lshl_add_u64 v[8:9], v[6:7], 2, s[4:5]
	global_load_dwordx2 v[8:9], v[8:9], off
	v_and_b32_e32 v7, 7, v0
	s_waitcnt vmcnt(0)
	v_subrev_u32_e32 v0, s12, v8
	v_subrev_u32_e32 v16, s12, v9
	v_add_u32_e32 v8, v0, v7
	v_cmp_lt_i32_e64 s[2:3], v8, v16
	s_cbranch_scc0 .LBB153_18
; %bb.11:
	v_mov_b32_e32 v11, 0
	v_mov_b32_e32 v10, v11
	;; [unrolled: 1-line block ×4, first 2 shown]
	s_and_saveexec_b64 s[4:5], s[2:3]
	s_cbranch_execz .LBB153_15
; %bb.12:
	v_mov_b32_e32 v13, 0
	v_lshlrev_b32_e32 v12, 1, v8
	s_mov_b64 s[14:15], 0
	v_mov_b32_e32 v14, v8
	v_mov_b32_e32 v0, v13
	;; [unrolled: 1-line block ×5, first 2 shown]
.LBB153_13:                             ; =>This Inner Loop Header: Depth=1
	v_ashrrev_i32_e32 v15, 31, v14
	v_lshl_add_u64 v[18:19], v[14:15], 2, s[6:7]
	global_load_dword v9, v[18:19], off
	v_mov_b32_e32 v23, v13
	v_lshl_add_u64 v[18:19], v[12:13], 3, s[8:9]
	global_load_dwordx4 v[18:21], v[18:19], off
	v_add_u32_e32 v14, 8, v14
	v_cmp_ge_i32_e32 vcc, v14, v16
	v_add_u32_e32 v12, 16, v12
	s_or_b64 s[14:15], vcc, s[14:15]
	s_waitcnt vmcnt(1)
	v_subrev_u32_e32 v22, s12, v9
	v_lshl_add_u64 v[22:23], v[22:23], 3, s[10:11]
	global_load_dwordx2 v[22:23], v[22:23], off
	s_waitcnt vmcnt(1)
	v_xor_b32_e32 v24, 0x80000000, v21
	v_mov_b32_e32 v25, v20
	s_waitcnt vmcnt(0)
	v_pk_fma_f32 v[10:11], v[18:19], v[22:23], v[10:11] op_sel_hi:[1,0,1]
	v_pk_fma_f32 v[0:1], v[20:21], v[22:23], v[0:1] op_sel_hi:[1,0,1]
	v_pk_fma_f32 v[10:11], v[18:19], v[22:23], v[10:11] op_sel:[1,1,0] op_sel_hi:[0,1,1] neg_lo:[1,0,0]
	v_pk_fma_f32 v[0:1], v[24:25], v[22:23], v[0:1] op_sel:[0,1,0]
	s_andn2_b64 exec, exec, s[14:15]
	s_cbranch_execnz .LBB153_13
; %bb.14:
	s_or_b64 exec, exec, s[14:15]
.LBB153_15:
	s_or_b64 exec, exec, s[4:5]
	s_cbranch_execz .LBB153_19
	s_branch .LBB153_24
.LBB153_16:
	v_mov_b64_e32 v[4:5], s[8:9]
	flat_load_dword v3, v[4:5] offset:4
	s_and_b64 vcc, exec, s[4:5]
	v_mov_b32_e32 v4, s6
	s_cbranch_vccnz .LBB153_4
.LBB153_17:
	v_mov_b64_e32 v[4:5], s[6:7]
	flat_load_dword v4, v[4:5]
	s_and_b64 vcc, exec, s[4:5]
	v_mov_b32_e32 v5, s7
	s_cbranch_vccz .LBB153_5
	s_branch .LBB153_6
.LBB153_18:
                                        ; implicit-def: $vgpr11
                                        ; implicit-def: $vgpr1
.LBB153_19:
	v_mov_b32_e32 v11, 0
	v_mov_b32_e32 v10, v11
	;; [unrolled: 1-line block ×4, first 2 shown]
	s_and_saveexec_b64 s[4:5], s[2:3]
	s_cbranch_execz .LBB153_23
; %bb.20:
	v_mov_b32_e32 v13, 0
	v_lshlrev_b32_e32 v12, 1, v8
	s_mov_b64 s[2:3], 0
	v_mov_b32_e32 v0, v13
	v_mov_b32_e32 v1, v13
	;; [unrolled: 1-line block ×4, first 2 shown]
.LBB153_21:                             ; =>This Inner Loop Header: Depth=1
	v_ashrrev_i32_e32 v9, 31, v8
	v_lshl_add_u64 v[14:15], v[8:9], 2, s[6:7]
	global_load_dword v9, v[14:15], off
	v_lshl_add_u64 v[14:15], v[12:13], 3, s[8:9]
	v_mov_b32_e32 v23, v13
	global_load_dwordx4 v[18:21], v[14:15], off
	v_add_u32_e32 v8, 8, v8
	v_cmp_ge_i32_e32 vcc, v8, v16
	v_add_u32_e32 v12, 16, v12
	s_or_b64 s[2:3], vcc, s[2:3]
	s_waitcnt vmcnt(1)
	v_subrev_u32_e32 v22, s12, v9
	v_lshl_add_u64 v[14:15], v[22:23], 3, s[10:11]
	global_load_dwordx2 v[14:15], v[14:15], off
	s_waitcnt vmcnt(1)
	v_xor_b32_e32 v22, 0x80000000, v21
	v_mov_b32_e32 v23, v20
	s_waitcnt vmcnt(0)
	v_pk_fma_f32 v[10:11], v[18:19], v[14:15], v[10:11] op_sel_hi:[1,0,1]
	v_pk_fma_f32 v[0:1], v[20:21], v[14:15], v[0:1] op_sel_hi:[1,0,1]
	v_pk_fma_f32 v[10:11], v[18:19], v[14:15], v[10:11] op_sel:[1,1,0] op_sel_hi:[0,1,1] neg_lo:[1,0,0]
	v_pk_fma_f32 v[0:1], v[22:23], v[14:15], v[0:1] op_sel:[0,1,0]
	s_andn2_b64 exec, exec, s[2:3]
	s_cbranch_execnz .LBB153_21
; %bb.22:
	s_or_b64 exec, exec, s[2:3]
.LBB153_23:
	s_or_b64 exec, exec, s[4:5]
.LBB153_24:
	v_mov_b32_dpp v12, v0 row_shr:1 row_mask:0xf bank_mask:0xf
	v_add_f32_e32 v0, v0, v12
	v_mov_b32_dpp v8, v10 row_shr:1 row_mask:0xf bank_mask:0xf
	v_add_f32_e32 v8, v10, v8
	v_mov_b32_dpp v12, v0 row_shr:2 row_mask:0xf bank_mask:0xf
	v_mov_b32_dpp v10, v11 row_shr:1 row_mask:0xf bank_mask:0xf
	v_add_f32_e32 v0, v0, v12
	v_mov_b32_dpp v12, v1 row_shr:1 row_mask:0xf bank_mask:0xf
	v_add_f32_e32 v10, v11, v10
	v_add_f32_e32 v1, v1, v12
	v_mov_b32_dpp v9, v8 row_shr:2 row_mask:0xf bank_mask:0xf
	v_mov_b32_dpp v11, v10 row_shr:2 row_mask:0xf bank_mask:0xf
	;; [unrolled: 1-line block ×3, first 2 shown]
	v_add_f32_e32 v8, v8, v9
	v_add_f32_e32 v10, v10, v11
	;; [unrolled: 1-line block ×3, first 2 shown]
	v_mov_b32_dpp v9, v8 row_shr:4 row_mask:0xf bank_mask:0xe
	v_mov_b32_dpp v11, v10 row_shr:4 row_mask:0xf bank_mask:0xe
	;; [unrolled: 1-line block ×4, first 2 shown]
	v_cmp_eq_u32_e32 vcc, 7, v7
	s_and_b64 exec, exec, vcc
	s_cbranch_execz .LBB153_29
; %bb.25:
	s_load_dwordx2 s[2:3], s[0:1], 0x38
	v_add_f32_e32 v12, v10, v11
	v_add_f32_e32 v10, v1, v14
	v_and_b32_e32 v1, 0x7fffffff, v4
	v_cmp_eq_u32_e32 vcc, 0, v1
	v_cmp_eq_f32_e64 s[0:1], 0, v5
	v_add_f32_e32 v8, v8, v9
	v_add_f32_e32 v0, v0, v13
	s_and_b64 s[0:1], vcc, s[0:1]
	s_and_saveexec_b64 s[4:5], s[0:1]
	s_xor_b64 s[0:1], exec, s[4:5]
	s_cbranch_execz .LBB153_27
; %bb.26:
	v_lshlrev_b32_e32 v4, 1, v6
	v_xor_b32_e32 v14, 0x80000000, v3
	v_ashrrev_i32_e32 v5, 31, v4
	v_mov_b32_e32 v15, v2
	s_waitcnt lgkmcnt(0)
	v_lshl_add_u64 v[16:17], v[4:5], 3, s[2:3]
	v_pk_mul_f32 v[4:5], v[12:13], v[14:15] op_sel_hi:[0,1]
	v_pk_mul_f32 v[6:7], v[10:11], v[14:15] op_sel_hi:[0,1]
	v_pk_fma_f32 v[4:5], v[2:3], v[8:9], v[4:5] op_sel_hi:[1,0,1]
	v_pk_fma_f32 v[6:7], v[2:3], v[0:1], v[6:7] op_sel_hi:[1,0,1]
	global_store_dwordx4 v[16:17], v[4:7], off
                                        ; implicit-def: $vgpr3
                                        ; implicit-def: $vgpr4
                                        ; implicit-def: $vgpr6
                                        ; implicit-def: $vgpr8
                                        ; implicit-def: $vgpr12
                                        ; implicit-def: $vgpr0
                                        ; implicit-def: $vgpr10
.LBB153_27:
	s_andn2_saveexec_b64 s[0:1], s[0:1]
	s_cbranch_execz .LBB153_29
; %bb.28:
	v_lshlrev_b32_e32 v6, 1, v6
	v_ashrrev_i32_e32 v7, 31, v6
	s_waitcnt lgkmcnt(0)
	v_lshl_add_u64 v[6:7], v[6:7], 3, s[2:3]
	global_load_dwordx4 v[14:17], v[6:7], off
	v_xor_b32_e32 v18, 0x80000000, v3
	v_mov_b32_e32 v19, v2
	v_pk_mul_f32 v[12:13], v[12:13], v[18:19] op_sel_hi:[0,1]
	v_pk_mul_f32 v[10:11], v[10:11], v[18:19] op_sel_hi:[0,1]
	v_pk_fma_f32 v[8:9], v[2:3], v[8:9], v[12:13] op_sel_hi:[1,0,1]
	v_pk_fma_f32 v[0:1], v[2:3], v[0:1], v[10:11] op_sel_hi:[1,0,1]
	v_xor_b32_e32 v20, 0x80000000, v5
	v_mov_b32_e32 v21, v4
	s_waitcnt vmcnt(0)
	v_pk_fma_f32 v[2:3], v[4:5], v[14:15], v[8:9] op_sel_hi:[1,0,1]
	v_pk_fma_f32 v[4:5], v[4:5], v[16:17], v[0:1] op_sel_hi:[1,0,1]
	v_mov_b32_e32 v8, v17
	v_pk_fma_f32 v[0:1], v[20:21], v[14:15], v[2:3] op_sel:[0,1,0]
	v_pk_fma_f32 v[2:3], v[20:21], v[8:9], v[4:5] op_sel_hi:[1,0,1]
	global_store_dwordx4 v[6:7], v[0:3], off
.LBB153_29:
	s_endpgm
	.section	.rodata,"a",@progbits
	.p2align	6, 0x0
	.amdhsa_kernel _ZN9rocsparseL19gebsrmvn_2xn_kernelILj128ELj1ELj8E21rocsparse_complex_numIfEEEvi20rocsparse_direction_NS_24const_host_device_scalarIT2_EEPKiS8_PKS5_SA_S6_PS5_21rocsparse_index_base_b
		.amdhsa_group_segment_fixed_size 0
		.amdhsa_private_segment_fixed_size 0
		.amdhsa_kernarg_size 72
		.amdhsa_user_sgpr_count 2
		.amdhsa_user_sgpr_dispatch_ptr 0
		.amdhsa_user_sgpr_queue_ptr 0
		.amdhsa_user_sgpr_kernarg_segment_ptr 1
		.amdhsa_user_sgpr_dispatch_id 0
		.amdhsa_user_sgpr_kernarg_preload_length 0
		.amdhsa_user_sgpr_kernarg_preload_offset 0
		.amdhsa_user_sgpr_private_segment_size 0
		.amdhsa_uses_dynamic_stack 0
		.amdhsa_enable_private_segment 0
		.amdhsa_system_sgpr_workgroup_id_x 1
		.amdhsa_system_sgpr_workgroup_id_y 0
		.amdhsa_system_sgpr_workgroup_id_z 0
		.amdhsa_system_sgpr_workgroup_info 0
		.amdhsa_system_vgpr_workitem_id 0
		.amdhsa_next_free_vgpr 26
		.amdhsa_next_free_sgpr 16
		.amdhsa_accum_offset 28
		.amdhsa_reserve_vcc 1
		.amdhsa_float_round_mode_32 0
		.amdhsa_float_round_mode_16_64 0
		.amdhsa_float_denorm_mode_32 3
		.amdhsa_float_denorm_mode_16_64 3
		.amdhsa_dx10_clamp 1
		.amdhsa_ieee_mode 1
		.amdhsa_fp16_overflow 0
		.amdhsa_tg_split 0
		.amdhsa_exception_fp_ieee_invalid_op 0
		.amdhsa_exception_fp_denorm_src 0
		.amdhsa_exception_fp_ieee_div_zero 0
		.amdhsa_exception_fp_ieee_overflow 0
		.amdhsa_exception_fp_ieee_underflow 0
		.amdhsa_exception_fp_ieee_inexact 0
		.amdhsa_exception_int_div_zero 0
	.end_amdhsa_kernel
	.section	.text._ZN9rocsparseL19gebsrmvn_2xn_kernelILj128ELj1ELj8E21rocsparse_complex_numIfEEEvi20rocsparse_direction_NS_24const_host_device_scalarIT2_EEPKiS8_PKS5_SA_S6_PS5_21rocsparse_index_base_b,"axG",@progbits,_ZN9rocsparseL19gebsrmvn_2xn_kernelILj128ELj1ELj8E21rocsparse_complex_numIfEEEvi20rocsparse_direction_NS_24const_host_device_scalarIT2_EEPKiS8_PKS5_SA_S6_PS5_21rocsparse_index_base_b,comdat
.Lfunc_end153:
	.size	_ZN9rocsparseL19gebsrmvn_2xn_kernelILj128ELj1ELj8E21rocsparse_complex_numIfEEEvi20rocsparse_direction_NS_24const_host_device_scalarIT2_EEPKiS8_PKS5_SA_S6_PS5_21rocsparse_index_base_b, .Lfunc_end153-_ZN9rocsparseL19gebsrmvn_2xn_kernelILj128ELj1ELj8E21rocsparse_complex_numIfEEEvi20rocsparse_direction_NS_24const_host_device_scalarIT2_EEPKiS8_PKS5_SA_S6_PS5_21rocsparse_index_base_b
                                        ; -- End function
	.section	.AMDGPU.csdata,"",@progbits
; Kernel info:
; codeLenInByte = 1188
; NumSgprs: 22
; NumVgprs: 26
; NumAgprs: 0
; TotalNumVgprs: 26
; ScratchSize: 0
; MemoryBound: 0
; FloatMode: 240
; IeeeMode: 1
; LDSByteSize: 0 bytes/workgroup (compile time only)
; SGPRBlocks: 2
; VGPRBlocks: 3
; NumSGPRsForWavesPerEU: 22
; NumVGPRsForWavesPerEU: 26
; AccumOffset: 28
; Occupancy: 8
; WaveLimiterHint : 1
; COMPUTE_PGM_RSRC2:SCRATCH_EN: 0
; COMPUTE_PGM_RSRC2:USER_SGPR: 2
; COMPUTE_PGM_RSRC2:TRAP_HANDLER: 0
; COMPUTE_PGM_RSRC2:TGID_X_EN: 1
; COMPUTE_PGM_RSRC2:TGID_Y_EN: 0
; COMPUTE_PGM_RSRC2:TGID_Z_EN: 0
; COMPUTE_PGM_RSRC2:TIDIG_COMP_CNT: 0
; COMPUTE_PGM_RSRC3_GFX90A:ACCUM_OFFSET: 6
; COMPUTE_PGM_RSRC3_GFX90A:TG_SPLIT: 0
	.section	.text._ZN9rocsparseL19gebsrmvn_2xn_kernelILj128ELj1ELj16E21rocsparse_complex_numIfEEEvi20rocsparse_direction_NS_24const_host_device_scalarIT2_EEPKiS8_PKS5_SA_S6_PS5_21rocsparse_index_base_b,"axG",@progbits,_ZN9rocsparseL19gebsrmvn_2xn_kernelILj128ELj1ELj16E21rocsparse_complex_numIfEEEvi20rocsparse_direction_NS_24const_host_device_scalarIT2_EEPKiS8_PKS5_SA_S6_PS5_21rocsparse_index_base_b,comdat
	.globl	_ZN9rocsparseL19gebsrmvn_2xn_kernelILj128ELj1ELj16E21rocsparse_complex_numIfEEEvi20rocsparse_direction_NS_24const_host_device_scalarIT2_EEPKiS8_PKS5_SA_S6_PS5_21rocsparse_index_base_b ; -- Begin function _ZN9rocsparseL19gebsrmvn_2xn_kernelILj128ELj1ELj16E21rocsparse_complex_numIfEEEvi20rocsparse_direction_NS_24const_host_device_scalarIT2_EEPKiS8_PKS5_SA_S6_PS5_21rocsparse_index_base_b
	.p2align	8
	.type	_ZN9rocsparseL19gebsrmvn_2xn_kernelILj128ELj1ELj16E21rocsparse_complex_numIfEEEvi20rocsparse_direction_NS_24const_host_device_scalarIT2_EEPKiS8_PKS5_SA_S6_PS5_21rocsparse_index_base_b,@function
_ZN9rocsparseL19gebsrmvn_2xn_kernelILj128ELj1ELj16E21rocsparse_complex_numIfEEEvi20rocsparse_direction_NS_24const_host_device_scalarIT2_EEPKiS8_PKS5_SA_S6_PS5_21rocsparse_index_base_b: ; @_ZN9rocsparseL19gebsrmvn_2xn_kernelILj128ELj1ELj16E21rocsparse_complex_numIfEEEvi20rocsparse_direction_NS_24const_host_device_scalarIT2_EEPKiS8_PKS5_SA_S6_PS5_21rocsparse_index_base_b
; %bb.0:
	s_load_dwordx2 s[12:13], s[0:1], 0x40
	s_load_dwordx2 s[8:9], s[0:1], 0x8
	;; [unrolled: 1-line block ×3, first 2 shown]
	s_waitcnt lgkmcnt(0)
	s_bitcmp1_b32 s13, 0
	s_cselect_b64 s[4:5], -1, 0
	s_xor_b64 s[10:11], s[4:5], -1
	s_and_b64 vcc, exec, s[4:5]
	v_mov_b32_e32 v2, s8
	s_cbranch_vccnz .LBB154_2
; %bb.1:
	v_mov_b64_e32 v[2:3], s[8:9]
	flat_load_dword v2, v[2:3]
.LBB154_2:
	v_cndmask_b32_e64 v1, 0, 1, s[10:11]
	v_cmp_ne_u32_e64 s[4:5], 1, v1
	s_andn2_b64 vcc, exec, s[10:11]
	v_mov_b32_e32 v3, s9
	s_cbranch_vccz .LBB154_16
; %bb.3:
	s_and_b64 vcc, exec, s[4:5]
	v_mov_b32_e32 v4, s6
	s_cbranch_vccz .LBB154_17
.LBB154_4:
	s_and_b64 vcc, exec, s[4:5]
	v_mov_b32_e32 v5, s7
	s_cbranch_vccnz .LBB154_6
.LBB154_5:
	v_mov_b64_e32 v[6:7], s[6:7]
	flat_load_dword v5, v[6:7] offset:4
.LBB154_6:
	s_waitcnt vmcnt(0) lgkmcnt(0)
	v_and_b32_e32 v1, 0x7fffffff, v2
	v_cmp_eq_u32_e32 vcc, 0, v1
	v_cmp_eq_f32_e64 s[4:5], 0, v3
	s_and_b64 s[8:9], vcc, s[4:5]
	s_mov_b64 s[4:5], -1
	s_and_saveexec_b64 s[6:7], s[8:9]
; %bb.7:
	v_and_b32_e32 v1, 0x7fffffff, v5
	v_cmp_neq_f32_e32 vcc, 1.0, v4
	v_cmp_ne_u32_e64 s[4:5], 0, v1
	s_or_b64 s[4:5], vcc, s[4:5]
	s_orn2_b64 s[4:5], s[4:5], exec
; %bb.8:
	s_or_b64 exec, exec, s[6:7]
	s_and_saveexec_b64 s[6:7], s[4:5]
	s_cbranch_execz .LBB154_29
; %bb.9:
	s_load_dwordx2 s[14:15], s[0:1], 0x0
	v_lshrrev_b32_e32 v1, 4, v0
	v_lshl_or_b32 v6, s2, 3, v1
	s_waitcnt lgkmcnt(0)
	v_cmp_gt_i32_e32 vcc, s14, v6
	s_and_b64 exec, exec, vcc
	s_cbranch_execz .LBB154_29
; %bb.10:
	s_load_dwordx8 s[4:11], s[0:1], 0x10
	v_ashrrev_i32_e32 v7, 31, v6
	s_cmp_lg_u32 s15, 0
	s_waitcnt lgkmcnt(0)
	v_lshl_add_u64 v[8:9], v[6:7], 2, s[4:5]
	global_load_dwordx2 v[8:9], v[8:9], off
	v_and_b32_e32 v7, 15, v0
	s_waitcnt vmcnt(0)
	v_subrev_u32_e32 v0, s12, v8
	v_subrev_u32_e32 v16, s12, v9
	v_add_u32_e32 v10, v0, v7
	v_cmp_lt_i32_e64 s[2:3], v10, v16
	s_cbranch_scc0 .LBB154_18
; %bb.11:
	v_mov_b32_e32 v9, 0
	v_mov_b32_e32 v8, v9
	;; [unrolled: 1-line block ×4, first 2 shown]
	s_and_saveexec_b64 s[4:5], s[2:3]
	s_cbranch_execz .LBB154_15
; %bb.12:
	v_mov_b32_e32 v13, 0
	v_lshlrev_b32_e32 v12, 1, v10
	s_mov_b64 s[14:15], 0
	v_mov_b32_e32 v14, v10
	v_mov_b32_e32 v0, v13
	;; [unrolled: 1-line block ×5, first 2 shown]
.LBB154_13:                             ; =>This Inner Loop Header: Depth=1
	v_ashrrev_i32_e32 v15, 31, v14
	v_lshl_add_u64 v[18:19], v[14:15], 2, s[6:7]
	global_load_dword v11, v[18:19], off
	v_mov_b32_e32 v23, v13
	v_lshl_add_u64 v[18:19], v[12:13], 3, s[8:9]
	global_load_dwordx4 v[18:21], v[18:19], off
	v_add_u32_e32 v14, 16, v14
	v_cmp_ge_i32_e32 vcc, v14, v16
	v_add_u32_e32 v12, 32, v12
	s_or_b64 s[14:15], vcc, s[14:15]
	s_waitcnt vmcnt(1)
	v_subrev_u32_e32 v22, s12, v11
	v_lshl_add_u64 v[22:23], v[22:23], 3, s[10:11]
	global_load_dwordx2 v[22:23], v[22:23], off
	s_waitcnt vmcnt(1)
	v_xor_b32_e32 v24, 0x80000000, v21
	v_mov_b32_e32 v25, v20
	s_waitcnt vmcnt(0)
	v_pk_fma_f32 v[8:9], v[18:19], v[22:23], v[8:9] op_sel_hi:[1,0,1]
	v_pk_fma_f32 v[0:1], v[20:21], v[22:23], v[0:1] op_sel_hi:[1,0,1]
	v_pk_fma_f32 v[8:9], v[18:19], v[22:23], v[8:9] op_sel:[1,1,0] op_sel_hi:[0,1,1] neg_lo:[1,0,0]
	v_pk_fma_f32 v[0:1], v[24:25], v[22:23], v[0:1] op_sel:[0,1,0]
	s_andn2_b64 exec, exec, s[14:15]
	s_cbranch_execnz .LBB154_13
; %bb.14:
	s_or_b64 exec, exec, s[14:15]
.LBB154_15:
	s_or_b64 exec, exec, s[4:5]
	s_cbranch_execz .LBB154_19
	s_branch .LBB154_24
.LBB154_16:
	v_mov_b64_e32 v[4:5], s[8:9]
	flat_load_dword v3, v[4:5] offset:4
	s_and_b64 vcc, exec, s[4:5]
	v_mov_b32_e32 v4, s6
	s_cbranch_vccnz .LBB154_4
.LBB154_17:
	v_mov_b64_e32 v[4:5], s[6:7]
	flat_load_dword v4, v[4:5]
	s_and_b64 vcc, exec, s[4:5]
	v_mov_b32_e32 v5, s7
	s_cbranch_vccz .LBB154_5
	s_branch .LBB154_6
.LBB154_18:
                                        ; implicit-def: $vgpr9
                                        ; implicit-def: $vgpr1
.LBB154_19:
	v_mov_b32_e32 v9, 0
	v_mov_b32_e32 v8, v9
	;; [unrolled: 1-line block ×4, first 2 shown]
	s_and_saveexec_b64 s[4:5], s[2:3]
	s_cbranch_execz .LBB154_23
; %bb.20:
	v_mov_b32_e32 v13, 0
	v_lshlrev_b32_e32 v12, 1, v10
	s_mov_b64 s[2:3], 0
	v_mov_b32_e32 v0, v13
	v_mov_b32_e32 v1, v13
	;; [unrolled: 1-line block ×4, first 2 shown]
.LBB154_21:                             ; =>This Inner Loop Header: Depth=1
	v_ashrrev_i32_e32 v11, 31, v10
	v_lshl_add_u64 v[14:15], v[10:11], 2, s[6:7]
	global_load_dword v11, v[14:15], off
	v_lshl_add_u64 v[14:15], v[12:13], 3, s[8:9]
	v_mov_b32_e32 v23, v13
	global_load_dwordx4 v[18:21], v[14:15], off
	v_add_u32_e32 v10, 16, v10
	v_cmp_ge_i32_e32 vcc, v10, v16
	v_add_u32_e32 v12, 32, v12
	s_or_b64 s[2:3], vcc, s[2:3]
	s_waitcnt vmcnt(1)
	v_subrev_u32_e32 v22, s12, v11
	v_lshl_add_u64 v[14:15], v[22:23], 3, s[10:11]
	global_load_dwordx2 v[14:15], v[14:15], off
	s_waitcnt vmcnt(1)
	v_xor_b32_e32 v22, 0x80000000, v21
	v_mov_b32_e32 v23, v20
	s_waitcnt vmcnt(0)
	v_pk_fma_f32 v[8:9], v[18:19], v[14:15], v[8:9] op_sel_hi:[1,0,1]
	v_pk_fma_f32 v[0:1], v[20:21], v[14:15], v[0:1] op_sel_hi:[1,0,1]
	v_pk_fma_f32 v[8:9], v[18:19], v[14:15], v[8:9] op_sel:[1,1,0] op_sel_hi:[0,1,1] neg_lo:[1,0,0]
	v_pk_fma_f32 v[0:1], v[22:23], v[14:15], v[0:1] op_sel:[0,1,0]
	s_andn2_b64 exec, exec, s[2:3]
	s_cbranch_execnz .LBB154_21
; %bb.22:
	s_or_b64 exec, exec, s[2:3]
.LBB154_23:
	s_or_b64 exec, exec, s[4:5]
.LBB154_24:
	v_mov_b32_dpp v12, v0 row_shr:1 row_mask:0xf bank_mask:0xf
	v_add_f32_e32 v0, v0, v12
	v_mov_b32_dpp v10, v8 row_shr:1 row_mask:0xf bank_mask:0xf
	v_mov_b32_dpp v11, v9 row_shr:1 row_mask:0xf bank_mask:0xf
	;; [unrolled: 1-line block ×3, first 2 shown]
	v_add_f32_e32 v0, v0, v12
	v_add_f32_e32 v8, v8, v10
	;; [unrolled: 1-line block ×3, first 2 shown]
	v_mov_b32_dpp v12, v0 row_shr:4 row_mask:0xf bank_mask:0xe
	v_add_f32_e32 v0, v0, v12
	v_mov_b32_dpp v10, v8 row_shr:2 row_mask:0xf bank_mask:0xf
	v_mov_b32_dpp v12, v1 row_shr:1 row_mask:0xf bank_mask:0xf
	v_add_f32_e32 v1, v1, v12
	v_mov_b32_dpp v11, v9 row_shr:2 row_mask:0xf bank_mask:0xf
	v_add_f32_e32 v8, v8, v10
	v_mov_b32_dpp v12, v1 row_shr:2 row_mask:0xf bank_mask:0xf
	v_add_f32_e32 v9, v9, v11
	v_add_f32_e32 v1, v1, v12
	v_mov_b32_dpp v10, v8 row_shr:4 row_mask:0xf bank_mask:0xe
	v_mov_b32_dpp v11, v9 row_shr:4 row_mask:0xf bank_mask:0xe
	v_mov_b32_dpp v12, v1 row_shr:4 row_mask:0xf bank_mask:0xe
	v_add_f32_e32 v8, v8, v10
	v_add_f32_e32 v9, v9, v11
	;; [unrolled: 1-line block ×3, first 2 shown]
	v_mov_b32_dpp v10, v8 row_shr:8 row_mask:0xf bank_mask:0xc
	v_mov_b32_dpp v11, v9 row_shr:8 row_mask:0xf bank_mask:0xc
	v_mov_b32_dpp v13, v0 row_shr:8 row_mask:0xf bank_mask:0xc
	v_mov_b32_dpp v14, v1 row_shr:8 row_mask:0xf bank_mask:0xc
	v_cmp_eq_u32_e32 vcc, 15, v7
	s_and_b64 exec, exec, vcc
	s_cbranch_execz .LBB154_29
; %bb.25:
	s_load_dwordx2 s[2:3], s[0:1], 0x38
	v_add_f32_e32 v8, v8, v10
	v_add_f32_e32 v10, v1, v14
	v_and_b32_e32 v1, 0x7fffffff, v4
	v_cmp_eq_u32_e32 vcc, 0, v1
	v_cmp_eq_f32_e64 s[0:1], 0, v5
	v_add_f32_e32 v12, v9, v11
	v_add_f32_e32 v0, v0, v13
	s_and_b64 s[0:1], vcc, s[0:1]
	s_and_saveexec_b64 s[4:5], s[0:1]
	s_xor_b64 s[0:1], exec, s[4:5]
	s_cbranch_execz .LBB154_27
; %bb.26:
	v_lshlrev_b32_e32 v4, 1, v6
	v_xor_b32_e32 v14, 0x80000000, v3
	v_ashrrev_i32_e32 v5, 31, v4
	v_mov_b32_e32 v15, v2
	s_waitcnt lgkmcnt(0)
	v_lshl_add_u64 v[16:17], v[4:5], 3, s[2:3]
	v_pk_mul_f32 v[4:5], v[12:13], v[14:15] op_sel_hi:[0,1]
	v_pk_mul_f32 v[6:7], v[10:11], v[14:15] op_sel_hi:[0,1]
	v_pk_fma_f32 v[4:5], v[2:3], v[8:9], v[4:5] op_sel_hi:[1,0,1]
	v_pk_fma_f32 v[6:7], v[2:3], v[0:1], v[6:7] op_sel_hi:[1,0,1]
	global_store_dwordx4 v[16:17], v[4:7], off
                                        ; implicit-def: $vgpr3
                                        ; implicit-def: $vgpr4
                                        ; implicit-def: $vgpr6
                                        ; implicit-def: $vgpr8
                                        ; implicit-def: $vgpr12
                                        ; implicit-def: $vgpr0
                                        ; implicit-def: $vgpr10
.LBB154_27:
	s_andn2_saveexec_b64 s[0:1], s[0:1]
	s_cbranch_execz .LBB154_29
; %bb.28:
	v_lshlrev_b32_e32 v6, 1, v6
	v_ashrrev_i32_e32 v7, 31, v6
	s_waitcnt lgkmcnt(0)
	v_lshl_add_u64 v[6:7], v[6:7], 3, s[2:3]
	global_load_dwordx4 v[14:17], v[6:7], off
	v_xor_b32_e32 v18, 0x80000000, v3
	v_mov_b32_e32 v19, v2
	v_pk_mul_f32 v[12:13], v[12:13], v[18:19] op_sel_hi:[0,1]
	v_pk_mul_f32 v[10:11], v[10:11], v[18:19] op_sel_hi:[0,1]
	v_pk_fma_f32 v[8:9], v[2:3], v[8:9], v[12:13] op_sel_hi:[1,0,1]
	v_pk_fma_f32 v[0:1], v[2:3], v[0:1], v[10:11] op_sel_hi:[1,0,1]
	v_xor_b32_e32 v20, 0x80000000, v5
	v_mov_b32_e32 v21, v4
	s_waitcnt vmcnt(0)
	v_pk_fma_f32 v[2:3], v[4:5], v[14:15], v[8:9] op_sel_hi:[1,0,1]
	v_pk_fma_f32 v[4:5], v[4:5], v[16:17], v[0:1] op_sel_hi:[1,0,1]
	v_mov_b32_e32 v8, v17
	v_pk_fma_f32 v[0:1], v[20:21], v[14:15], v[2:3] op_sel:[0,1,0]
	v_pk_fma_f32 v[2:3], v[20:21], v[8:9], v[4:5] op_sel_hi:[1,0,1]
	global_store_dwordx4 v[6:7], v[0:3], off
.LBB154_29:
	s_endpgm
	.section	.rodata,"a",@progbits
	.p2align	6, 0x0
	.amdhsa_kernel _ZN9rocsparseL19gebsrmvn_2xn_kernelILj128ELj1ELj16E21rocsparse_complex_numIfEEEvi20rocsparse_direction_NS_24const_host_device_scalarIT2_EEPKiS8_PKS5_SA_S6_PS5_21rocsparse_index_base_b
		.amdhsa_group_segment_fixed_size 0
		.amdhsa_private_segment_fixed_size 0
		.amdhsa_kernarg_size 72
		.amdhsa_user_sgpr_count 2
		.amdhsa_user_sgpr_dispatch_ptr 0
		.amdhsa_user_sgpr_queue_ptr 0
		.amdhsa_user_sgpr_kernarg_segment_ptr 1
		.amdhsa_user_sgpr_dispatch_id 0
		.amdhsa_user_sgpr_kernarg_preload_length 0
		.amdhsa_user_sgpr_kernarg_preload_offset 0
		.amdhsa_user_sgpr_private_segment_size 0
		.amdhsa_uses_dynamic_stack 0
		.amdhsa_enable_private_segment 0
		.amdhsa_system_sgpr_workgroup_id_x 1
		.amdhsa_system_sgpr_workgroup_id_y 0
		.amdhsa_system_sgpr_workgroup_id_z 0
		.amdhsa_system_sgpr_workgroup_info 0
		.amdhsa_system_vgpr_workitem_id 0
		.amdhsa_next_free_vgpr 26
		.amdhsa_next_free_sgpr 16
		.amdhsa_accum_offset 28
		.amdhsa_reserve_vcc 1
		.amdhsa_float_round_mode_32 0
		.amdhsa_float_round_mode_16_64 0
		.amdhsa_float_denorm_mode_32 3
		.amdhsa_float_denorm_mode_16_64 3
		.amdhsa_dx10_clamp 1
		.amdhsa_ieee_mode 1
		.amdhsa_fp16_overflow 0
		.amdhsa_tg_split 0
		.amdhsa_exception_fp_ieee_invalid_op 0
		.amdhsa_exception_fp_denorm_src 0
		.amdhsa_exception_fp_ieee_div_zero 0
		.amdhsa_exception_fp_ieee_overflow 0
		.amdhsa_exception_fp_ieee_underflow 0
		.amdhsa_exception_fp_ieee_inexact 0
		.amdhsa_exception_int_div_zero 0
	.end_amdhsa_kernel
	.section	.text._ZN9rocsparseL19gebsrmvn_2xn_kernelILj128ELj1ELj16E21rocsparse_complex_numIfEEEvi20rocsparse_direction_NS_24const_host_device_scalarIT2_EEPKiS8_PKS5_SA_S6_PS5_21rocsparse_index_base_b,"axG",@progbits,_ZN9rocsparseL19gebsrmvn_2xn_kernelILj128ELj1ELj16E21rocsparse_complex_numIfEEEvi20rocsparse_direction_NS_24const_host_device_scalarIT2_EEPKiS8_PKS5_SA_S6_PS5_21rocsparse_index_base_b,comdat
.Lfunc_end154:
	.size	_ZN9rocsparseL19gebsrmvn_2xn_kernelILj128ELj1ELj16E21rocsparse_complex_numIfEEEvi20rocsparse_direction_NS_24const_host_device_scalarIT2_EEPKiS8_PKS5_SA_S6_PS5_21rocsparse_index_base_b, .Lfunc_end154-_ZN9rocsparseL19gebsrmvn_2xn_kernelILj128ELj1ELj16E21rocsparse_complex_numIfEEEvi20rocsparse_direction_NS_24const_host_device_scalarIT2_EEPKiS8_PKS5_SA_S6_PS5_21rocsparse_index_base_b
                                        ; -- End function
	.section	.AMDGPU.csdata,"",@progbits
; Kernel info:
; codeLenInByte = 1236
; NumSgprs: 22
; NumVgprs: 26
; NumAgprs: 0
; TotalNumVgprs: 26
; ScratchSize: 0
; MemoryBound: 0
; FloatMode: 240
; IeeeMode: 1
; LDSByteSize: 0 bytes/workgroup (compile time only)
; SGPRBlocks: 2
; VGPRBlocks: 3
; NumSGPRsForWavesPerEU: 22
; NumVGPRsForWavesPerEU: 26
; AccumOffset: 28
; Occupancy: 8
; WaveLimiterHint : 1
; COMPUTE_PGM_RSRC2:SCRATCH_EN: 0
; COMPUTE_PGM_RSRC2:USER_SGPR: 2
; COMPUTE_PGM_RSRC2:TRAP_HANDLER: 0
; COMPUTE_PGM_RSRC2:TGID_X_EN: 1
; COMPUTE_PGM_RSRC2:TGID_Y_EN: 0
; COMPUTE_PGM_RSRC2:TGID_Z_EN: 0
; COMPUTE_PGM_RSRC2:TIDIG_COMP_CNT: 0
; COMPUTE_PGM_RSRC3_GFX90A:ACCUM_OFFSET: 6
; COMPUTE_PGM_RSRC3_GFX90A:TG_SPLIT: 0
	.section	.text._ZN9rocsparseL19gebsrmvn_2xn_kernelILj128ELj1ELj32E21rocsparse_complex_numIfEEEvi20rocsparse_direction_NS_24const_host_device_scalarIT2_EEPKiS8_PKS5_SA_S6_PS5_21rocsparse_index_base_b,"axG",@progbits,_ZN9rocsparseL19gebsrmvn_2xn_kernelILj128ELj1ELj32E21rocsparse_complex_numIfEEEvi20rocsparse_direction_NS_24const_host_device_scalarIT2_EEPKiS8_PKS5_SA_S6_PS5_21rocsparse_index_base_b,comdat
	.globl	_ZN9rocsparseL19gebsrmvn_2xn_kernelILj128ELj1ELj32E21rocsparse_complex_numIfEEEvi20rocsparse_direction_NS_24const_host_device_scalarIT2_EEPKiS8_PKS5_SA_S6_PS5_21rocsparse_index_base_b ; -- Begin function _ZN9rocsparseL19gebsrmvn_2xn_kernelILj128ELj1ELj32E21rocsparse_complex_numIfEEEvi20rocsparse_direction_NS_24const_host_device_scalarIT2_EEPKiS8_PKS5_SA_S6_PS5_21rocsparse_index_base_b
	.p2align	8
	.type	_ZN9rocsparseL19gebsrmvn_2xn_kernelILj128ELj1ELj32E21rocsparse_complex_numIfEEEvi20rocsparse_direction_NS_24const_host_device_scalarIT2_EEPKiS8_PKS5_SA_S6_PS5_21rocsparse_index_base_b,@function
_ZN9rocsparseL19gebsrmvn_2xn_kernelILj128ELj1ELj32E21rocsparse_complex_numIfEEEvi20rocsparse_direction_NS_24const_host_device_scalarIT2_EEPKiS8_PKS5_SA_S6_PS5_21rocsparse_index_base_b: ; @_ZN9rocsparseL19gebsrmvn_2xn_kernelILj128ELj1ELj32E21rocsparse_complex_numIfEEEvi20rocsparse_direction_NS_24const_host_device_scalarIT2_EEPKiS8_PKS5_SA_S6_PS5_21rocsparse_index_base_b
; %bb.0:
	s_load_dwordx2 s[12:13], s[0:1], 0x40
	s_load_dwordx2 s[8:9], s[0:1], 0x8
	s_load_dwordx2 s[6:7], s[0:1], 0x30
	s_waitcnt lgkmcnt(0)
	s_bitcmp1_b32 s13, 0
	s_cselect_b64 s[4:5], -1, 0
	s_xor_b64 s[10:11], s[4:5], -1
	s_and_b64 vcc, exec, s[4:5]
	v_mov_b32_e32 v2, s8
	s_cbranch_vccnz .LBB155_2
; %bb.1:
	v_mov_b64_e32 v[2:3], s[8:9]
	flat_load_dword v2, v[2:3]
.LBB155_2:
	v_cndmask_b32_e64 v1, 0, 1, s[10:11]
	v_cmp_ne_u32_e64 s[4:5], 1, v1
	s_andn2_b64 vcc, exec, s[10:11]
	v_mov_b32_e32 v3, s9
	s_cbranch_vccz .LBB155_16
; %bb.3:
	s_and_b64 vcc, exec, s[4:5]
	v_mov_b32_e32 v4, s6
	s_cbranch_vccz .LBB155_17
.LBB155_4:
	s_and_b64 vcc, exec, s[4:5]
	v_mov_b32_e32 v5, s7
	s_cbranch_vccnz .LBB155_6
.LBB155_5:
	v_mov_b64_e32 v[6:7], s[6:7]
	flat_load_dword v5, v[6:7] offset:4
.LBB155_6:
	s_waitcnt vmcnt(0) lgkmcnt(0)
	v_and_b32_e32 v1, 0x7fffffff, v2
	v_cmp_eq_u32_e32 vcc, 0, v1
	v_cmp_eq_f32_e64 s[4:5], 0, v3
	s_and_b64 s[8:9], vcc, s[4:5]
	s_mov_b64 s[4:5], -1
	s_and_saveexec_b64 s[6:7], s[8:9]
; %bb.7:
	v_and_b32_e32 v1, 0x7fffffff, v5
	v_cmp_neq_f32_e32 vcc, 1.0, v4
	v_cmp_ne_u32_e64 s[4:5], 0, v1
	s_or_b64 s[4:5], vcc, s[4:5]
	s_orn2_b64 s[4:5], s[4:5], exec
; %bb.8:
	s_or_b64 exec, exec, s[6:7]
	s_and_saveexec_b64 s[6:7], s[4:5]
	s_cbranch_execz .LBB155_29
; %bb.9:
	s_load_dwordx2 s[14:15], s[0:1], 0x0
	v_lshrrev_b32_e32 v1, 5, v0
	v_lshl_or_b32 v6, s2, 2, v1
	s_waitcnt lgkmcnt(0)
	v_cmp_gt_i32_e32 vcc, s14, v6
	s_and_b64 exec, exec, vcc
	s_cbranch_execz .LBB155_29
; %bb.10:
	s_load_dwordx8 s[4:11], s[0:1], 0x10
	v_ashrrev_i32_e32 v7, 31, v6
	s_cmp_lg_u32 s15, 0
	s_waitcnt lgkmcnt(0)
	v_lshl_add_u64 v[8:9], v[6:7], 2, s[4:5]
	global_load_dwordx2 v[8:9], v[8:9], off
	v_and_b32_e32 v7, 31, v0
	s_waitcnt vmcnt(0)
	v_subrev_u32_e32 v0, s12, v8
	v_subrev_u32_e32 v16, s12, v9
	v_add_u32_e32 v10, v0, v7
	v_cmp_lt_i32_e64 s[2:3], v10, v16
	s_cbranch_scc0 .LBB155_18
; %bb.11:
	v_mov_b32_e32 v9, 0
	v_mov_b32_e32 v8, v9
	;; [unrolled: 1-line block ×4, first 2 shown]
	s_and_saveexec_b64 s[4:5], s[2:3]
	s_cbranch_execz .LBB155_15
; %bb.12:
	v_mov_b32_e32 v13, 0
	v_lshlrev_b32_e32 v12, 1, v10
	s_mov_b64 s[14:15], 0
	v_mov_b32_e32 v14, v10
	v_mov_b32_e32 v0, v13
	;; [unrolled: 1-line block ×5, first 2 shown]
.LBB155_13:                             ; =>This Inner Loop Header: Depth=1
	v_ashrrev_i32_e32 v15, 31, v14
	v_lshl_add_u64 v[18:19], v[14:15], 2, s[6:7]
	global_load_dword v11, v[18:19], off
	v_mov_b32_e32 v23, v13
	v_lshl_add_u64 v[18:19], v[12:13], 3, s[8:9]
	global_load_dwordx4 v[18:21], v[18:19], off
	v_add_u32_e32 v14, 32, v14
	v_cmp_ge_i32_e32 vcc, v14, v16
	v_add_u32_e32 v12, 64, v12
	s_or_b64 s[14:15], vcc, s[14:15]
	s_waitcnt vmcnt(1)
	v_subrev_u32_e32 v22, s12, v11
	v_lshl_add_u64 v[22:23], v[22:23], 3, s[10:11]
	global_load_dwordx2 v[22:23], v[22:23], off
	s_waitcnt vmcnt(1)
	v_xor_b32_e32 v24, 0x80000000, v21
	v_mov_b32_e32 v25, v20
	s_waitcnt vmcnt(0)
	v_pk_fma_f32 v[8:9], v[18:19], v[22:23], v[8:9] op_sel_hi:[1,0,1]
	v_pk_fma_f32 v[0:1], v[20:21], v[22:23], v[0:1] op_sel_hi:[1,0,1]
	v_pk_fma_f32 v[8:9], v[18:19], v[22:23], v[8:9] op_sel:[1,1,0] op_sel_hi:[0,1,1] neg_lo:[1,0,0]
	v_pk_fma_f32 v[0:1], v[24:25], v[22:23], v[0:1] op_sel:[0,1,0]
	s_andn2_b64 exec, exec, s[14:15]
	s_cbranch_execnz .LBB155_13
; %bb.14:
	s_or_b64 exec, exec, s[14:15]
.LBB155_15:
	s_or_b64 exec, exec, s[4:5]
	s_cbranch_execz .LBB155_19
	s_branch .LBB155_24
.LBB155_16:
	v_mov_b64_e32 v[4:5], s[8:9]
	flat_load_dword v3, v[4:5] offset:4
	s_and_b64 vcc, exec, s[4:5]
	v_mov_b32_e32 v4, s6
	s_cbranch_vccnz .LBB155_4
.LBB155_17:
	v_mov_b64_e32 v[4:5], s[6:7]
	flat_load_dword v4, v[4:5]
	s_and_b64 vcc, exec, s[4:5]
	v_mov_b32_e32 v5, s7
	s_cbranch_vccz .LBB155_5
	s_branch .LBB155_6
.LBB155_18:
                                        ; implicit-def: $vgpr9
                                        ; implicit-def: $vgpr1
.LBB155_19:
	v_mov_b32_e32 v9, 0
	v_mov_b32_e32 v8, v9
	;; [unrolled: 1-line block ×4, first 2 shown]
	s_and_saveexec_b64 s[4:5], s[2:3]
	s_cbranch_execz .LBB155_23
; %bb.20:
	v_mov_b32_e32 v13, 0
	v_lshlrev_b32_e32 v12, 1, v10
	s_mov_b64 s[2:3], 0
	v_mov_b32_e32 v0, v13
	v_mov_b32_e32 v1, v13
	v_mov_b32_e32 v8, v13
	v_mov_b32_e32 v9, v13
.LBB155_21:                             ; =>This Inner Loop Header: Depth=1
	v_ashrrev_i32_e32 v11, 31, v10
	v_lshl_add_u64 v[14:15], v[10:11], 2, s[6:7]
	global_load_dword v11, v[14:15], off
	v_lshl_add_u64 v[14:15], v[12:13], 3, s[8:9]
	v_mov_b32_e32 v23, v13
	global_load_dwordx4 v[18:21], v[14:15], off
	v_add_u32_e32 v10, 32, v10
	v_cmp_ge_i32_e32 vcc, v10, v16
	v_add_u32_e32 v12, 64, v12
	s_or_b64 s[2:3], vcc, s[2:3]
	s_waitcnt vmcnt(1)
	v_subrev_u32_e32 v22, s12, v11
	v_lshl_add_u64 v[14:15], v[22:23], 3, s[10:11]
	global_load_dwordx2 v[14:15], v[14:15], off
	s_waitcnt vmcnt(1)
	v_xor_b32_e32 v22, 0x80000000, v21
	v_mov_b32_e32 v23, v20
	s_waitcnt vmcnt(0)
	v_pk_fma_f32 v[8:9], v[18:19], v[14:15], v[8:9] op_sel_hi:[1,0,1]
	v_pk_fma_f32 v[0:1], v[20:21], v[14:15], v[0:1] op_sel_hi:[1,0,1]
	v_pk_fma_f32 v[8:9], v[18:19], v[14:15], v[8:9] op_sel:[1,1,0] op_sel_hi:[0,1,1] neg_lo:[1,0,0]
	v_pk_fma_f32 v[0:1], v[22:23], v[14:15], v[0:1] op_sel:[0,1,0]
	s_andn2_b64 exec, exec, s[2:3]
	s_cbranch_execnz .LBB155_21
; %bb.22:
	s_or_b64 exec, exec, s[2:3]
.LBB155_23:
	s_or_b64 exec, exec, s[4:5]
.LBB155_24:
	v_mov_b32_dpp v12, v0 row_shr:1 row_mask:0xf bank_mask:0xf
	v_add_f32_e32 v0, v0, v12
	v_mov_b32_dpp v10, v8 row_shr:1 row_mask:0xf bank_mask:0xf
	v_mov_b32_dpp v11, v9 row_shr:1 row_mask:0xf bank_mask:0xf
	;; [unrolled: 1-line block ×3, first 2 shown]
	v_add_f32_e32 v0, v0, v12
	v_add_f32_e32 v8, v8, v10
	;; [unrolled: 1-line block ×3, first 2 shown]
	v_mov_b32_dpp v12, v0 row_shr:4 row_mask:0xf bank_mask:0xe
	v_add_f32_e32 v0, v0, v12
	v_mov_b32_dpp v10, v8 row_shr:2 row_mask:0xf bank_mask:0xf
	v_mov_b32_dpp v11, v9 row_shr:2 row_mask:0xf bank_mask:0xf
	;; [unrolled: 1-line block ×3, first 2 shown]
	v_add_f32_e32 v0, v0, v12
	v_add_f32_e32 v8, v8, v10
	v_mov_b32_dpp v12, v1 row_shr:1 row_mask:0xf bank_mask:0xf
	v_add_f32_e32 v1, v1, v12
	v_add_f32_e32 v9, v9, v11
	v_mov_b32_dpp v10, v8 row_shr:4 row_mask:0xf bank_mask:0xe
	v_mov_b32_dpp v12, v1 row_shr:2 row_mask:0xf bank_mask:0xf
	v_add_f32_e32 v1, v1, v12
	v_mov_b32_dpp v11, v9 row_shr:4 row_mask:0xf bank_mask:0xe
	v_add_f32_e32 v8, v8, v10
	;; [unrolled: 2-line block ×3, first 2 shown]
	v_add_f32_e32 v1, v1, v12
	v_mov_b32_dpp v10, v8 row_shr:8 row_mask:0xf bank_mask:0xc
	v_mov_b32_dpp v11, v9 row_shr:8 row_mask:0xf bank_mask:0xc
	;; [unrolled: 1-line block ×3, first 2 shown]
	v_add_f32_e32 v8, v8, v10
	v_add_f32_e32 v9, v9, v11
	;; [unrolled: 1-line block ×3, first 2 shown]
	v_mov_b32_dpp v10, v8 row_bcast:15 row_mask:0xa bank_mask:0xf
	v_mov_b32_dpp v11, v9 row_bcast:15 row_mask:0xa bank_mask:0xf
	;; [unrolled: 1-line block ×4, first 2 shown]
	v_cmp_eq_u32_e32 vcc, 31, v7
	s_and_b64 exec, exec, vcc
	s_cbranch_execz .LBB155_29
; %bb.25:
	s_load_dwordx2 s[2:3], s[0:1], 0x38
	v_add_f32_e32 v8, v8, v10
	v_add_f32_e32 v10, v1, v14
	v_and_b32_e32 v1, 0x7fffffff, v4
	v_cmp_eq_u32_e32 vcc, 0, v1
	v_cmp_eq_f32_e64 s[0:1], 0, v5
	v_add_f32_e32 v12, v9, v11
	v_add_f32_e32 v0, v0, v13
	s_and_b64 s[0:1], vcc, s[0:1]
	s_and_saveexec_b64 s[4:5], s[0:1]
	s_xor_b64 s[0:1], exec, s[4:5]
	s_cbranch_execz .LBB155_27
; %bb.26:
	v_lshlrev_b32_e32 v4, 1, v6
	v_xor_b32_e32 v14, 0x80000000, v3
	v_ashrrev_i32_e32 v5, 31, v4
	v_mov_b32_e32 v15, v2
	s_waitcnt lgkmcnt(0)
	v_lshl_add_u64 v[16:17], v[4:5], 3, s[2:3]
	v_pk_mul_f32 v[4:5], v[12:13], v[14:15] op_sel_hi:[0,1]
	v_pk_mul_f32 v[6:7], v[10:11], v[14:15] op_sel_hi:[0,1]
	v_pk_fma_f32 v[4:5], v[2:3], v[8:9], v[4:5] op_sel_hi:[1,0,1]
	v_pk_fma_f32 v[6:7], v[2:3], v[0:1], v[6:7] op_sel_hi:[1,0,1]
	global_store_dwordx4 v[16:17], v[4:7], off
                                        ; implicit-def: $vgpr3
                                        ; implicit-def: $vgpr4
                                        ; implicit-def: $vgpr6
                                        ; implicit-def: $vgpr8
                                        ; implicit-def: $vgpr12
                                        ; implicit-def: $vgpr0
                                        ; implicit-def: $vgpr10
.LBB155_27:
	s_andn2_saveexec_b64 s[0:1], s[0:1]
	s_cbranch_execz .LBB155_29
; %bb.28:
	v_lshlrev_b32_e32 v6, 1, v6
	v_ashrrev_i32_e32 v7, 31, v6
	s_waitcnt lgkmcnt(0)
	v_lshl_add_u64 v[6:7], v[6:7], 3, s[2:3]
	global_load_dwordx4 v[14:17], v[6:7], off
	v_xor_b32_e32 v18, 0x80000000, v3
	v_mov_b32_e32 v19, v2
	v_pk_mul_f32 v[12:13], v[12:13], v[18:19] op_sel_hi:[0,1]
	v_pk_mul_f32 v[10:11], v[10:11], v[18:19] op_sel_hi:[0,1]
	v_pk_fma_f32 v[8:9], v[2:3], v[8:9], v[12:13] op_sel_hi:[1,0,1]
	v_pk_fma_f32 v[0:1], v[2:3], v[0:1], v[10:11] op_sel_hi:[1,0,1]
	v_xor_b32_e32 v20, 0x80000000, v5
	v_mov_b32_e32 v21, v4
	s_waitcnt vmcnt(0)
	v_pk_fma_f32 v[2:3], v[4:5], v[14:15], v[8:9] op_sel_hi:[1,0,1]
	v_pk_fma_f32 v[4:5], v[4:5], v[16:17], v[0:1] op_sel_hi:[1,0,1]
	v_mov_b32_e32 v8, v17
	v_pk_fma_f32 v[0:1], v[20:21], v[14:15], v[2:3] op_sel:[0,1,0]
	v_pk_fma_f32 v[2:3], v[20:21], v[8:9], v[4:5] op_sel_hi:[1,0,1]
	global_store_dwordx4 v[6:7], v[0:3], off
.LBB155_29:
	s_endpgm
	.section	.rodata,"a",@progbits
	.p2align	6, 0x0
	.amdhsa_kernel _ZN9rocsparseL19gebsrmvn_2xn_kernelILj128ELj1ELj32E21rocsparse_complex_numIfEEEvi20rocsparse_direction_NS_24const_host_device_scalarIT2_EEPKiS8_PKS5_SA_S6_PS5_21rocsparse_index_base_b
		.amdhsa_group_segment_fixed_size 0
		.amdhsa_private_segment_fixed_size 0
		.amdhsa_kernarg_size 72
		.amdhsa_user_sgpr_count 2
		.amdhsa_user_sgpr_dispatch_ptr 0
		.amdhsa_user_sgpr_queue_ptr 0
		.amdhsa_user_sgpr_kernarg_segment_ptr 1
		.amdhsa_user_sgpr_dispatch_id 0
		.amdhsa_user_sgpr_kernarg_preload_length 0
		.amdhsa_user_sgpr_kernarg_preload_offset 0
		.amdhsa_user_sgpr_private_segment_size 0
		.amdhsa_uses_dynamic_stack 0
		.amdhsa_enable_private_segment 0
		.amdhsa_system_sgpr_workgroup_id_x 1
		.amdhsa_system_sgpr_workgroup_id_y 0
		.amdhsa_system_sgpr_workgroup_id_z 0
		.amdhsa_system_sgpr_workgroup_info 0
		.amdhsa_system_vgpr_workitem_id 0
		.amdhsa_next_free_vgpr 26
		.amdhsa_next_free_sgpr 16
		.amdhsa_accum_offset 28
		.amdhsa_reserve_vcc 1
		.amdhsa_float_round_mode_32 0
		.amdhsa_float_round_mode_16_64 0
		.amdhsa_float_denorm_mode_32 3
		.amdhsa_float_denorm_mode_16_64 3
		.amdhsa_dx10_clamp 1
		.amdhsa_ieee_mode 1
		.amdhsa_fp16_overflow 0
		.amdhsa_tg_split 0
		.amdhsa_exception_fp_ieee_invalid_op 0
		.amdhsa_exception_fp_denorm_src 0
		.amdhsa_exception_fp_ieee_div_zero 0
		.amdhsa_exception_fp_ieee_overflow 0
		.amdhsa_exception_fp_ieee_underflow 0
		.amdhsa_exception_fp_ieee_inexact 0
		.amdhsa_exception_int_div_zero 0
	.end_amdhsa_kernel
	.section	.text._ZN9rocsparseL19gebsrmvn_2xn_kernelILj128ELj1ELj32E21rocsparse_complex_numIfEEEvi20rocsparse_direction_NS_24const_host_device_scalarIT2_EEPKiS8_PKS5_SA_S6_PS5_21rocsparse_index_base_b,"axG",@progbits,_ZN9rocsparseL19gebsrmvn_2xn_kernelILj128ELj1ELj32E21rocsparse_complex_numIfEEEvi20rocsparse_direction_NS_24const_host_device_scalarIT2_EEPKiS8_PKS5_SA_S6_PS5_21rocsparse_index_base_b,comdat
.Lfunc_end155:
	.size	_ZN9rocsparseL19gebsrmvn_2xn_kernelILj128ELj1ELj32E21rocsparse_complex_numIfEEEvi20rocsparse_direction_NS_24const_host_device_scalarIT2_EEPKiS8_PKS5_SA_S6_PS5_21rocsparse_index_base_b, .Lfunc_end155-_ZN9rocsparseL19gebsrmvn_2xn_kernelILj128ELj1ELj32E21rocsparse_complex_numIfEEEvi20rocsparse_direction_NS_24const_host_device_scalarIT2_EEPKiS8_PKS5_SA_S6_PS5_21rocsparse_index_base_b
                                        ; -- End function
	.section	.AMDGPU.csdata,"",@progbits
; Kernel info:
; codeLenInByte = 1284
; NumSgprs: 22
; NumVgprs: 26
; NumAgprs: 0
; TotalNumVgprs: 26
; ScratchSize: 0
; MemoryBound: 0
; FloatMode: 240
; IeeeMode: 1
; LDSByteSize: 0 bytes/workgroup (compile time only)
; SGPRBlocks: 2
; VGPRBlocks: 3
; NumSGPRsForWavesPerEU: 22
; NumVGPRsForWavesPerEU: 26
; AccumOffset: 28
; Occupancy: 8
; WaveLimiterHint : 1
; COMPUTE_PGM_RSRC2:SCRATCH_EN: 0
; COMPUTE_PGM_RSRC2:USER_SGPR: 2
; COMPUTE_PGM_RSRC2:TRAP_HANDLER: 0
; COMPUTE_PGM_RSRC2:TGID_X_EN: 1
; COMPUTE_PGM_RSRC2:TGID_Y_EN: 0
; COMPUTE_PGM_RSRC2:TGID_Z_EN: 0
; COMPUTE_PGM_RSRC2:TIDIG_COMP_CNT: 0
; COMPUTE_PGM_RSRC3_GFX90A:ACCUM_OFFSET: 6
; COMPUTE_PGM_RSRC3_GFX90A:TG_SPLIT: 0
	.section	.text._ZN9rocsparseL19gebsrmvn_2xn_kernelILj128ELj1ELj64E21rocsparse_complex_numIfEEEvi20rocsparse_direction_NS_24const_host_device_scalarIT2_EEPKiS8_PKS5_SA_S6_PS5_21rocsparse_index_base_b,"axG",@progbits,_ZN9rocsparseL19gebsrmvn_2xn_kernelILj128ELj1ELj64E21rocsparse_complex_numIfEEEvi20rocsparse_direction_NS_24const_host_device_scalarIT2_EEPKiS8_PKS5_SA_S6_PS5_21rocsparse_index_base_b,comdat
	.globl	_ZN9rocsparseL19gebsrmvn_2xn_kernelILj128ELj1ELj64E21rocsparse_complex_numIfEEEvi20rocsparse_direction_NS_24const_host_device_scalarIT2_EEPKiS8_PKS5_SA_S6_PS5_21rocsparse_index_base_b ; -- Begin function _ZN9rocsparseL19gebsrmvn_2xn_kernelILj128ELj1ELj64E21rocsparse_complex_numIfEEEvi20rocsparse_direction_NS_24const_host_device_scalarIT2_EEPKiS8_PKS5_SA_S6_PS5_21rocsparse_index_base_b
	.p2align	8
	.type	_ZN9rocsparseL19gebsrmvn_2xn_kernelILj128ELj1ELj64E21rocsparse_complex_numIfEEEvi20rocsparse_direction_NS_24const_host_device_scalarIT2_EEPKiS8_PKS5_SA_S6_PS5_21rocsparse_index_base_b,@function
_ZN9rocsparseL19gebsrmvn_2xn_kernelILj128ELj1ELj64E21rocsparse_complex_numIfEEEvi20rocsparse_direction_NS_24const_host_device_scalarIT2_EEPKiS8_PKS5_SA_S6_PS5_21rocsparse_index_base_b: ; @_ZN9rocsparseL19gebsrmvn_2xn_kernelILj128ELj1ELj64E21rocsparse_complex_numIfEEEvi20rocsparse_direction_NS_24const_host_device_scalarIT2_EEPKiS8_PKS5_SA_S6_PS5_21rocsparse_index_base_b
; %bb.0:
	s_load_dwordx2 s[12:13], s[0:1], 0x40
	s_load_dwordx2 s[8:9], s[0:1], 0x8
	;; [unrolled: 1-line block ×3, first 2 shown]
	s_waitcnt lgkmcnt(0)
	s_bitcmp1_b32 s13, 0
	s_cselect_b64 s[4:5], -1, 0
	s_xor_b64 s[10:11], s[4:5], -1
	s_and_b64 vcc, exec, s[4:5]
	v_mov_b32_e32 v2, s8
	s_cbranch_vccnz .LBB156_2
; %bb.1:
	v_mov_b64_e32 v[2:3], s[8:9]
	flat_load_dword v2, v[2:3]
.LBB156_2:
	v_cndmask_b32_e64 v1, 0, 1, s[10:11]
	v_cmp_ne_u32_e64 s[4:5], 1, v1
	s_andn2_b64 vcc, exec, s[10:11]
	v_mov_b32_e32 v3, s9
	s_cbranch_vccz .LBB156_16
; %bb.3:
	s_and_b64 vcc, exec, s[4:5]
	v_mov_b32_e32 v4, s6
	s_cbranch_vccz .LBB156_17
.LBB156_4:
	s_and_b64 vcc, exec, s[4:5]
	v_mov_b32_e32 v5, s7
	s_cbranch_vccnz .LBB156_6
.LBB156_5:
	v_mov_b64_e32 v[6:7], s[6:7]
	flat_load_dword v5, v[6:7] offset:4
.LBB156_6:
	s_waitcnt vmcnt(0) lgkmcnt(0)
	v_and_b32_e32 v1, 0x7fffffff, v2
	v_cmp_eq_u32_e32 vcc, 0, v1
	v_cmp_eq_f32_e64 s[4:5], 0, v3
	s_and_b64 s[8:9], vcc, s[4:5]
	s_mov_b64 s[4:5], -1
	s_and_saveexec_b64 s[6:7], s[8:9]
; %bb.7:
	v_and_b32_e32 v1, 0x7fffffff, v5
	v_cmp_neq_f32_e32 vcc, 1.0, v4
	v_cmp_ne_u32_e64 s[4:5], 0, v1
	s_or_b64 s[4:5], vcc, s[4:5]
	s_orn2_b64 s[4:5], s[4:5], exec
; %bb.8:
	s_or_b64 exec, exec, s[6:7]
	s_and_saveexec_b64 s[6:7], s[4:5]
	s_cbranch_execz .LBB156_29
; %bb.9:
	s_load_dwordx2 s[14:15], s[0:1], 0x0
	v_lshrrev_b32_e32 v1, 6, v0
	v_lshl_or_b32 v6, s2, 1, v1
	s_waitcnt lgkmcnt(0)
	v_cmp_gt_i32_e32 vcc, s14, v6
	s_and_b64 exec, exec, vcc
	s_cbranch_execz .LBB156_29
; %bb.10:
	s_load_dwordx8 s[4:11], s[0:1], 0x10
	v_ashrrev_i32_e32 v7, 31, v6
	s_cmp_lg_u32 s15, 0
	s_waitcnt lgkmcnt(0)
	v_lshl_add_u64 v[8:9], v[6:7], 2, s[4:5]
	global_load_dwordx2 v[8:9], v[8:9], off
	v_and_b32_e32 v7, 63, v0
	s_waitcnt vmcnt(0)
	v_subrev_u32_e32 v0, s12, v8
	v_subrev_u32_e32 v16, s12, v9
	v_add_u32_e32 v10, v0, v7
	v_cmp_lt_i32_e64 s[2:3], v10, v16
	s_cbranch_scc0 .LBB156_18
; %bb.11:
	v_mov_b32_e32 v9, 0
	v_mov_b32_e32 v8, v9
	;; [unrolled: 1-line block ×4, first 2 shown]
	s_and_saveexec_b64 s[4:5], s[2:3]
	s_cbranch_execz .LBB156_15
; %bb.12:
	v_mov_b32_e32 v13, 0
	v_lshlrev_b32_e32 v12, 1, v10
	s_mov_b64 s[14:15], 0
	v_mov_b32_e32 v14, v10
	v_mov_b32_e32 v0, v13
	;; [unrolled: 1-line block ×5, first 2 shown]
.LBB156_13:                             ; =>This Inner Loop Header: Depth=1
	v_ashrrev_i32_e32 v15, 31, v14
	v_lshl_add_u64 v[18:19], v[14:15], 2, s[6:7]
	global_load_dword v11, v[18:19], off
	v_mov_b32_e32 v23, v13
	v_lshl_add_u64 v[18:19], v[12:13], 3, s[8:9]
	global_load_dwordx4 v[18:21], v[18:19], off
	v_add_u32_e32 v14, 64, v14
	v_cmp_ge_i32_e32 vcc, v14, v16
	v_add_u32_e32 v12, 0x80, v12
	s_or_b64 s[14:15], vcc, s[14:15]
	s_waitcnt vmcnt(1)
	v_subrev_u32_e32 v22, s12, v11
	v_lshl_add_u64 v[22:23], v[22:23], 3, s[10:11]
	global_load_dwordx2 v[22:23], v[22:23], off
	s_waitcnt vmcnt(1)
	v_xor_b32_e32 v24, 0x80000000, v21
	v_mov_b32_e32 v25, v20
	s_waitcnt vmcnt(0)
	v_pk_fma_f32 v[8:9], v[18:19], v[22:23], v[8:9] op_sel_hi:[1,0,1]
	v_pk_fma_f32 v[0:1], v[20:21], v[22:23], v[0:1] op_sel_hi:[1,0,1]
	v_pk_fma_f32 v[8:9], v[18:19], v[22:23], v[8:9] op_sel:[1,1,0] op_sel_hi:[0,1,1] neg_lo:[1,0,0]
	v_pk_fma_f32 v[0:1], v[24:25], v[22:23], v[0:1] op_sel:[0,1,0]
	s_andn2_b64 exec, exec, s[14:15]
	s_cbranch_execnz .LBB156_13
; %bb.14:
	s_or_b64 exec, exec, s[14:15]
.LBB156_15:
	s_or_b64 exec, exec, s[4:5]
	s_cbranch_execz .LBB156_19
	s_branch .LBB156_24
.LBB156_16:
	v_mov_b64_e32 v[4:5], s[8:9]
	flat_load_dword v3, v[4:5] offset:4
	s_and_b64 vcc, exec, s[4:5]
	v_mov_b32_e32 v4, s6
	s_cbranch_vccnz .LBB156_4
.LBB156_17:
	v_mov_b64_e32 v[4:5], s[6:7]
	flat_load_dword v4, v[4:5]
	s_and_b64 vcc, exec, s[4:5]
	v_mov_b32_e32 v5, s7
	s_cbranch_vccz .LBB156_5
	s_branch .LBB156_6
.LBB156_18:
                                        ; implicit-def: $vgpr9
                                        ; implicit-def: $vgpr1
.LBB156_19:
	v_mov_b32_e32 v9, 0
	v_mov_b32_e32 v8, v9
	;; [unrolled: 1-line block ×4, first 2 shown]
	s_and_saveexec_b64 s[4:5], s[2:3]
	s_cbranch_execz .LBB156_23
; %bb.20:
	v_mov_b32_e32 v13, 0
	v_lshlrev_b32_e32 v12, 1, v10
	s_mov_b64 s[2:3], 0
	v_mov_b32_e32 v0, v13
	v_mov_b32_e32 v1, v13
	;; [unrolled: 1-line block ×4, first 2 shown]
.LBB156_21:                             ; =>This Inner Loop Header: Depth=1
	v_ashrrev_i32_e32 v11, 31, v10
	v_lshl_add_u64 v[14:15], v[10:11], 2, s[6:7]
	global_load_dword v11, v[14:15], off
	v_lshl_add_u64 v[14:15], v[12:13], 3, s[8:9]
	v_mov_b32_e32 v23, v13
	global_load_dwordx4 v[18:21], v[14:15], off
	v_add_u32_e32 v10, 64, v10
	v_cmp_ge_i32_e32 vcc, v10, v16
	v_add_u32_e32 v12, 0x80, v12
	s_or_b64 s[2:3], vcc, s[2:3]
	s_waitcnt vmcnt(1)
	v_subrev_u32_e32 v22, s12, v11
	v_lshl_add_u64 v[14:15], v[22:23], 3, s[10:11]
	global_load_dwordx2 v[14:15], v[14:15], off
	s_waitcnt vmcnt(1)
	v_xor_b32_e32 v22, 0x80000000, v21
	v_mov_b32_e32 v23, v20
	s_waitcnt vmcnt(0)
	v_pk_fma_f32 v[8:9], v[18:19], v[14:15], v[8:9] op_sel_hi:[1,0,1]
	v_pk_fma_f32 v[0:1], v[20:21], v[14:15], v[0:1] op_sel_hi:[1,0,1]
	v_pk_fma_f32 v[8:9], v[18:19], v[14:15], v[8:9] op_sel:[1,1,0] op_sel_hi:[0,1,1] neg_lo:[1,0,0]
	v_pk_fma_f32 v[0:1], v[22:23], v[14:15], v[0:1] op_sel:[0,1,0]
	s_andn2_b64 exec, exec, s[2:3]
	s_cbranch_execnz .LBB156_21
; %bb.22:
	s_or_b64 exec, exec, s[2:3]
.LBB156_23:
	s_or_b64 exec, exec, s[4:5]
.LBB156_24:
	v_mov_b32_dpp v12, v0 row_shr:1 row_mask:0xf bank_mask:0xf
	v_add_f32_e32 v0, v0, v12
	v_mov_b32_dpp v10, v8 row_shr:1 row_mask:0xf bank_mask:0xf
	v_mov_b32_dpp v11, v9 row_shr:1 row_mask:0xf bank_mask:0xf
	;; [unrolled: 1-line block ×3, first 2 shown]
	v_add_f32_e32 v0, v0, v12
	v_add_f32_e32 v8, v8, v10
	;; [unrolled: 1-line block ×3, first 2 shown]
	v_mov_b32_dpp v12, v0 row_shr:4 row_mask:0xf bank_mask:0xe
	v_add_f32_e32 v0, v0, v12
	v_mov_b32_dpp v10, v8 row_shr:2 row_mask:0xf bank_mask:0xf
	v_mov_b32_dpp v11, v9 row_shr:2 row_mask:0xf bank_mask:0xf
	;; [unrolled: 1-line block ×3, first 2 shown]
	v_add_f32_e32 v0, v0, v12
	v_add_f32_e32 v8, v8, v10
	;; [unrolled: 1-line block ×3, first 2 shown]
	v_mov_b32_dpp v12, v0 row_bcast:15 row_mask:0xa bank_mask:0xf
	v_add_f32_e32 v0, v0, v12
	v_mov_b32_dpp v10, v8 row_shr:4 row_mask:0xf bank_mask:0xe
	v_mov_b32_dpp v12, v1 row_shr:1 row_mask:0xf bank_mask:0xf
	v_add_f32_e32 v1, v1, v12
	v_mov_b32_dpp v11, v9 row_shr:4 row_mask:0xf bank_mask:0xe
	v_add_f32_e32 v8, v8, v10
	;; [unrolled: 2-line block ×3, first 2 shown]
	v_add_f32_e32 v9, v9, v11
	v_mov_b32_dpp v10, v8 row_shr:8 row_mask:0xf bank_mask:0xc
	v_mov_b32_dpp v12, v1 row_shr:4 row_mask:0xf bank_mask:0xe
	v_add_f32_e32 v1, v1, v12
	v_mov_b32_dpp v11, v9 row_shr:8 row_mask:0xf bank_mask:0xc
	v_add_f32_e32 v8, v8, v10
	;; [unrolled: 2-line block ×3, first 2 shown]
	v_add_f32_e32 v1, v1, v12
	v_mov_b32_dpp v10, v8 row_bcast:15 row_mask:0xa bank_mask:0xf
	v_mov_b32_dpp v11, v9 row_bcast:15 row_mask:0xa bank_mask:0xf
	;; [unrolled: 1-line block ×3, first 2 shown]
	v_add_f32_e32 v8, v8, v10
	v_add_f32_e32 v9, v9, v11
	;; [unrolled: 1-line block ×3, first 2 shown]
	v_mov_b32_dpp v10, v8 row_bcast:31 row_mask:0xc bank_mask:0xf
	v_mov_b32_dpp v11, v9 row_bcast:31 row_mask:0xc bank_mask:0xf
	;; [unrolled: 1-line block ×4, first 2 shown]
	v_cmp_eq_u32_e32 vcc, 63, v7
	s_and_b64 exec, exec, vcc
	s_cbranch_execz .LBB156_29
; %bb.25:
	s_load_dwordx2 s[2:3], s[0:1], 0x38
	v_add_f32_e32 v8, v8, v10
	v_add_f32_e32 v10, v1, v14
	v_and_b32_e32 v1, 0x7fffffff, v4
	v_cmp_eq_u32_e32 vcc, 0, v1
	v_cmp_eq_f32_e64 s[0:1], 0, v5
	v_add_f32_e32 v12, v9, v11
	v_add_f32_e32 v0, v0, v13
	s_and_b64 s[0:1], vcc, s[0:1]
	s_and_saveexec_b64 s[4:5], s[0:1]
	s_xor_b64 s[0:1], exec, s[4:5]
	s_cbranch_execz .LBB156_27
; %bb.26:
	v_lshlrev_b32_e32 v4, 1, v6
	v_xor_b32_e32 v14, 0x80000000, v3
	v_ashrrev_i32_e32 v5, 31, v4
	v_mov_b32_e32 v15, v2
	s_waitcnt lgkmcnt(0)
	v_lshl_add_u64 v[16:17], v[4:5], 3, s[2:3]
	v_pk_mul_f32 v[4:5], v[12:13], v[14:15] op_sel_hi:[0,1]
	v_pk_mul_f32 v[6:7], v[10:11], v[14:15] op_sel_hi:[0,1]
	v_pk_fma_f32 v[4:5], v[2:3], v[8:9], v[4:5] op_sel_hi:[1,0,1]
	v_pk_fma_f32 v[6:7], v[2:3], v[0:1], v[6:7] op_sel_hi:[1,0,1]
	global_store_dwordx4 v[16:17], v[4:7], off
                                        ; implicit-def: $vgpr3
                                        ; implicit-def: $vgpr4
                                        ; implicit-def: $vgpr6
                                        ; implicit-def: $vgpr8
                                        ; implicit-def: $vgpr12
                                        ; implicit-def: $vgpr0
                                        ; implicit-def: $vgpr10
.LBB156_27:
	s_andn2_saveexec_b64 s[0:1], s[0:1]
	s_cbranch_execz .LBB156_29
; %bb.28:
	v_lshlrev_b32_e32 v6, 1, v6
	v_ashrrev_i32_e32 v7, 31, v6
	s_waitcnt lgkmcnt(0)
	v_lshl_add_u64 v[6:7], v[6:7], 3, s[2:3]
	global_load_dwordx4 v[14:17], v[6:7], off
	v_xor_b32_e32 v18, 0x80000000, v3
	v_mov_b32_e32 v19, v2
	v_pk_mul_f32 v[12:13], v[12:13], v[18:19] op_sel_hi:[0,1]
	v_pk_mul_f32 v[10:11], v[10:11], v[18:19] op_sel_hi:[0,1]
	v_pk_fma_f32 v[8:9], v[2:3], v[8:9], v[12:13] op_sel_hi:[1,0,1]
	v_pk_fma_f32 v[0:1], v[2:3], v[0:1], v[10:11] op_sel_hi:[1,0,1]
	v_xor_b32_e32 v20, 0x80000000, v5
	v_mov_b32_e32 v21, v4
	s_waitcnt vmcnt(0)
	v_pk_fma_f32 v[2:3], v[4:5], v[14:15], v[8:9] op_sel_hi:[1,0,1]
	v_pk_fma_f32 v[4:5], v[4:5], v[16:17], v[0:1] op_sel_hi:[1,0,1]
	v_mov_b32_e32 v8, v17
	v_pk_fma_f32 v[0:1], v[20:21], v[14:15], v[2:3] op_sel:[0,1,0]
	v_pk_fma_f32 v[2:3], v[20:21], v[8:9], v[4:5] op_sel_hi:[1,0,1]
	global_store_dwordx4 v[6:7], v[0:3], off
.LBB156_29:
	s_endpgm
	.section	.rodata,"a",@progbits
	.p2align	6, 0x0
	.amdhsa_kernel _ZN9rocsparseL19gebsrmvn_2xn_kernelILj128ELj1ELj64E21rocsparse_complex_numIfEEEvi20rocsparse_direction_NS_24const_host_device_scalarIT2_EEPKiS8_PKS5_SA_S6_PS5_21rocsparse_index_base_b
		.amdhsa_group_segment_fixed_size 0
		.amdhsa_private_segment_fixed_size 0
		.amdhsa_kernarg_size 72
		.amdhsa_user_sgpr_count 2
		.amdhsa_user_sgpr_dispatch_ptr 0
		.amdhsa_user_sgpr_queue_ptr 0
		.amdhsa_user_sgpr_kernarg_segment_ptr 1
		.amdhsa_user_sgpr_dispatch_id 0
		.amdhsa_user_sgpr_kernarg_preload_length 0
		.amdhsa_user_sgpr_kernarg_preload_offset 0
		.amdhsa_user_sgpr_private_segment_size 0
		.amdhsa_uses_dynamic_stack 0
		.amdhsa_enable_private_segment 0
		.amdhsa_system_sgpr_workgroup_id_x 1
		.amdhsa_system_sgpr_workgroup_id_y 0
		.amdhsa_system_sgpr_workgroup_id_z 0
		.amdhsa_system_sgpr_workgroup_info 0
		.amdhsa_system_vgpr_workitem_id 0
		.amdhsa_next_free_vgpr 26
		.amdhsa_next_free_sgpr 16
		.amdhsa_accum_offset 28
		.amdhsa_reserve_vcc 1
		.amdhsa_float_round_mode_32 0
		.amdhsa_float_round_mode_16_64 0
		.amdhsa_float_denorm_mode_32 3
		.amdhsa_float_denorm_mode_16_64 3
		.amdhsa_dx10_clamp 1
		.amdhsa_ieee_mode 1
		.amdhsa_fp16_overflow 0
		.amdhsa_tg_split 0
		.amdhsa_exception_fp_ieee_invalid_op 0
		.amdhsa_exception_fp_denorm_src 0
		.amdhsa_exception_fp_ieee_div_zero 0
		.amdhsa_exception_fp_ieee_overflow 0
		.amdhsa_exception_fp_ieee_underflow 0
		.amdhsa_exception_fp_ieee_inexact 0
		.amdhsa_exception_int_div_zero 0
	.end_amdhsa_kernel
	.section	.text._ZN9rocsparseL19gebsrmvn_2xn_kernelILj128ELj1ELj64E21rocsparse_complex_numIfEEEvi20rocsparse_direction_NS_24const_host_device_scalarIT2_EEPKiS8_PKS5_SA_S6_PS5_21rocsparse_index_base_b,"axG",@progbits,_ZN9rocsparseL19gebsrmvn_2xn_kernelILj128ELj1ELj64E21rocsparse_complex_numIfEEEvi20rocsparse_direction_NS_24const_host_device_scalarIT2_EEPKiS8_PKS5_SA_S6_PS5_21rocsparse_index_base_b,comdat
.Lfunc_end156:
	.size	_ZN9rocsparseL19gebsrmvn_2xn_kernelILj128ELj1ELj64E21rocsparse_complex_numIfEEEvi20rocsparse_direction_NS_24const_host_device_scalarIT2_EEPKiS8_PKS5_SA_S6_PS5_21rocsparse_index_base_b, .Lfunc_end156-_ZN9rocsparseL19gebsrmvn_2xn_kernelILj128ELj1ELj64E21rocsparse_complex_numIfEEEvi20rocsparse_direction_NS_24const_host_device_scalarIT2_EEPKiS8_PKS5_SA_S6_PS5_21rocsparse_index_base_b
                                        ; -- End function
	.section	.AMDGPU.csdata,"",@progbits
; Kernel info:
; codeLenInByte = 1340
; NumSgprs: 22
; NumVgprs: 26
; NumAgprs: 0
; TotalNumVgprs: 26
; ScratchSize: 0
; MemoryBound: 0
; FloatMode: 240
; IeeeMode: 1
; LDSByteSize: 0 bytes/workgroup (compile time only)
; SGPRBlocks: 2
; VGPRBlocks: 3
; NumSGPRsForWavesPerEU: 22
; NumVGPRsForWavesPerEU: 26
; AccumOffset: 28
; Occupancy: 8
; WaveLimiterHint : 1
; COMPUTE_PGM_RSRC2:SCRATCH_EN: 0
; COMPUTE_PGM_RSRC2:USER_SGPR: 2
; COMPUTE_PGM_RSRC2:TRAP_HANDLER: 0
; COMPUTE_PGM_RSRC2:TGID_X_EN: 1
; COMPUTE_PGM_RSRC2:TGID_Y_EN: 0
; COMPUTE_PGM_RSRC2:TGID_Z_EN: 0
; COMPUTE_PGM_RSRC2:TIDIG_COMP_CNT: 0
; COMPUTE_PGM_RSRC3_GFX90A:ACCUM_OFFSET: 6
; COMPUTE_PGM_RSRC3_GFX90A:TG_SPLIT: 0
	.section	.text._ZN9rocsparseL19gebsrmvn_2xn_kernelILj128ELj3ELj4E21rocsparse_complex_numIfEEEvi20rocsparse_direction_NS_24const_host_device_scalarIT2_EEPKiS8_PKS5_SA_S6_PS5_21rocsparse_index_base_b,"axG",@progbits,_ZN9rocsparseL19gebsrmvn_2xn_kernelILj128ELj3ELj4E21rocsparse_complex_numIfEEEvi20rocsparse_direction_NS_24const_host_device_scalarIT2_EEPKiS8_PKS5_SA_S6_PS5_21rocsparse_index_base_b,comdat
	.globl	_ZN9rocsparseL19gebsrmvn_2xn_kernelILj128ELj3ELj4E21rocsparse_complex_numIfEEEvi20rocsparse_direction_NS_24const_host_device_scalarIT2_EEPKiS8_PKS5_SA_S6_PS5_21rocsparse_index_base_b ; -- Begin function _ZN9rocsparseL19gebsrmvn_2xn_kernelILj128ELj3ELj4E21rocsparse_complex_numIfEEEvi20rocsparse_direction_NS_24const_host_device_scalarIT2_EEPKiS8_PKS5_SA_S6_PS5_21rocsparse_index_base_b
	.p2align	8
	.type	_ZN9rocsparseL19gebsrmvn_2xn_kernelILj128ELj3ELj4E21rocsparse_complex_numIfEEEvi20rocsparse_direction_NS_24const_host_device_scalarIT2_EEPKiS8_PKS5_SA_S6_PS5_21rocsparse_index_base_b,@function
_ZN9rocsparseL19gebsrmvn_2xn_kernelILj128ELj3ELj4E21rocsparse_complex_numIfEEEvi20rocsparse_direction_NS_24const_host_device_scalarIT2_EEPKiS8_PKS5_SA_S6_PS5_21rocsparse_index_base_b: ; @_ZN9rocsparseL19gebsrmvn_2xn_kernelILj128ELj3ELj4E21rocsparse_complex_numIfEEEvi20rocsparse_direction_NS_24const_host_device_scalarIT2_EEPKiS8_PKS5_SA_S6_PS5_21rocsparse_index_base_b
; %bb.0:
	s_load_dwordx2 s[12:13], s[0:1], 0x40
	s_load_dwordx2 s[8:9], s[0:1], 0x8
	;; [unrolled: 1-line block ×3, first 2 shown]
	s_waitcnt lgkmcnt(0)
	s_bitcmp1_b32 s13, 0
	s_cselect_b64 s[4:5], -1, 0
	s_xor_b64 s[10:11], s[4:5], -1
	s_and_b64 vcc, exec, s[4:5]
	v_mov_b32_e32 v2, s8
	s_cbranch_vccnz .LBB157_2
; %bb.1:
	v_mov_b64_e32 v[2:3], s[8:9]
	flat_load_dword v2, v[2:3]
.LBB157_2:
	v_cndmask_b32_e64 v1, 0, 1, s[10:11]
	v_cmp_ne_u32_e64 s[4:5], 1, v1
	s_andn2_b64 vcc, exec, s[10:11]
	v_mov_b32_e32 v3, s9
	s_cbranch_vccz .LBB157_16
; %bb.3:
	s_and_b64 vcc, exec, s[4:5]
	v_mov_b32_e32 v4, s6
	s_cbranch_vccz .LBB157_17
.LBB157_4:
	s_and_b64 vcc, exec, s[4:5]
	v_mov_b32_e32 v5, s7
	s_cbranch_vccnz .LBB157_6
.LBB157_5:
	v_mov_b64_e32 v[6:7], s[6:7]
	flat_load_dword v5, v[6:7] offset:4
.LBB157_6:
	s_waitcnt vmcnt(0) lgkmcnt(0)
	v_and_b32_e32 v1, 0x7fffffff, v2
	v_cmp_eq_u32_e32 vcc, 0, v1
	v_cmp_eq_f32_e64 s[4:5], 0, v3
	s_and_b64 s[8:9], vcc, s[4:5]
	s_mov_b64 s[4:5], -1
	s_and_saveexec_b64 s[6:7], s[8:9]
; %bb.7:
	v_and_b32_e32 v1, 0x7fffffff, v5
	v_cmp_neq_f32_e32 vcc, 1.0, v4
	v_cmp_ne_u32_e64 s[4:5], 0, v1
	s_or_b64 s[4:5], vcc, s[4:5]
	s_orn2_b64 s[4:5], s[4:5], exec
; %bb.8:
	s_or_b64 exec, exec, s[6:7]
	s_and_saveexec_b64 s[6:7], s[4:5]
	s_cbranch_execz .LBB157_29
; %bb.9:
	s_load_dwordx2 s[14:15], s[0:1], 0x0
	v_lshrrev_b32_e32 v1, 2, v0
	v_lshl_or_b32 v6, s2, 5, v1
	s_waitcnt lgkmcnt(0)
	v_cmp_gt_i32_e32 vcc, s14, v6
	s_and_b64 exec, exec, vcc
	s_cbranch_execz .LBB157_29
; %bb.10:
	s_load_dwordx8 s[4:11], s[0:1], 0x10
	v_ashrrev_i32_e32 v7, 31, v6
	s_cmp_lg_u32 s15, 0
	s_waitcnt lgkmcnt(0)
	v_lshl_add_u64 v[8:9], v[6:7], 2, s[4:5]
	global_load_dwordx2 v[8:9], v[8:9], off
	v_and_b32_e32 v7, 3, v0
	s_waitcnt vmcnt(0)
	v_subrev_u32_e32 v0, s12, v8
	v_subrev_u32_e32 v16, s12, v9
	v_add_u32_e32 v0, v0, v7
	v_cmp_lt_i32_e64 s[2:3], v0, v16
	s_cbranch_scc0 .LBB157_18
; %bb.11:
	v_mov_b32_e32 v11, 0
	v_mov_b32_e32 v10, v11
	;; [unrolled: 1-line block ×4, first 2 shown]
	s_and_saveexec_b64 s[4:5], s[2:3]
	s_cbranch_execz .LBB157_15
; %bb.12:
	v_mov_b32_e32 v13, 0
	v_mul_lo_u32 v12, v0, 6
	s_mov_b64 s[14:15], 0
	v_mov_b32_e32 v14, v0
	v_mov_b32_e32 v8, v13
	v_mov_b32_e32 v9, v13
	v_mov_b32_e32 v10, v13
	v_mov_b32_e32 v11, v13
.LBB157_13:                             ; =>This Inner Loop Header: Depth=1
	v_ashrrev_i32_e32 v15, 31, v14
	v_lshl_add_u64 v[18:19], v[14:15], 2, s[6:7]
	global_load_dword v1, v[18:19], off
	v_lshl_add_u64 v[30:31], v[12:13], 3, s[8:9]
	v_mov_b32_e32 v33, v13
	v_add_u32_e32 v18, 2, v12
	v_mov_b32_e32 v19, v13
	v_add_u32_e32 v20, 4, v12
	v_mov_b32_e32 v21, v13
	v_lshl_add_u64 v[38:39], v[18:19], 3, s[8:9]
	v_lshl_add_u64 v[40:41], v[20:21], 3, s[8:9]
	global_load_dwordx4 v[18:21], v[30:31], off
	global_load_dwordx4 v[22:25], v[38:39], off
	;; [unrolled: 1-line block ×3, first 2 shown]
	v_mov_b32_e32 v35, v13
	v_mov_b32_e32 v37, v13
	v_add_u32_e32 v14, 4, v14
	v_cmp_ge_i32_e32 vcc, v14, v16
	v_add_u32_e32 v12, 24, v12
	s_or_b64 s[14:15], vcc, s[14:15]
	s_waitcnt vmcnt(3)
	v_subrev_u32_e32 v1, s12, v1
	v_lshl_add_u32 v32, v1, 1, v1
	v_lshl_add_u64 v[30:31], v[32:33], 3, s[10:11]
	global_load_dwordx2 v[30:31], v[30:31], off
	v_add_u32_e32 v34, 1, v32
	v_add_u32_e32 v36, 2, v32
	v_lshl_add_u64 v[32:33], v[34:35], 3, s[10:11]
	v_lshl_add_u64 v[34:35], v[36:37], 3, s[10:11]
	global_load_dwordx2 v[36:37], v[32:33], off
	global_load_dwordx2 v[38:39], v[34:35], off
	s_waitcnt vmcnt(5)
	v_xor_b32_e32 v32, 0x80000000, v21
	v_mov_b32_e32 v33, v20
	s_waitcnt vmcnt(4)
	v_xor_b32_e32 v34, 0x80000000, v25
	v_mov_b32_e32 v35, v24
	;; [unrolled: 3-line block ×3, first 2 shown]
	s_waitcnt vmcnt(2)
	v_pk_fma_f32 v[10:11], v[18:19], v[30:31], v[10:11] op_sel_hi:[1,0,1]
	v_pk_fma_f32 v[8:9], v[20:21], v[30:31], v[8:9] op_sel_hi:[1,0,1]
	v_pk_fma_f32 v[10:11], v[18:19], v[30:31], v[10:11] op_sel:[1,1,0] op_sel_hi:[0,1,1] neg_lo:[1,0,0]
	v_pk_fma_f32 v[8:9], v[32:33], v[30:31], v[8:9] op_sel:[0,1,0]
	s_waitcnt vmcnt(1)
	v_pk_fma_f32 v[10:11], v[22:23], v[36:37], v[10:11] op_sel_hi:[1,0,1]
	v_pk_fma_f32 v[8:9], v[24:25], v[36:37], v[8:9] op_sel_hi:[1,0,1]
	v_pk_fma_f32 v[10:11], v[22:23], v[36:37], v[10:11] op_sel:[1,1,0] op_sel_hi:[0,1,1] neg_lo:[1,0,0]
	v_pk_fma_f32 v[8:9], v[34:35], v[36:37], v[8:9] op_sel:[0,1,0]
	;; [unrolled: 5-line block ×3, first 2 shown]
	s_andn2_b64 exec, exec, s[14:15]
	s_cbranch_execnz .LBB157_13
; %bb.14:
	s_or_b64 exec, exec, s[14:15]
.LBB157_15:
	s_or_b64 exec, exec, s[4:5]
	s_cbranch_execz .LBB157_19
	s_branch .LBB157_24
.LBB157_16:
	v_mov_b64_e32 v[4:5], s[8:9]
	flat_load_dword v3, v[4:5] offset:4
	s_and_b64 vcc, exec, s[4:5]
	v_mov_b32_e32 v4, s6
	s_cbranch_vccnz .LBB157_4
.LBB157_17:
	v_mov_b64_e32 v[4:5], s[6:7]
	flat_load_dword v4, v[4:5]
	s_and_b64 vcc, exec, s[4:5]
	v_mov_b32_e32 v5, s7
	s_cbranch_vccz .LBB157_5
	s_branch .LBB157_6
.LBB157_18:
                                        ; implicit-def: $vgpr11
                                        ; implicit-def: $vgpr9
.LBB157_19:
	v_mov_b32_e32 v11, 0
	v_mov_b32_e32 v10, v11
	;; [unrolled: 1-line block ×4, first 2 shown]
	s_and_saveexec_b64 s[4:5], s[2:3]
	s_cbranch_execz .LBB157_23
; %bb.20:
	v_mad_u64_u32 v[12:13], s[2:3], v0, 6, 5
	v_mov_b32_e32 v15, 0
	s_mov_b64 s[2:3], 0
	v_mov_b32_e32 v8, v15
	v_mov_b32_e32 v9, v15
	;; [unrolled: 1-line block ×4, first 2 shown]
.LBB157_21:                             ; =>This Inner Loop Header: Depth=1
	v_ashrrev_i32_e32 v1, 31, v0
	v_lshl_add_u64 v[18:19], v[0:1], 2, s[6:7]
	global_load_dword v1, v[18:19], off
	v_add_u32_e32 v14, -5, v12
	v_add_u32_e32 v18, -2, v12
	v_mov_b32_e32 v23, v15
	v_mov_b32_e32 v19, v15
	;; [unrolled: 1-line block ×3, first 2 shown]
	v_lshl_add_u64 v[24:25], v[14:15], 3, s[8:9]
	v_lshl_add_u64 v[26:27], v[18:19], 3, s[8:9]
	;; [unrolled: 1-line block ×3, first 2 shown]
	global_load_dwordx4 v[18:21], v[24:25], off
	global_load_dwordx2 v[30:31], v[26:27], off
	global_load_dwordx2 v[32:33], v[28:29], off
	v_add_u32_e32 v0, 4, v0
	v_cmp_ge_i32_e32 vcc, v0, v16
	s_or_b64 s[2:3], vcc, s[2:3]
	s_waitcnt vmcnt(3)
	v_subrev_u32_e32 v1, s12, v1
	v_lshl_add_u32 v22, v1, 1, v1
	v_lshl_add_u64 v[24:25], v[22:23], 3, s[10:11]
	v_add_u32_e32 v14, 1, v22
	global_load_dwordx2 v[24:25], v[24:25], off
	v_lshl_add_u64 v[26:27], v[14:15], 3, s[10:11]
	global_load_dwordx2 v[26:27], v[26:27], off
	v_add_u32_e32 v14, -1, v12
	v_lshl_add_u64 v[28:29], v[14:15], 3, s[8:9]
	v_add_u32_e32 v14, -3, v12
	v_lshl_add_u64 v[34:35], v[14:15], 3, s[8:9]
	v_add_u32_e32 v14, 2, v22
	v_lshl_add_u64 v[22:23], v[14:15], 3, s[10:11]
	global_load_dwordx2 v[36:37], v[34:35], off
	global_load_dwordx2 v[38:39], v[28:29], off
	global_load_dwordx2 v[40:41], v[22:23], off
	s_waitcnt vmcnt(7)
	v_xor_b32_e32 v22, 0x80000000, v21
	v_mov_b32_e32 v23, v20
	v_add_u32_e32 v12, 24, v12
	s_waitcnt vmcnt(4)
	v_pk_fma_f32 v[10:11], v[18:19], v[24:25], v[10:11] op_sel_hi:[1,0,1]
	v_pk_fma_f32 v[8:9], v[30:31], v[24:25], v[8:9] op_sel_hi:[1,0,1]
	v_pk_fma_f32 v[10:11], v[18:19], v[24:25], v[10:11] op_sel:[1,1,0] op_sel_hi:[0,1,1] neg_lo:[1,0,0]
	v_pk_fma_f32 v[8:9], v[30:31], v[24:25], v[8:9] op_sel:[1,1,0] op_sel_hi:[0,1,1] neg_lo:[1,0,0]
	s_waitcnt vmcnt(3)
	v_pk_fma_f32 v[10:11], v[20:21], v[26:27], v[10:11] op_sel_hi:[1,0,1]
	s_waitcnt vmcnt(1)
	v_pk_fma_f32 v[8:9], v[38:39], v[26:27], v[8:9] op_sel_hi:[1,0,1]
	v_pk_fma_f32 v[10:11], v[22:23], v[26:27], v[10:11] op_sel:[0,1,0]
	v_pk_fma_f32 v[8:9], v[38:39], v[26:27], v[8:9] op_sel:[1,1,0] op_sel_hi:[0,1,1] neg_lo:[1,0,0]
	s_waitcnt vmcnt(0)
	v_pk_fma_f32 v[10:11], v[36:37], v[40:41], v[10:11] op_sel_hi:[1,0,1]
	v_pk_fma_f32 v[8:9], v[32:33], v[40:41], v[8:9] op_sel_hi:[1,0,1]
	v_pk_fma_f32 v[10:11], v[36:37], v[40:41], v[10:11] op_sel:[1,1,0] op_sel_hi:[0,1,1] neg_lo:[1,0,0]
	v_pk_fma_f32 v[8:9], v[32:33], v[40:41], v[8:9] op_sel:[1,1,0] op_sel_hi:[0,1,1] neg_lo:[1,0,0]
	s_andn2_b64 exec, exec, s[2:3]
	s_cbranch_execnz .LBB157_21
; %bb.22:
	s_or_b64 exec, exec, s[2:3]
.LBB157_23:
	s_or_b64 exec, exec, s[4:5]
.LBB157_24:
	v_mov_b32_dpp v0, v10 row_shr:1 row_mask:0xf bank_mask:0xf
	v_mov_b32_dpp v12, v8 row_shr:1 row_mask:0xf bank_mask:0xf
	v_add_f32_e32 v0, v10, v0
	v_mov_b32_dpp v10, v11 row_shr:1 row_mask:0xf bank_mask:0xf
	v_add_f32_e32 v13, v8, v12
	;; [unrolled: 2-line block ×3, first 2 shown]
	v_add_f32_e32 v9, v9, v8
	v_mov_b32_dpp v1, v0 row_shr:2 row_mask:0xf bank_mask:0xf
	v_mov_b32_dpp v11, v10 row_shr:2 row_mask:0xf bank_mask:0xf
	;; [unrolled: 1-line block ×4, first 2 shown]
	v_cmp_eq_u32_e32 vcc, 3, v7
	s_and_b64 exec, exec, vcc
	s_cbranch_execz .LBB157_29
; %bb.25:
	s_load_dwordx2 s[2:3], s[0:1], 0x38
	v_add_f32_e32 v8, v0, v1
	v_and_b32_e32 v1, 0x7fffffff, v4
	v_cmp_eq_u32_e32 vcc, 0, v1
	v_cmp_eq_f32_e64 s[0:1], 0, v5
	v_add_f32_e32 v12, v10, v11
	v_add_f32_e32 v0, v13, v14
	v_add_f32_e32 v10, v9, v15
	s_and_b64 s[0:1], vcc, s[0:1]
	s_and_saveexec_b64 s[4:5], s[0:1]
	s_xor_b64 s[0:1], exec, s[4:5]
	s_cbranch_execz .LBB157_27
; %bb.26:
	v_lshlrev_b32_e32 v4, 1, v6
	v_xor_b32_e32 v14, 0x80000000, v3
	v_ashrrev_i32_e32 v5, 31, v4
	v_mov_b32_e32 v15, v2
	s_waitcnt lgkmcnt(0)
	v_lshl_add_u64 v[16:17], v[4:5], 3, s[2:3]
	v_pk_mul_f32 v[4:5], v[12:13], v[14:15] op_sel_hi:[0,1]
	v_pk_mul_f32 v[6:7], v[10:11], v[14:15] op_sel_hi:[0,1]
	v_pk_fma_f32 v[4:5], v[2:3], v[8:9], v[4:5] op_sel_hi:[1,0,1]
	v_pk_fma_f32 v[6:7], v[2:3], v[0:1], v[6:7] op_sel_hi:[1,0,1]
	global_store_dwordx4 v[16:17], v[4:7], off
                                        ; implicit-def: $vgpr3
                                        ; implicit-def: $vgpr4
                                        ; implicit-def: $vgpr6
                                        ; implicit-def: $vgpr8
                                        ; implicit-def: $vgpr12
                                        ; implicit-def: $vgpr0
                                        ; implicit-def: $vgpr10
.LBB157_27:
	s_andn2_saveexec_b64 s[0:1], s[0:1]
	s_cbranch_execz .LBB157_29
; %bb.28:
	v_lshlrev_b32_e32 v6, 1, v6
	v_ashrrev_i32_e32 v7, 31, v6
	s_waitcnt lgkmcnt(0)
	v_lshl_add_u64 v[6:7], v[6:7], 3, s[2:3]
	global_load_dwordx4 v[14:17], v[6:7], off
	v_xor_b32_e32 v18, 0x80000000, v3
	v_mov_b32_e32 v19, v2
	v_pk_mul_f32 v[12:13], v[12:13], v[18:19] op_sel_hi:[0,1]
	v_pk_mul_f32 v[10:11], v[10:11], v[18:19] op_sel_hi:[0,1]
	v_pk_fma_f32 v[8:9], v[2:3], v[8:9], v[12:13] op_sel_hi:[1,0,1]
	v_pk_fma_f32 v[0:1], v[2:3], v[0:1], v[10:11] op_sel_hi:[1,0,1]
	v_xor_b32_e32 v20, 0x80000000, v5
	v_mov_b32_e32 v21, v4
	s_waitcnt vmcnt(0)
	v_pk_fma_f32 v[2:3], v[4:5], v[14:15], v[8:9] op_sel_hi:[1,0,1]
	v_pk_fma_f32 v[4:5], v[4:5], v[16:17], v[0:1] op_sel_hi:[1,0,1]
	v_mov_b32_e32 v8, v17
	v_pk_fma_f32 v[0:1], v[20:21], v[14:15], v[2:3] op_sel:[0,1,0]
	v_pk_fma_f32 v[2:3], v[20:21], v[8:9], v[4:5] op_sel_hi:[1,0,1]
	global_store_dwordx4 v[6:7], v[0:3], off
.LBB157_29:
	s_endpgm
	.section	.rodata,"a",@progbits
	.p2align	6, 0x0
	.amdhsa_kernel _ZN9rocsparseL19gebsrmvn_2xn_kernelILj128ELj3ELj4E21rocsparse_complex_numIfEEEvi20rocsparse_direction_NS_24const_host_device_scalarIT2_EEPKiS8_PKS5_SA_S6_PS5_21rocsparse_index_base_b
		.amdhsa_group_segment_fixed_size 0
		.amdhsa_private_segment_fixed_size 0
		.amdhsa_kernarg_size 72
		.amdhsa_user_sgpr_count 2
		.amdhsa_user_sgpr_dispatch_ptr 0
		.amdhsa_user_sgpr_queue_ptr 0
		.amdhsa_user_sgpr_kernarg_segment_ptr 1
		.amdhsa_user_sgpr_dispatch_id 0
		.amdhsa_user_sgpr_kernarg_preload_length 0
		.amdhsa_user_sgpr_kernarg_preload_offset 0
		.amdhsa_user_sgpr_private_segment_size 0
		.amdhsa_uses_dynamic_stack 0
		.amdhsa_enable_private_segment 0
		.amdhsa_system_sgpr_workgroup_id_x 1
		.amdhsa_system_sgpr_workgroup_id_y 0
		.amdhsa_system_sgpr_workgroup_id_z 0
		.amdhsa_system_sgpr_workgroup_info 0
		.amdhsa_system_vgpr_workitem_id 0
		.amdhsa_next_free_vgpr 42
		.amdhsa_next_free_sgpr 16
		.amdhsa_accum_offset 44
		.amdhsa_reserve_vcc 1
		.amdhsa_float_round_mode_32 0
		.amdhsa_float_round_mode_16_64 0
		.amdhsa_float_denorm_mode_32 3
		.amdhsa_float_denorm_mode_16_64 3
		.amdhsa_dx10_clamp 1
		.amdhsa_ieee_mode 1
		.amdhsa_fp16_overflow 0
		.amdhsa_tg_split 0
		.amdhsa_exception_fp_ieee_invalid_op 0
		.amdhsa_exception_fp_denorm_src 0
		.amdhsa_exception_fp_ieee_div_zero 0
		.amdhsa_exception_fp_ieee_overflow 0
		.amdhsa_exception_fp_ieee_underflow 0
		.amdhsa_exception_fp_ieee_inexact 0
		.amdhsa_exception_int_div_zero 0
	.end_amdhsa_kernel
	.section	.text._ZN9rocsparseL19gebsrmvn_2xn_kernelILj128ELj3ELj4E21rocsparse_complex_numIfEEEvi20rocsparse_direction_NS_24const_host_device_scalarIT2_EEPKiS8_PKS5_SA_S6_PS5_21rocsparse_index_base_b,"axG",@progbits,_ZN9rocsparseL19gebsrmvn_2xn_kernelILj128ELj3ELj4E21rocsparse_complex_numIfEEEvi20rocsparse_direction_NS_24const_host_device_scalarIT2_EEPKiS8_PKS5_SA_S6_PS5_21rocsparse_index_base_b,comdat
.Lfunc_end157:
	.size	_ZN9rocsparseL19gebsrmvn_2xn_kernelILj128ELj3ELj4E21rocsparse_complex_numIfEEEvi20rocsparse_direction_NS_24const_host_device_scalarIT2_EEPKiS8_PKS5_SA_S6_PS5_21rocsparse_index_base_b, .Lfunc_end157-_ZN9rocsparseL19gebsrmvn_2xn_kernelILj128ELj3ELj4E21rocsparse_complex_numIfEEEvi20rocsparse_direction_NS_24const_host_device_scalarIT2_EEPKiS8_PKS5_SA_S6_PS5_21rocsparse_index_base_b
                                        ; -- End function
	.section	.AMDGPU.csdata,"",@progbits
; Kernel info:
; codeLenInByte = 1568
; NumSgprs: 22
; NumVgprs: 42
; NumAgprs: 0
; TotalNumVgprs: 42
; ScratchSize: 0
; MemoryBound: 0
; FloatMode: 240
; IeeeMode: 1
; LDSByteSize: 0 bytes/workgroup (compile time only)
; SGPRBlocks: 2
; VGPRBlocks: 5
; NumSGPRsForWavesPerEU: 22
; NumVGPRsForWavesPerEU: 42
; AccumOffset: 44
; Occupancy: 8
; WaveLimiterHint : 1
; COMPUTE_PGM_RSRC2:SCRATCH_EN: 0
; COMPUTE_PGM_RSRC2:USER_SGPR: 2
; COMPUTE_PGM_RSRC2:TRAP_HANDLER: 0
; COMPUTE_PGM_RSRC2:TGID_X_EN: 1
; COMPUTE_PGM_RSRC2:TGID_Y_EN: 0
; COMPUTE_PGM_RSRC2:TGID_Z_EN: 0
; COMPUTE_PGM_RSRC2:TIDIG_COMP_CNT: 0
; COMPUTE_PGM_RSRC3_GFX90A:ACCUM_OFFSET: 10
; COMPUTE_PGM_RSRC3_GFX90A:TG_SPLIT: 0
	.section	.text._ZN9rocsparseL19gebsrmvn_2xn_kernelILj128ELj3ELj8E21rocsparse_complex_numIfEEEvi20rocsparse_direction_NS_24const_host_device_scalarIT2_EEPKiS8_PKS5_SA_S6_PS5_21rocsparse_index_base_b,"axG",@progbits,_ZN9rocsparseL19gebsrmvn_2xn_kernelILj128ELj3ELj8E21rocsparse_complex_numIfEEEvi20rocsparse_direction_NS_24const_host_device_scalarIT2_EEPKiS8_PKS5_SA_S6_PS5_21rocsparse_index_base_b,comdat
	.globl	_ZN9rocsparseL19gebsrmvn_2xn_kernelILj128ELj3ELj8E21rocsparse_complex_numIfEEEvi20rocsparse_direction_NS_24const_host_device_scalarIT2_EEPKiS8_PKS5_SA_S6_PS5_21rocsparse_index_base_b ; -- Begin function _ZN9rocsparseL19gebsrmvn_2xn_kernelILj128ELj3ELj8E21rocsparse_complex_numIfEEEvi20rocsparse_direction_NS_24const_host_device_scalarIT2_EEPKiS8_PKS5_SA_S6_PS5_21rocsparse_index_base_b
	.p2align	8
	.type	_ZN9rocsparseL19gebsrmvn_2xn_kernelILj128ELj3ELj8E21rocsparse_complex_numIfEEEvi20rocsparse_direction_NS_24const_host_device_scalarIT2_EEPKiS8_PKS5_SA_S6_PS5_21rocsparse_index_base_b,@function
_ZN9rocsparseL19gebsrmvn_2xn_kernelILj128ELj3ELj8E21rocsparse_complex_numIfEEEvi20rocsparse_direction_NS_24const_host_device_scalarIT2_EEPKiS8_PKS5_SA_S6_PS5_21rocsparse_index_base_b: ; @_ZN9rocsparseL19gebsrmvn_2xn_kernelILj128ELj3ELj8E21rocsparse_complex_numIfEEEvi20rocsparse_direction_NS_24const_host_device_scalarIT2_EEPKiS8_PKS5_SA_S6_PS5_21rocsparse_index_base_b
; %bb.0:
	s_load_dwordx2 s[12:13], s[0:1], 0x40
	s_load_dwordx2 s[8:9], s[0:1], 0x8
	;; [unrolled: 1-line block ×3, first 2 shown]
	s_waitcnt lgkmcnt(0)
	s_bitcmp1_b32 s13, 0
	s_cselect_b64 s[4:5], -1, 0
	s_xor_b64 s[10:11], s[4:5], -1
	s_and_b64 vcc, exec, s[4:5]
	v_mov_b32_e32 v2, s8
	s_cbranch_vccnz .LBB158_2
; %bb.1:
	v_mov_b64_e32 v[2:3], s[8:9]
	flat_load_dword v2, v[2:3]
.LBB158_2:
	v_cndmask_b32_e64 v1, 0, 1, s[10:11]
	v_cmp_ne_u32_e64 s[4:5], 1, v1
	s_andn2_b64 vcc, exec, s[10:11]
	v_mov_b32_e32 v3, s9
	s_cbranch_vccz .LBB158_16
; %bb.3:
	s_and_b64 vcc, exec, s[4:5]
	v_mov_b32_e32 v4, s6
	s_cbranch_vccz .LBB158_17
.LBB158_4:
	s_and_b64 vcc, exec, s[4:5]
	v_mov_b32_e32 v5, s7
	s_cbranch_vccnz .LBB158_6
.LBB158_5:
	v_mov_b64_e32 v[6:7], s[6:7]
	flat_load_dword v5, v[6:7] offset:4
.LBB158_6:
	s_waitcnt vmcnt(0) lgkmcnt(0)
	v_and_b32_e32 v1, 0x7fffffff, v2
	v_cmp_eq_u32_e32 vcc, 0, v1
	v_cmp_eq_f32_e64 s[4:5], 0, v3
	s_and_b64 s[8:9], vcc, s[4:5]
	s_mov_b64 s[4:5], -1
	s_and_saveexec_b64 s[6:7], s[8:9]
; %bb.7:
	v_and_b32_e32 v1, 0x7fffffff, v5
	v_cmp_neq_f32_e32 vcc, 1.0, v4
	v_cmp_ne_u32_e64 s[4:5], 0, v1
	s_or_b64 s[4:5], vcc, s[4:5]
	s_orn2_b64 s[4:5], s[4:5], exec
; %bb.8:
	s_or_b64 exec, exec, s[6:7]
	s_and_saveexec_b64 s[6:7], s[4:5]
	s_cbranch_execz .LBB158_29
; %bb.9:
	s_load_dwordx2 s[14:15], s[0:1], 0x0
	v_lshrrev_b32_e32 v1, 3, v0
	v_lshl_or_b32 v6, s2, 4, v1
	s_waitcnt lgkmcnt(0)
	v_cmp_gt_i32_e32 vcc, s14, v6
	s_and_b64 exec, exec, vcc
	s_cbranch_execz .LBB158_29
; %bb.10:
	s_load_dwordx8 s[4:11], s[0:1], 0x10
	v_ashrrev_i32_e32 v7, 31, v6
	s_cmp_lg_u32 s15, 0
	s_waitcnt lgkmcnt(0)
	v_lshl_add_u64 v[8:9], v[6:7], 2, s[4:5]
	global_load_dwordx2 v[8:9], v[8:9], off
	v_and_b32_e32 v7, 7, v0
	s_waitcnt vmcnt(0)
	v_subrev_u32_e32 v0, s12, v8
	v_subrev_u32_e32 v16, s12, v9
	v_add_u32_e32 v0, v0, v7
	v_cmp_lt_i32_e64 s[2:3], v0, v16
	s_cbranch_scc0 .LBB158_18
; %bb.11:
	v_mov_b32_e32 v11, 0
	v_mov_b32_e32 v10, v11
	;; [unrolled: 1-line block ×4, first 2 shown]
	s_and_saveexec_b64 s[4:5], s[2:3]
	s_cbranch_execz .LBB158_15
; %bb.12:
	v_mov_b32_e32 v13, 0
	v_mul_lo_u32 v12, v0, 6
	s_mov_b64 s[14:15], 0
	v_mov_b32_e32 v14, v0
	v_mov_b32_e32 v8, v13
	v_mov_b32_e32 v9, v13
	v_mov_b32_e32 v10, v13
	v_mov_b32_e32 v11, v13
.LBB158_13:                             ; =>This Inner Loop Header: Depth=1
	v_ashrrev_i32_e32 v15, 31, v14
	v_lshl_add_u64 v[18:19], v[14:15], 2, s[6:7]
	global_load_dword v1, v[18:19], off
	v_lshl_add_u64 v[30:31], v[12:13], 3, s[8:9]
	v_mov_b32_e32 v33, v13
	v_add_u32_e32 v18, 2, v12
	v_mov_b32_e32 v19, v13
	v_add_u32_e32 v20, 4, v12
	v_mov_b32_e32 v21, v13
	v_lshl_add_u64 v[38:39], v[18:19], 3, s[8:9]
	v_lshl_add_u64 v[40:41], v[20:21], 3, s[8:9]
	global_load_dwordx4 v[18:21], v[30:31], off
	global_load_dwordx4 v[22:25], v[38:39], off
	;; [unrolled: 1-line block ×3, first 2 shown]
	v_mov_b32_e32 v35, v13
	v_mov_b32_e32 v37, v13
	v_add_u32_e32 v14, 8, v14
	v_cmp_ge_i32_e32 vcc, v14, v16
	v_add_u32_e32 v12, 48, v12
	s_or_b64 s[14:15], vcc, s[14:15]
	s_waitcnt vmcnt(3)
	v_subrev_u32_e32 v1, s12, v1
	v_lshl_add_u32 v32, v1, 1, v1
	v_lshl_add_u64 v[30:31], v[32:33], 3, s[10:11]
	global_load_dwordx2 v[30:31], v[30:31], off
	v_add_u32_e32 v34, 1, v32
	v_add_u32_e32 v36, 2, v32
	v_lshl_add_u64 v[32:33], v[34:35], 3, s[10:11]
	v_lshl_add_u64 v[34:35], v[36:37], 3, s[10:11]
	global_load_dwordx2 v[36:37], v[32:33], off
	global_load_dwordx2 v[38:39], v[34:35], off
	s_waitcnt vmcnt(5)
	v_xor_b32_e32 v32, 0x80000000, v21
	v_mov_b32_e32 v33, v20
	s_waitcnt vmcnt(4)
	v_xor_b32_e32 v34, 0x80000000, v25
	v_mov_b32_e32 v35, v24
	;; [unrolled: 3-line block ×3, first 2 shown]
	s_waitcnt vmcnt(2)
	v_pk_fma_f32 v[10:11], v[18:19], v[30:31], v[10:11] op_sel_hi:[1,0,1]
	v_pk_fma_f32 v[8:9], v[20:21], v[30:31], v[8:9] op_sel_hi:[1,0,1]
	v_pk_fma_f32 v[10:11], v[18:19], v[30:31], v[10:11] op_sel:[1,1,0] op_sel_hi:[0,1,1] neg_lo:[1,0,0]
	v_pk_fma_f32 v[8:9], v[32:33], v[30:31], v[8:9] op_sel:[0,1,0]
	s_waitcnt vmcnt(1)
	v_pk_fma_f32 v[10:11], v[22:23], v[36:37], v[10:11] op_sel_hi:[1,0,1]
	v_pk_fma_f32 v[8:9], v[24:25], v[36:37], v[8:9] op_sel_hi:[1,0,1]
	v_pk_fma_f32 v[10:11], v[22:23], v[36:37], v[10:11] op_sel:[1,1,0] op_sel_hi:[0,1,1] neg_lo:[1,0,0]
	v_pk_fma_f32 v[8:9], v[34:35], v[36:37], v[8:9] op_sel:[0,1,0]
	;; [unrolled: 5-line block ×3, first 2 shown]
	s_andn2_b64 exec, exec, s[14:15]
	s_cbranch_execnz .LBB158_13
; %bb.14:
	s_or_b64 exec, exec, s[14:15]
.LBB158_15:
	s_or_b64 exec, exec, s[4:5]
	s_cbranch_execz .LBB158_19
	s_branch .LBB158_24
.LBB158_16:
	v_mov_b64_e32 v[4:5], s[8:9]
	flat_load_dword v3, v[4:5] offset:4
	s_and_b64 vcc, exec, s[4:5]
	v_mov_b32_e32 v4, s6
	s_cbranch_vccnz .LBB158_4
.LBB158_17:
	v_mov_b64_e32 v[4:5], s[6:7]
	flat_load_dword v4, v[4:5]
	s_and_b64 vcc, exec, s[4:5]
	v_mov_b32_e32 v5, s7
	s_cbranch_vccz .LBB158_5
	s_branch .LBB158_6
.LBB158_18:
                                        ; implicit-def: $vgpr11
                                        ; implicit-def: $vgpr9
.LBB158_19:
	v_mov_b32_e32 v11, 0
	v_mov_b32_e32 v10, v11
	;; [unrolled: 1-line block ×4, first 2 shown]
	s_and_saveexec_b64 s[4:5], s[2:3]
	s_cbranch_execz .LBB158_23
; %bb.20:
	v_mad_u64_u32 v[12:13], s[2:3], v0, 6, 5
	v_mov_b32_e32 v15, 0
	s_mov_b64 s[2:3], 0
	v_mov_b32_e32 v8, v15
	v_mov_b32_e32 v9, v15
	;; [unrolled: 1-line block ×4, first 2 shown]
.LBB158_21:                             ; =>This Inner Loop Header: Depth=1
	v_ashrrev_i32_e32 v1, 31, v0
	v_lshl_add_u64 v[18:19], v[0:1], 2, s[6:7]
	global_load_dword v1, v[18:19], off
	v_add_u32_e32 v14, -5, v12
	v_add_u32_e32 v18, -2, v12
	v_mov_b32_e32 v23, v15
	v_mov_b32_e32 v19, v15
	;; [unrolled: 1-line block ×3, first 2 shown]
	v_lshl_add_u64 v[24:25], v[14:15], 3, s[8:9]
	v_lshl_add_u64 v[26:27], v[18:19], 3, s[8:9]
	;; [unrolled: 1-line block ×3, first 2 shown]
	global_load_dwordx4 v[18:21], v[24:25], off
	global_load_dwordx2 v[30:31], v[26:27], off
	global_load_dwordx2 v[32:33], v[28:29], off
	v_add_u32_e32 v0, 8, v0
	v_cmp_ge_i32_e32 vcc, v0, v16
	s_or_b64 s[2:3], vcc, s[2:3]
	s_waitcnt vmcnt(3)
	v_subrev_u32_e32 v1, s12, v1
	v_lshl_add_u32 v22, v1, 1, v1
	v_lshl_add_u64 v[24:25], v[22:23], 3, s[10:11]
	v_add_u32_e32 v14, 1, v22
	global_load_dwordx2 v[24:25], v[24:25], off
	v_lshl_add_u64 v[26:27], v[14:15], 3, s[10:11]
	global_load_dwordx2 v[26:27], v[26:27], off
	v_add_u32_e32 v14, -1, v12
	v_lshl_add_u64 v[28:29], v[14:15], 3, s[8:9]
	v_add_u32_e32 v14, -3, v12
	v_lshl_add_u64 v[34:35], v[14:15], 3, s[8:9]
	v_add_u32_e32 v14, 2, v22
	v_lshl_add_u64 v[22:23], v[14:15], 3, s[10:11]
	global_load_dwordx2 v[36:37], v[34:35], off
	global_load_dwordx2 v[38:39], v[28:29], off
	;; [unrolled: 1-line block ×3, first 2 shown]
	s_waitcnt vmcnt(7)
	v_xor_b32_e32 v22, 0x80000000, v21
	v_mov_b32_e32 v23, v20
	v_add_u32_e32 v12, 48, v12
	s_waitcnt vmcnt(4)
	v_pk_fma_f32 v[10:11], v[18:19], v[24:25], v[10:11] op_sel_hi:[1,0,1]
	v_pk_fma_f32 v[8:9], v[30:31], v[24:25], v[8:9] op_sel_hi:[1,0,1]
	v_pk_fma_f32 v[10:11], v[18:19], v[24:25], v[10:11] op_sel:[1,1,0] op_sel_hi:[0,1,1] neg_lo:[1,0,0]
	v_pk_fma_f32 v[8:9], v[30:31], v[24:25], v[8:9] op_sel:[1,1,0] op_sel_hi:[0,1,1] neg_lo:[1,0,0]
	s_waitcnt vmcnt(3)
	v_pk_fma_f32 v[10:11], v[20:21], v[26:27], v[10:11] op_sel_hi:[1,0,1]
	s_waitcnt vmcnt(1)
	v_pk_fma_f32 v[8:9], v[38:39], v[26:27], v[8:9] op_sel_hi:[1,0,1]
	v_pk_fma_f32 v[10:11], v[22:23], v[26:27], v[10:11] op_sel:[0,1,0]
	v_pk_fma_f32 v[8:9], v[38:39], v[26:27], v[8:9] op_sel:[1,1,0] op_sel_hi:[0,1,1] neg_lo:[1,0,0]
	s_waitcnt vmcnt(0)
	v_pk_fma_f32 v[10:11], v[36:37], v[40:41], v[10:11] op_sel_hi:[1,0,1]
	v_pk_fma_f32 v[8:9], v[32:33], v[40:41], v[8:9] op_sel_hi:[1,0,1]
	v_pk_fma_f32 v[10:11], v[36:37], v[40:41], v[10:11] op_sel:[1,1,0] op_sel_hi:[0,1,1] neg_lo:[1,0,0]
	v_pk_fma_f32 v[8:9], v[32:33], v[40:41], v[8:9] op_sel:[1,1,0] op_sel_hi:[0,1,1] neg_lo:[1,0,0]
	s_andn2_b64 exec, exec, s[2:3]
	s_cbranch_execnz .LBB158_21
; %bb.22:
	s_or_b64 exec, exec, s[2:3]
.LBB158_23:
	s_or_b64 exec, exec, s[4:5]
.LBB158_24:
	v_mov_b32_dpp v12, v8 row_shr:1 row_mask:0xf bank_mask:0xf
	v_add_f32_e32 v8, v8, v12
	v_mov_b32_dpp v0, v10 row_shr:1 row_mask:0xf bank_mask:0xf
	v_add_f32_e32 v0, v10, v0
	v_mov_b32_dpp v12, v8 row_shr:2 row_mask:0xf bank_mask:0xf
	v_mov_b32_dpp v10, v11 row_shr:1 row_mask:0xf bank_mask:0xf
	v_add_f32_e32 v13, v8, v12
	v_mov_b32_dpp v8, v9 row_shr:1 row_mask:0xf bank_mask:0xf
	v_add_f32_e32 v10, v11, v10
	v_add_f32_e32 v8, v9, v8
	v_mov_b32_dpp v1, v0 row_shr:2 row_mask:0xf bank_mask:0xf
	v_mov_b32_dpp v11, v10 row_shr:2 row_mask:0xf bank_mask:0xf
	;; [unrolled: 1-line block ×3, first 2 shown]
	v_add_f32_e32 v0, v0, v1
	v_add_f32_e32 v10, v10, v11
	;; [unrolled: 1-line block ×3, first 2 shown]
	v_mov_b32_dpp v1, v0 row_shr:4 row_mask:0xf bank_mask:0xe
	v_mov_b32_dpp v11, v10 row_shr:4 row_mask:0xf bank_mask:0xe
	v_mov_b32_dpp v14, v13 row_shr:4 row_mask:0xf bank_mask:0xe
	v_mov_b32_dpp v15, v9 row_shr:4 row_mask:0xf bank_mask:0xe
	v_cmp_eq_u32_e32 vcc, 7, v7
	s_and_b64 exec, exec, vcc
	s_cbranch_execz .LBB158_29
; %bb.25:
	s_load_dwordx2 s[2:3], s[0:1], 0x38
	v_add_f32_e32 v8, v0, v1
	v_and_b32_e32 v1, 0x7fffffff, v4
	v_cmp_eq_u32_e32 vcc, 0, v1
	v_cmp_eq_f32_e64 s[0:1], 0, v5
	v_add_f32_e32 v12, v10, v11
	v_add_f32_e32 v0, v13, v14
	;; [unrolled: 1-line block ×3, first 2 shown]
	s_and_b64 s[0:1], vcc, s[0:1]
	s_and_saveexec_b64 s[4:5], s[0:1]
	s_xor_b64 s[0:1], exec, s[4:5]
	s_cbranch_execz .LBB158_27
; %bb.26:
	v_lshlrev_b32_e32 v4, 1, v6
	v_xor_b32_e32 v14, 0x80000000, v3
	v_ashrrev_i32_e32 v5, 31, v4
	v_mov_b32_e32 v15, v2
	s_waitcnt lgkmcnt(0)
	v_lshl_add_u64 v[16:17], v[4:5], 3, s[2:3]
	v_pk_mul_f32 v[4:5], v[12:13], v[14:15] op_sel_hi:[0,1]
	v_pk_mul_f32 v[6:7], v[10:11], v[14:15] op_sel_hi:[0,1]
	v_pk_fma_f32 v[4:5], v[2:3], v[8:9], v[4:5] op_sel_hi:[1,0,1]
	v_pk_fma_f32 v[6:7], v[2:3], v[0:1], v[6:7] op_sel_hi:[1,0,1]
	global_store_dwordx4 v[16:17], v[4:7], off
                                        ; implicit-def: $vgpr3
                                        ; implicit-def: $vgpr4
                                        ; implicit-def: $vgpr6
                                        ; implicit-def: $vgpr8
                                        ; implicit-def: $vgpr12
                                        ; implicit-def: $vgpr0
                                        ; implicit-def: $vgpr10
.LBB158_27:
	s_andn2_saveexec_b64 s[0:1], s[0:1]
	s_cbranch_execz .LBB158_29
; %bb.28:
	v_lshlrev_b32_e32 v6, 1, v6
	v_ashrrev_i32_e32 v7, 31, v6
	s_waitcnt lgkmcnt(0)
	v_lshl_add_u64 v[6:7], v[6:7], 3, s[2:3]
	global_load_dwordx4 v[14:17], v[6:7], off
	v_xor_b32_e32 v18, 0x80000000, v3
	v_mov_b32_e32 v19, v2
	v_pk_mul_f32 v[12:13], v[12:13], v[18:19] op_sel_hi:[0,1]
	v_pk_mul_f32 v[10:11], v[10:11], v[18:19] op_sel_hi:[0,1]
	v_pk_fma_f32 v[8:9], v[2:3], v[8:9], v[12:13] op_sel_hi:[1,0,1]
	v_pk_fma_f32 v[0:1], v[2:3], v[0:1], v[10:11] op_sel_hi:[1,0,1]
	v_xor_b32_e32 v20, 0x80000000, v5
	v_mov_b32_e32 v21, v4
	s_waitcnt vmcnt(0)
	v_pk_fma_f32 v[2:3], v[4:5], v[14:15], v[8:9] op_sel_hi:[1,0,1]
	v_pk_fma_f32 v[4:5], v[4:5], v[16:17], v[0:1] op_sel_hi:[1,0,1]
	v_mov_b32_e32 v8, v17
	v_pk_fma_f32 v[0:1], v[20:21], v[14:15], v[2:3] op_sel:[0,1,0]
	v_pk_fma_f32 v[2:3], v[20:21], v[8:9], v[4:5] op_sel_hi:[1,0,1]
	global_store_dwordx4 v[6:7], v[0:3], off
.LBB158_29:
	s_endpgm
	.section	.rodata,"a",@progbits
	.p2align	6, 0x0
	.amdhsa_kernel _ZN9rocsparseL19gebsrmvn_2xn_kernelILj128ELj3ELj8E21rocsparse_complex_numIfEEEvi20rocsparse_direction_NS_24const_host_device_scalarIT2_EEPKiS8_PKS5_SA_S6_PS5_21rocsparse_index_base_b
		.amdhsa_group_segment_fixed_size 0
		.amdhsa_private_segment_fixed_size 0
		.amdhsa_kernarg_size 72
		.amdhsa_user_sgpr_count 2
		.amdhsa_user_sgpr_dispatch_ptr 0
		.amdhsa_user_sgpr_queue_ptr 0
		.amdhsa_user_sgpr_kernarg_segment_ptr 1
		.amdhsa_user_sgpr_dispatch_id 0
		.amdhsa_user_sgpr_kernarg_preload_length 0
		.amdhsa_user_sgpr_kernarg_preload_offset 0
		.amdhsa_user_sgpr_private_segment_size 0
		.amdhsa_uses_dynamic_stack 0
		.amdhsa_enable_private_segment 0
		.amdhsa_system_sgpr_workgroup_id_x 1
		.amdhsa_system_sgpr_workgroup_id_y 0
		.amdhsa_system_sgpr_workgroup_id_z 0
		.amdhsa_system_sgpr_workgroup_info 0
		.amdhsa_system_vgpr_workitem_id 0
		.amdhsa_next_free_vgpr 42
		.amdhsa_next_free_sgpr 16
		.amdhsa_accum_offset 44
		.amdhsa_reserve_vcc 1
		.amdhsa_float_round_mode_32 0
		.amdhsa_float_round_mode_16_64 0
		.amdhsa_float_denorm_mode_32 3
		.amdhsa_float_denorm_mode_16_64 3
		.amdhsa_dx10_clamp 1
		.amdhsa_ieee_mode 1
		.amdhsa_fp16_overflow 0
		.amdhsa_tg_split 0
		.amdhsa_exception_fp_ieee_invalid_op 0
		.amdhsa_exception_fp_denorm_src 0
		.amdhsa_exception_fp_ieee_div_zero 0
		.amdhsa_exception_fp_ieee_overflow 0
		.amdhsa_exception_fp_ieee_underflow 0
		.amdhsa_exception_fp_ieee_inexact 0
		.amdhsa_exception_int_div_zero 0
	.end_amdhsa_kernel
	.section	.text._ZN9rocsparseL19gebsrmvn_2xn_kernelILj128ELj3ELj8E21rocsparse_complex_numIfEEEvi20rocsparse_direction_NS_24const_host_device_scalarIT2_EEPKiS8_PKS5_SA_S6_PS5_21rocsparse_index_base_b,"axG",@progbits,_ZN9rocsparseL19gebsrmvn_2xn_kernelILj128ELj3ELj8E21rocsparse_complex_numIfEEEvi20rocsparse_direction_NS_24const_host_device_scalarIT2_EEPKiS8_PKS5_SA_S6_PS5_21rocsparse_index_base_b,comdat
.Lfunc_end158:
	.size	_ZN9rocsparseL19gebsrmvn_2xn_kernelILj128ELj3ELj8E21rocsparse_complex_numIfEEEvi20rocsparse_direction_NS_24const_host_device_scalarIT2_EEPKiS8_PKS5_SA_S6_PS5_21rocsparse_index_base_b, .Lfunc_end158-_ZN9rocsparseL19gebsrmvn_2xn_kernelILj128ELj3ELj8E21rocsparse_complex_numIfEEEvi20rocsparse_direction_NS_24const_host_device_scalarIT2_EEPKiS8_PKS5_SA_S6_PS5_21rocsparse_index_base_b
                                        ; -- End function
	.section	.AMDGPU.csdata,"",@progbits
; Kernel info:
; codeLenInByte = 1616
; NumSgprs: 22
; NumVgprs: 42
; NumAgprs: 0
; TotalNumVgprs: 42
; ScratchSize: 0
; MemoryBound: 0
; FloatMode: 240
; IeeeMode: 1
; LDSByteSize: 0 bytes/workgroup (compile time only)
; SGPRBlocks: 2
; VGPRBlocks: 5
; NumSGPRsForWavesPerEU: 22
; NumVGPRsForWavesPerEU: 42
; AccumOffset: 44
; Occupancy: 8
; WaveLimiterHint : 1
; COMPUTE_PGM_RSRC2:SCRATCH_EN: 0
; COMPUTE_PGM_RSRC2:USER_SGPR: 2
; COMPUTE_PGM_RSRC2:TRAP_HANDLER: 0
; COMPUTE_PGM_RSRC2:TGID_X_EN: 1
; COMPUTE_PGM_RSRC2:TGID_Y_EN: 0
; COMPUTE_PGM_RSRC2:TGID_Z_EN: 0
; COMPUTE_PGM_RSRC2:TIDIG_COMP_CNT: 0
; COMPUTE_PGM_RSRC3_GFX90A:ACCUM_OFFSET: 10
; COMPUTE_PGM_RSRC3_GFX90A:TG_SPLIT: 0
	.section	.text._ZN9rocsparseL19gebsrmvn_2xn_kernelILj128ELj3ELj16E21rocsparse_complex_numIfEEEvi20rocsparse_direction_NS_24const_host_device_scalarIT2_EEPKiS8_PKS5_SA_S6_PS5_21rocsparse_index_base_b,"axG",@progbits,_ZN9rocsparseL19gebsrmvn_2xn_kernelILj128ELj3ELj16E21rocsparse_complex_numIfEEEvi20rocsparse_direction_NS_24const_host_device_scalarIT2_EEPKiS8_PKS5_SA_S6_PS5_21rocsparse_index_base_b,comdat
	.globl	_ZN9rocsparseL19gebsrmvn_2xn_kernelILj128ELj3ELj16E21rocsparse_complex_numIfEEEvi20rocsparse_direction_NS_24const_host_device_scalarIT2_EEPKiS8_PKS5_SA_S6_PS5_21rocsparse_index_base_b ; -- Begin function _ZN9rocsparseL19gebsrmvn_2xn_kernelILj128ELj3ELj16E21rocsparse_complex_numIfEEEvi20rocsparse_direction_NS_24const_host_device_scalarIT2_EEPKiS8_PKS5_SA_S6_PS5_21rocsparse_index_base_b
	.p2align	8
	.type	_ZN9rocsparseL19gebsrmvn_2xn_kernelILj128ELj3ELj16E21rocsparse_complex_numIfEEEvi20rocsparse_direction_NS_24const_host_device_scalarIT2_EEPKiS8_PKS5_SA_S6_PS5_21rocsparse_index_base_b,@function
_ZN9rocsparseL19gebsrmvn_2xn_kernelILj128ELj3ELj16E21rocsparse_complex_numIfEEEvi20rocsparse_direction_NS_24const_host_device_scalarIT2_EEPKiS8_PKS5_SA_S6_PS5_21rocsparse_index_base_b: ; @_ZN9rocsparseL19gebsrmvn_2xn_kernelILj128ELj3ELj16E21rocsparse_complex_numIfEEEvi20rocsparse_direction_NS_24const_host_device_scalarIT2_EEPKiS8_PKS5_SA_S6_PS5_21rocsparse_index_base_b
; %bb.0:
	s_load_dwordx2 s[12:13], s[0:1], 0x40
	s_load_dwordx2 s[8:9], s[0:1], 0x8
	;; [unrolled: 1-line block ×3, first 2 shown]
	s_waitcnt lgkmcnt(0)
	s_bitcmp1_b32 s13, 0
	s_cselect_b64 s[4:5], -1, 0
	s_xor_b64 s[10:11], s[4:5], -1
	s_and_b64 vcc, exec, s[4:5]
	v_mov_b32_e32 v2, s8
	s_cbranch_vccnz .LBB159_2
; %bb.1:
	v_mov_b64_e32 v[2:3], s[8:9]
	flat_load_dword v2, v[2:3]
.LBB159_2:
	v_cndmask_b32_e64 v1, 0, 1, s[10:11]
	v_cmp_ne_u32_e64 s[4:5], 1, v1
	s_andn2_b64 vcc, exec, s[10:11]
	v_mov_b32_e32 v3, s9
	s_cbranch_vccz .LBB159_16
; %bb.3:
	s_and_b64 vcc, exec, s[4:5]
	v_mov_b32_e32 v4, s6
	s_cbranch_vccz .LBB159_17
.LBB159_4:
	s_and_b64 vcc, exec, s[4:5]
	v_mov_b32_e32 v5, s7
	s_cbranch_vccnz .LBB159_6
.LBB159_5:
	v_mov_b64_e32 v[6:7], s[6:7]
	flat_load_dword v5, v[6:7] offset:4
.LBB159_6:
	s_waitcnt vmcnt(0) lgkmcnt(0)
	v_and_b32_e32 v1, 0x7fffffff, v2
	v_cmp_eq_u32_e32 vcc, 0, v1
	v_cmp_eq_f32_e64 s[4:5], 0, v3
	s_and_b64 s[8:9], vcc, s[4:5]
	s_mov_b64 s[4:5], -1
	s_and_saveexec_b64 s[6:7], s[8:9]
; %bb.7:
	v_and_b32_e32 v1, 0x7fffffff, v5
	v_cmp_neq_f32_e32 vcc, 1.0, v4
	v_cmp_ne_u32_e64 s[4:5], 0, v1
	s_or_b64 s[4:5], vcc, s[4:5]
	s_orn2_b64 s[4:5], s[4:5], exec
; %bb.8:
	s_or_b64 exec, exec, s[6:7]
	s_and_saveexec_b64 s[6:7], s[4:5]
	s_cbranch_execz .LBB159_29
; %bb.9:
	s_load_dwordx2 s[14:15], s[0:1], 0x0
	v_lshrrev_b32_e32 v1, 4, v0
	v_lshl_or_b32 v6, s2, 3, v1
	s_waitcnt lgkmcnt(0)
	v_cmp_gt_i32_e32 vcc, s14, v6
	s_and_b64 exec, exec, vcc
	s_cbranch_execz .LBB159_29
; %bb.10:
	s_load_dwordx8 s[4:11], s[0:1], 0x10
	v_ashrrev_i32_e32 v7, 31, v6
	s_cmp_lg_u32 s15, 0
	s_waitcnt lgkmcnt(0)
	v_lshl_add_u64 v[8:9], v[6:7], 2, s[4:5]
	global_load_dwordx2 v[8:9], v[8:9], off
	v_and_b32_e32 v7, 15, v0
	s_waitcnt vmcnt(0)
	v_subrev_u32_e32 v0, s12, v8
	v_subrev_u32_e32 v16, s12, v9
	v_add_u32_e32 v0, v0, v7
	v_cmp_lt_i32_e64 s[2:3], v0, v16
	s_cbranch_scc0 .LBB159_18
; %bb.11:
	v_mov_b32_e32 v11, 0
	v_mov_b32_e32 v10, v11
	;; [unrolled: 1-line block ×4, first 2 shown]
	s_and_saveexec_b64 s[4:5], s[2:3]
	s_cbranch_execz .LBB159_15
; %bb.12:
	v_mov_b32_e32 v13, 0
	v_mul_lo_u32 v12, v0, 6
	s_mov_b64 s[14:15], 0
	v_mov_b32_e32 v14, v0
	v_mov_b32_e32 v8, v13
	;; [unrolled: 1-line block ×5, first 2 shown]
.LBB159_13:                             ; =>This Inner Loop Header: Depth=1
	v_ashrrev_i32_e32 v15, 31, v14
	v_lshl_add_u64 v[18:19], v[14:15], 2, s[6:7]
	global_load_dword v1, v[18:19], off
	v_lshl_add_u64 v[30:31], v[12:13], 3, s[8:9]
	v_mov_b32_e32 v33, v13
	v_add_u32_e32 v18, 2, v12
	v_mov_b32_e32 v19, v13
	v_add_u32_e32 v20, 4, v12
	v_mov_b32_e32 v21, v13
	v_lshl_add_u64 v[38:39], v[18:19], 3, s[8:9]
	v_lshl_add_u64 v[40:41], v[20:21], 3, s[8:9]
	global_load_dwordx4 v[18:21], v[30:31], off
	global_load_dwordx4 v[22:25], v[38:39], off
	;; [unrolled: 1-line block ×3, first 2 shown]
	v_mov_b32_e32 v35, v13
	v_mov_b32_e32 v37, v13
	v_add_u32_e32 v14, 16, v14
	v_cmp_ge_i32_e32 vcc, v14, v16
	v_add_u32_e32 v12, 0x60, v12
	s_or_b64 s[14:15], vcc, s[14:15]
	s_waitcnt vmcnt(3)
	v_subrev_u32_e32 v1, s12, v1
	v_lshl_add_u32 v32, v1, 1, v1
	v_lshl_add_u64 v[30:31], v[32:33], 3, s[10:11]
	global_load_dwordx2 v[30:31], v[30:31], off
	v_add_u32_e32 v34, 1, v32
	v_add_u32_e32 v36, 2, v32
	v_lshl_add_u64 v[32:33], v[34:35], 3, s[10:11]
	v_lshl_add_u64 v[34:35], v[36:37], 3, s[10:11]
	global_load_dwordx2 v[36:37], v[32:33], off
	global_load_dwordx2 v[38:39], v[34:35], off
	s_waitcnt vmcnt(5)
	v_xor_b32_e32 v32, 0x80000000, v21
	v_mov_b32_e32 v33, v20
	s_waitcnt vmcnt(4)
	v_xor_b32_e32 v34, 0x80000000, v25
	v_mov_b32_e32 v35, v24
	;; [unrolled: 3-line block ×3, first 2 shown]
	s_waitcnt vmcnt(2)
	v_pk_fma_f32 v[10:11], v[18:19], v[30:31], v[10:11] op_sel_hi:[1,0,1]
	v_pk_fma_f32 v[8:9], v[20:21], v[30:31], v[8:9] op_sel_hi:[1,0,1]
	v_pk_fma_f32 v[10:11], v[18:19], v[30:31], v[10:11] op_sel:[1,1,0] op_sel_hi:[0,1,1] neg_lo:[1,0,0]
	v_pk_fma_f32 v[8:9], v[32:33], v[30:31], v[8:9] op_sel:[0,1,0]
	s_waitcnt vmcnt(1)
	v_pk_fma_f32 v[10:11], v[22:23], v[36:37], v[10:11] op_sel_hi:[1,0,1]
	v_pk_fma_f32 v[8:9], v[24:25], v[36:37], v[8:9] op_sel_hi:[1,0,1]
	v_pk_fma_f32 v[10:11], v[22:23], v[36:37], v[10:11] op_sel:[1,1,0] op_sel_hi:[0,1,1] neg_lo:[1,0,0]
	v_pk_fma_f32 v[8:9], v[34:35], v[36:37], v[8:9] op_sel:[0,1,0]
	;; [unrolled: 5-line block ×3, first 2 shown]
	s_andn2_b64 exec, exec, s[14:15]
	s_cbranch_execnz .LBB159_13
; %bb.14:
	s_or_b64 exec, exec, s[14:15]
.LBB159_15:
	s_or_b64 exec, exec, s[4:5]
	s_cbranch_execz .LBB159_19
	s_branch .LBB159_24
.LBB159_16:
	v_mov_b64_e32 v[4:5], s[8:9]
	flat_load_dword v3, v[4:5] offset:4
	s_and_b64 vcc, exec, s[4:5]
	v_mov_b32_e32 v4, s6
	s_cbranch_vccnz .LBB159_4
.LBB159_17:
	v_mov_b64_e32 v[4:5], s[6:7]
	flat_load_dword v4, v[4:5]
	s_and_b64 vcc, exec, s[4:5]
	v_mov_b32_e32 v5, s7
	s_cbranch_vccz .LBB159_5
	s_branch .LBB159_6
.LBB159_18:
                                        ; implicit-def: $vgpr11
                                        ; implicit-def: $vgpr9
.LBB159_19:
	v_mov_b32_e32 v11, 0
	v_mov_b32_e32 v10, v11
	;; [unrolled: 1-line block ×4, first 2 shown]
	s_and_saveexec_b64 s[4:5], s[2:3]
	s_cbranch_execz .LBB159_23
; %bb.20:
	v_mad_u64_u32 v[12:13], s[2:3], v0, 6, 5
	v_mov_b32_e32 v15, 0
	s_mov_b64 s[2:3], 0
	v_mov_b32_e32 v8, v15
	v_mov_b32_e32 v9, v15
	;; [unrolled: 1-line block ×4, first 2 shown]
.LBB159_21:                             ; =>This Inner Loop Header: Depth=1
	v_ashrrev_i32_e32 v1, 31, v0
	v_lshl_add_u64 v[18:19], v[0:1], 2, s[6:7]
	global_load_dword v1, v[18:19], off
	v_add_u32_e32 v14, -5, v12
	v_add_u32_e32 v18, -2, v12
	v_mov_b32_e32 v23, v15
	v_mov_b32_e32 v19, v15
	;; [unrolled: 1-line block ×3, first 2 shown]
	v_lshl_add_u64 v[24:25], v[14:15], 3, s[8:9]
	v_lshl_add_u64 v[26:27], v[18:19], 3, s[8:9]
	;; [unrolled: 1-line block ×3, first 2 shown]
	global_load_dwordx4 v[18:21], v[24:25], off
	global_load_dwordx2 v[30:31], v[26:27], off
	global_load_dwordx2 v[32:33], v[28:29], off
	v_add_u32_e32 v0, 16, v0
	v_cmp_ge_i32_e32 vcc, v0, v16
	s_or_b64 s[2:3], vcc, s[2:3]
	s_waitcnt vmcnt(3)
	v_subrev_u32_e32 v1, s12, v1
	v_lshl_add_u32 v22, v1, 1, v1
	v_lshl_add_u64 v[24:25], v[22:23], 3, s[10:11]
	v_add_u32_e32 v14, 1, v22
	global_load_dwordx2 v[24:25], v[24:25], off
	v_lshl_add_u64 v[26:27], v[14:15], 3, s[10:11]
	global_load_dwordx2 v[26:27], v[26:27], off
	v_add_u32_e32 v14, -1, v12
	v_lshl_add_u64 v[28:29], v[14:15], 3, s[8:9]
	v_add_u32_e32 v14, -3, v12
	v_lshl_add_u64 v[34:35], v[14:15], 3, s[8:9]
	v_add_u32_e32 v14, 2, v22
	v_lshl_add_u64 v[22:23], v[14:15], 3, s[10:11]
	global_load_dwordx2 v[36:37], v[34:35], off
	global_load_dwordx2 v[38:39], v[28:29], off
	;; [unrolled: 1-line block ×3, first 2 shown]
	s_waitcnt vmcnt(7)
	v_xor_b32_e32 v22, 0x80000000, v21
	v_mov_b32_e32 v23, v20
	v_add_u32_e32 v12, 0x60, v12
	s_waitcnt vmcnt(4)
	v_pk_fma_f32 v[10:11], v[18:19], v[24:25], v[10:11] op_sel_hi:[1,0,1]
	v_pk_fma_f32 v[8:9], v[30:31], v[24:25], v[8:9] op_sel_hi:[1,0,1]
	v_pk_fma_f32 v[10:11], v[18:19], v[24:25], v[10:11] op_sel:[1,1,0] op_sel_hi:[0,1,1] neg_lo:[1,0,0]
	v_pk_fma_f32 v[8:9], v[30:31], v[24:25], v[8:9] op_sel:[1,1,0] op_sel_hi:[0,1,1] neg_lo:[1,0,0]
	s_waitcnt vmcnt(3)
	v_pk_fma_f32 v[10:11], v[20:21], v[26:27], v[10:11] op_sel_hi:[1,0,1]
	s_waitcnt vmcnt(1)
	v_pk_fma_f32 v[8:9], v[38:39], v[26:27], v[8:9] op_sel_hi:[1,0,1]
	v_pk_fma_f32 v[10:11], v[22:23], v[26:27], v[10:11] op_sel:[0,1,0]
	v_pk_fma_f32 v[8:9], v[38:39], v[26:27], v[8:9] op_sel:[1,1,0] op_sel_hi:[0,1,1] neg_lo:[1,0,0]
	s_waitcnt vmcnt(0)
	v_pk_fma_f32 v[10:11], v[36:37], v[40:41], v[10:11] op_sel_hi:[1,0,1]
	v_pk_fma_f32 v[8:9], v[32:33], v[40:41], v[8:9] op_sel_hi:[1,0,1]
	v_pk_fma_f32 v[10:11], v[36:37], v[40:41], v[10:11] op_sel:[1,1,0] op_sel_hi:[0,1,1] neg_lo:[1,0,0]
	v_pk_fma_f32 v[8:9], v[32:33], v[40:41], v[8:9] op_sel:[1,1,0] op_sel_hi:[0,1,1] neg_lo:[1,0,0]
	s_andn2_b64 exec, exec, s[2:3]
	s_cbranch_execnz .LBB159_21
; %bb.22:
	s_or_b64 exec, exec, s[2:3]
.LBB159_23:
	s_or_b64 exec, exec, s[4:5]
.LBB159_24:
	v_mov_b32_dpp v12, v8 row_shr:1 row_mask:0xf bank_mask:0xf
	v_add_f32_e32 v8, v8, v12
	v_mov_b32_dpp v0, v10 row_shr:1 row_mask:0xf bank_mask:0xf
	v_add_f32_e32 v0, v10, v0
	;; [unrolled: 2-line block ×6, first 2 shown]
	v_mov_b32_dpp v1, v0 row_shr:2 row_mask:0xf bank_mask:0xf
	v_mov_b32_dpp v11, v10 row_shr:2 row_mask:0xf bank_mask:0xf
	;; [unrolled: 1-line block ×3, first 2 shown]
	v_add_f32_e32 v0, v0, v1
	v_add_f32_e32 v10, v10, v11
	;; [unrolled: 1-line block ×3, first 2 shown]
	v_mov_b32_dpp v1, v0 row_shr:4 row_mask:0xf bank_mask:0xe
	v_mov_b32_dpp v11, v10 row_shr:4 row_mask:0xf bank_mask:0xe
	;; [unrolled: 1-line block ×3, first 2 shown]
	v_add_f32_e32 v0, v0, v1
	v_add_f32_e32 v10, v10, v11
	;; [unrolled: 1-line block ×3, first 2 shown]
	v_mov_b32_dpp v1, v0 row_shr:8 row_mask:0xf bank_mask:0xc
	v_mov_b32_dpp v11, v10 row_shr:8 row_mask:0xf bank_mask:0xc
	v_mov_b32_dpp v14, v13 row_shr:8 row_mask:0xf bank_mask:0xc
	v_mov_b32_dpp v15, v9 row_shr:8 row_mask:0xf bank_mask:0xc
	v_cmp_eq_u32_e32 vcc, 15, v7
	s_and_b64 exec, exec, vcc
	s_cbranch_execz .LBB159_29
; %bb.25:
	s_load_dwordx2 s[2:3], s[0:1], 0x38
	v_add_f32_e32 v8, v0, v1
	v_and_b32_e32 v1, 0x7fffffff, v4
	v_cmp_eq_u32_e32 vcc, 0, v1
	v_cmp_eq_f32_e64 s[0:1], 0, v5
	v_add_f32_e32 v12, v10, v11
	v_add_f32_e32 v0, v13, v14
	;; [unrolled: 1-line block ×3, first 2 shown]
	s_and_b64 s[0:1], vcc, s[0:1]
	s_and_saveexec_b64 s[4:5], s[0:1]
	s_xor_b64 s[0:1], exec, s[4:5]
	s_cbranch_execz .LBB159_27
; %bb.26:
	v_lshlrev_b32_e32 v4, 1, v6
	v_xor_b32_e32 v14, 0x80000000, v3
	v_ashrrev_i32_e32 v5, 31, v4
	v_mov_b32_e32 v15, v2
	s_waitcnt lgkmcnt(0)
	v_lshl_add_u64 v[16:17], v[4:5], 3, s[2:3]
	v_pk_mul_f32 v[4:5], v[12:13], v[14:15] op_sel_hi:[0,1]
	v_pk_mul_f32 v[6:7], v[10:11], v[14:15] op_sel_hi:[0,1]
	v_pk_fma_f32 v[4:5], v[2:3], v[8:9], v[4:5] op_sel_hi:[1,0,1]
	v_pk_fma_f32 v[6:7], v[2:3], v[0:1], v[6:7] op_sel_hi:[1,0,1]
	global_store_dwordx4 v[16:17], v[4:7], off
                                        ; implicit-def: $vgpr3
                                        ; implicit-def: $vgpr4
                                        ; implicit-def: $vgpr6
                                        ; implicit-def: $vgpr8
                                        ; implicit-def: $vgpr12
                                        ; implicit-def: $vgpr0
                                        ; implicit-def: $vgpr10
.LBB159_27:
	s_andn2_saveexec_b64 s[0:1], s[0:1]
	s_cbranch_execz .LBB159_29
; %bb.28:
	v_lshlrev_b32_e32 v6, 1, v6
	v_ashrrev_i32_e32 v7, 31, v6
	s_waitcnt lgkmcnt(0)
	v_lshl_add_u64 v[6:7], v[6:7], 3, s[2:3]
	global_load_dwordx4 v[14:17], v[6:7], off
	v_xor_b32_e32 v18, 0x80000000, v3
	v_mov_b32_e32 v19, v2
	v_pk_mul_f32 v[12:13], v[12:13], v[18:19] op_sel_hi:[0,1]
	v_pk_mul_f32 v[10:11], v[10:11], v[18:19] op_sel_hi:[0,1]
	v_pk_fma_f32 v[8:9], v[2:3], v[8:9], v[12:13] op_sel_hi:[1,0,1]
	v_pk_fma_f32 v[0:1], v[2:3], v[0:1], v[10:11] op_sel_hi:[1,0,1]
	v_xor_b32_e32 v20, 0x80000000, v5
	v_mov_b32_e32 v21, v4
	s_waitcnt vmcnt(0)
	v_pk_fma_f32 v[2:3], v[4:5], v[14:15], v[8:9] op_sel_hi:[1,0,1]
	v_pk_fma_f32 v[4:5], v[4:5], v[16:17], v[0:1] op_sel_hi:[1,0,1]
	v_mov_b32_e32 v8, v17
	v_pk_fma_f32 v[0:1], v[20:21], v[14:15], v[2:3] op_sel:[0,1,0]
	v_pk_fma_f32 v[2:3], v[20:21], v[8:9], v[4:5] op_sel_hi:[1,0,1]
	global_store_dwordx4 v[6:7], v[0:3], off
.LBB159_29:
	s_endpgm
	.section	.rodata,"a",@progbits
	.p2align	6, 0x0
	.amdhsa_kernel _ZN9rocsparseL19gebsrmvn_2xn_kernelILj128ELj3ELj16E21rocsparse_complex_numIfEEEvi20rocsparse_direction_NS_24const_host_device_scalarIT2_EEPKiS8_PKS5_SA_S6_PS5_21rocsparse_index_base_b
		.amdhsa_group_segment_fixed_size 0
		.amdhsa_private_segment_fixed_size 0
		.amdhsa_kernarg_size 72
		.amdhsa_user_sgpr_count 2
		.amdhsa_user_sgpr_dispatch_ptr 0
		.amdhsa_user_sgpr_queue_ptr 0
		.amdhsa_user_sgpr_kernarg_segment_ptr 1
		.amdhsa_user_sgpr_dispatch_id 0
		.amdhsa_user_sgpr_kernarg_preload_length 0
		.amdhsa_user_sgpr_kernarg_preload_offset 0
		.amdhsa_user_sgpr_private_segment_size 0
		.amdhsa_uses_dynamic_stack 0
		.amdhsa_enable_private_segment 0
		.amdhsa_system_sgpr_workgroup_id_x 1
		.amdhsa_system_sgpr_workgroup_id_y 0
		.amdhsa_system_sgpr_workgroup_id_z 0
		.amdhsa_system_sgpr_workgroup_info 0
		.amdhsa_system_vgpr_workitem_id 0
		.amdhsa_next_free_vgpr 42
		.amdhsa_next_free_sgpr 16
		.amdhsa_accum_offset 44
		.amdhsa_reserve_vcc 1
		.amdhsa_float_round_mode_32 0
		.amdhsa_float_round_mode_16_64 0
		.amdhsa_float_denorm_mode_32 3
		.amdhsa_float_denorm_mode_16_64 3
		.amdhsa_dx10_clamp 1
		.amdhsa_ieee_mode 1
		.amdhsa_fp16_overflow 0
		.amdhsa_tg_split 0
		.amdhsa_exception_fp_ieee_invalid_op 0
		.amdhsa_exception_fp_denorm_src 0
		.amdhsa_exception_fp_ieee_div_zero 0
		.amdhsa_exception_fp_ieee_overflow 0
		.amdhsa_exception_fp_ieee_underflow 0
		.amdhsa_exception_fp_ieee_inexact 0
		.amdhsa_exception_int_div_zero 0
	.end_amdhsa_kernel
	.section	.text._ZN9rocsparseL19gebsrmvn_2xn_kernelILj128ELj3ELj16E21rocsparse_complex_numIfEEEvi20rocsparse_direction_NS_24const_host_device_scalarIT2_EEPKiS8_PKS5_SA_S6_PS5_21rocsparse_index_base_b,"axG",@progbits,_ZN9rocsparseL19gebsrmvn_2xn_kernelILj128ELj3ELj16E21rocsparse_complex_numIfEEEvi20rocsparse_direction_NS_24const_host_device_scalarIT2_EEPKiS8_PKS5_SA_S6_PS5_21rocsparse_index_base_b,comdat
.Lfunc_end159:
	.size	_ZN9rocsparseL19gebsrmvn_2xn_kernelILj128ELj3ELj16E21rocsparse_complex_numIfEEEvi20rocsparse_direction_NS_24const_host_device_scalarIT2_EEPKiS8_PKS5_SA_S6_PS5_21rocsparse_index_base_b, .Lfunc_end159-_ZN9rocsparseL19gebsrmvn_2xn_kernelILj128ELj3ELj16E21rocsparse_complex_numIfEEEvi20rocsparse_direction_NS_24const_host_device_scalarIT2_EEPKiS8_PKS5_SA_S6_PS5_21rocsparse_index_base_b
                                        ; -- End function
	.section	.AMDGPU.csdata,"",@progbits
; Kernel info:
; codeLenInByte = 1672
; NumSgprs: 22
; NumVgprs: 42
; NumAgprs: 0
; TotalNumVgprs: 42
; ScratchSize: 0
; MemoryBound: 0
; FloatMode: 240
; IeeeMode: 1
; LDSByteSize: 0 bytes/workgroup (compile time only)
; SGPRBlocks: 2
; VGPRBlocks: 5
; NumSGPRsForWavesPerEU: 22
; NumVGPRsForWavesPerEU: 42
; AccumOffset: 44
; Occupancy: 8
; WaveLimiterHint : 1
; COMPUTE_PGM_RSRC2:SCRATCH_EN: 0
; COMPUTE_PGM_RSRC2:USER_SGPR: 2
; COMPUTE_PGM_RSRC2:TRAP_HANDLER: 0
; COMPUTE_PGM_RSRC2:TGID_X_EN: 1
; COMPUTE_PGM_RSRC2:TGID_Y_EN: 0
; COMPUTE_PGM_RSRC2:TGID_Z_EN: 0
; COMPUTE_PGM_RSRC2:TIDIG_COMP_CNT: 0
; COMPUTE_PGM_RSRC3_GFX90A:ACCUM_OFFSET: 10
; COMPUTE_PGM_RSRC3_GFX90A:TG_SPLIT: 0
	.section	.text._ZN9rocsparseL19gebsrmvn_2xn_kernelILj128ELj3ELj32E21rocsparse_complex_numIfEEEvi20rocsparse_direction_NS_24const_host_device_scalarIT2_EEPKiS8_PKS5_SA_S6_PS5_21rocsparse_index_base_b,"axG",@progbits,_ZN9rocsparseL19gebsrmvn_2xn_kernelILj128ELj3ELj32E21rocsparse_complex_numIfEEEvi20rocsparse_direction_NS_24const_host_device_scalarIT2_EEPKiS8_PKS5_SA_S6_PS5_21rocsparse_index_base_b,comdat
	.globl	_ZN9rocsparseL19gebsrmvn_2xn_kernelILj128ELj3ELj32E21rocsparse_complex_numIfEEEvi20rocsparse_direction_NS_24const_host_device_scalarIT2_EEPKiS8_PKS5_SA_S6_PS5_21rocsparse_index_base_b ; -- Begin function _ZN9rocsparseL19gebsrmvn_2xn_kernelILj128ELj3ELj32E21rocsparse_complex_numIfEEEvi20rocsparse_direction_NS_24const_host_device_scalarIT2_EEPKiS8_PKS5_SA_S6_PS5_21rocsparse_index_base_b
	.p2align	8
	.type	_ZN9rocsparseL19gebsrmvn_2xn_kernelILj128ELj3ELj32E21rocsparse_complex_numIfEEEvi20rocsparse_direction_NS_24const_host_device_scalarIT2_EEPKiS8_PKS5_SA_S6_PS5_21rocsparse_index_base_b,@function
_ZN9rocsparseL19gebsrmvn_2xn_kernelILj128ELj3ELj32E21rocsparse_complex_numIfEEEvi20rocsparse_direction_NS_24const_host_device_scalarIT2_EEPKiS8_PKS5_SA_S6_PS5_21rocsparse_index_base_b: ; @_ZN9rocsparseL19gebsrmvn_2xn_kernelILj128ELj3ELj32E21rocsparse_complex_numIfEEEvi20rocsparse_direction_NS_24const_host_device_scalarIT2_EEPKiS8_PKS5_SA_S6_PS5_21rocsparse_index_base_b
; %bb.0:
	s_load_dwordx2 s[12:13], s[0:1], 0x40
	s_load_dwordx2 s[8:9], s[0:1], 0x8
	;; [unrolled: 1-line block ×3, first 2 shown]
	s_waitcnt lgkmcnt(0)
	s_bitcmp1_b32 s13, 0
	s_cselect_b64 s[4:5], -1, 0
	s_xor_b64 s[10:11], s[4:5], -1
	s_and_b64 vcc, exec, s[4:5]
	v_mov_b32_e32 v2, s8
	s_cbranch_vccnz .LBB160_2
; %bb.1:
	v_mov_b64_e32 v[2:3], s[8:9]
	flat_load_dword v2, v[2:3]
.LBB160_2:
	v_cndmask_b32_e64 v1, 0, 1, s[10:11]
	v_cmp_ne_u32_e64 s[4:5], 1, v1
	s_andn2_b64 vcc, exec, s[10:11]
	v_mov_b32_e32 v3, s9
	s_cbranch_vccz .LBB160_16
; %bb.3:
	s_and_b64 vcc, exec, s[4:5]
	v_mov_b32_e32 v4, s6
	s_cbranch_vccz .LBB160_17
.LBB160_4:
	s_and_b64 vcc, exec, s[4:5]
	v_mov_b32_e32 v5, s7
	s_cbranch_vccnz .LBB160_6
.LBB160_5:
	v_mov_b64_e32 v[6:7], s[6:7]
	flat_load_dword v5, v[6:7] offset:4
.LBB160_6:
	s_waitcnt vmcnt(0) lgkmcnt(0)
	v_and_b32_e32 v1, 0x7fffffff, v2
	v_cmp_eq_u32_e32 vcc, 0, v1
	v_cmp_eq_f32_e64 s[4:5], 0, v3
	s_and_b64 s[8:9], vcc, s[4:5]
	s_mov_b64 s[4:5], -1
	s_and_saveexec_b64 s[6:7], s[8:9]
; %bb.7:
	v_and_b32_e32 v1, 0x7fffffff, v5
	v_cmp_neq_f32_e32 vcc, 1.0, v4
	v_cmp_ne_u32_e64 s[4:5], 0, v1
	s_or_b64 s[4:5], vcc, s[4:5]
	s_orn2_b64 s[4:5], s[4:5], exec
; %bb.8:
	s_or_b64 exec, exec, s[6:7]
	s_and_saveexec_b64 s[6:7], s[4:5]
	s_cbranch_execz .LBB160_29
; %bb.9:
	s_load_dwordx2 s[14:15], s[0:1], 0x0
	v_lshrrev_b32_e32 v1, 5, v0
	v_lshl_or_b32 v6, s2, 2, v1
	s_waitcnt lgkmcnt(0)
	v_cmp_gt_i32_e32 vcc, s14, v6
	s_and_b64 exec, exec, vcc
	s_cbranch_execz .LBB160_29
; %bb.10:
	s_load_dwordx8 s[4:11], s[0:1], 0x10
	v_ashrrev_i32_e32 v7, 31, v6
	s_cmp_lg_u32 s15, 0
	s_waitcnt lgkmcnt(0)
	v_lshl_add_u64 v[8:9], v[6:7], 2, s[4:5]
	global_load_dwordx2 v[8:9], v[8:9], off
	v_and_b32_e32 v7, 31, v0
	s_waitcnt vmcnt(0)
	v_subrev_u32_e32 v0, s12, v8
	v_subrev_u32_e32 v16, s12, v9
	v_add_u32_e32 v8, v0, v7
	v_cmp_lt_i32_e64 s[2:3], v8, v16
	s_cbranch_scc0 .LBB160_18
; %bb.11:
	v_mov_b32_e32 v11, 0
	v_mov_b32_e32 v10, v11
	;; [unrolled: 1-line block ×4, first 2 shown]
	s_and_saveexec_b64 s[4:5], s[2:3]
	s_cbranch_execz .LBB160_15
; %bb.12:
	v_mov_b32_e32 v13, 0
	v_mul_lo_u32 v12, v8, 6
	s_mov_b64 s[14:15], 0
	v_mov_b32_e32 v14, v8
	v_mov_b32_e32 v0, v13
	;; [unrolled: 1-line block ×5, first 2 shown]
.LBB160_13:                             ; =>This Inner Loop Header: Depth=1
	v_ashrrev_i32_e32 v15, 31, v14
	v_lshl_add_u64 v[18:19], v[14:15], 2, s[6:7]
	global_load_dword v9, v[18:19], off
	v_lshl_add_u64 v[30:31], v[12:13], 3, s[8:9]
	v_mov_b32_e32 v33, v13
	v_add_u32_e32 v18, 2, v12
	v_mov_b32_e32 v19, v13
	v_add_u32_e32 v20, 4, v12
	v_mov_b32_e32 v21, v13
	v_lshl_add_u64 v[38:39], v[18:19], 3, s[8:9]
	v_lshl_add_u64 v[40:41], v[20:21], 3, s[8:9]
	global_load_dwordx4 v[18:21], v[30:31], off
	global_load_dwordx4 v[22:25], v[38:39], off
	;; [unrolled: 1-line block ×3, first 2 shown]
	v_mov_b32_e32 v35, v13
	v_mov_b32_e32 v37, v13
	v_add_u32_e32 v14, 32, v14
	v_cmp_ge_i32_e32 vcc, v14, v16
	v_add_u32_e32 v12, 0xc0, v12
	s_or_b64 s[14:15], vcc, s[14:15]
	s_waitcnt vmcnt(3)
	v_subrev_u32_e32 v9, s12, v9
	v_lshl_add_u32 v32, v9, 1, v9
	v_lshl_add_u64 v[30:31], v[32:33], 3, s[10:11]
	global_load_dwordx2 v[30:31], v[30:31], off
	v_add_u32_e32 v34, 1, v32
	v_add_u32_e32 v36, 2, v32
	v_lshl_add_u64 v[32:33], v[34:35], 3, s[10:11]
	v_lshl_add_u64 v[34:35], v[36:37], 3, s[10:11]
	global_load_dwordx2 v[36:37], v[32:33], off
	global_load_dwordx2 v[38:39], v[34:35], off
	s_waitcnt vmcnt(5)
	v_xor_b32_e32 v32, 0x80000000, v21
	v_mov_b32_e32 v33, v20
	s_waitcnt vmcnt(4)
	v_xor_b32_e32 v34, 0x80000000, v25
	v_mov_b32_e32 v35, v24
	;; [unrolled: 3-line block ×3, first 2 shown]
	s_waitcnt vmcnt(2)
	v_pk_fma_f32 v[10:11], v[18:19], v[30:31], v[10:11] op_sel_hi:[1,0,1]
	v_pk_fma_f32 v[0:1], v[20:21], v[30:31], v[0:1] op_sel_hi:[1,0,1]
	v_pk_fma_f32 v[10:11], v[18:19], v[30:31], v[10:11] op_sel:[1,1,0] op_sel_hi:[0,1,1] neg_lo:[1,0,0]
	v_pk_fma_f32 v[0:1], v[32:33], v[30:31], v[0:1] op_sel:[0,1,0]
	s_waitcnt vmcnt(1)
	v_pk_fma_f32 v[10:11], v[22:23], v[36:37], v[10:11] op_sel_hi:[1,0,1]
	v_pk_fma_f32 v[0:1], v[24:25], v[36:37], v[0:1] op_sel_hi:[1,0,1]
	v_pk_fma_f32 v[10:11], v[22:23], v[36:37], v[10:11] op_sel:[1,1,0] op_sel_hi:[0,1,1] neg_lo:[1,0,0]
	v_pk_fma_f32 v[0:1], v[34:35], v[36:37], v[0:1] op_sel:[0,1,0]
	;; [unrolled: 5-line block ×3, first 2 shown]
	s_andn2_b64 exec, exec, s[14:15]
	s_cbranch_execnz .LBB160_13
; %bb.14:
	s_or_b64 exec, exec, s[14:15]
.LBB160_15:
	s_or_b64 exec, exec, s[4:5]
	s_cbranch_execz .LBB160_19
	s_branch .LBB160_24
.LBB160_16:
	v_mov_b64_e32 v[4:5], s[8:9]
	flat_load_dword v3, v[4:5] offset:4
	s_and_b64 vcc, exec, s[4:5]
	v_mov_b32_e32 v4, s6
	s_cbranch_vccnz .LBB160_4
.LBB160_17:
	v_mov_b64_e32 v[4:5], s[6:7]
	flat_load_dword v4, v[4:5]
	s_and_b64 vcc, exec, s[4:5]
	v_mov_b32_e32 v5, s7
	s_cbranch_vccz .LBB160_5
	s_branch .LBB160_6
.LBB160_18:
                                        ; implicit-def: $vgpr11
                                        ; implicit-def: $vgpr1
.LBB160_19:
	v_mov_b32_e32 v11, 0
	v_mov_b32_e32 v10, v11
	;; [unrolled: 1-line block ×4, first 2 shown]
	s_and_saveexec_b64 s[4:5], s[2:3]
	s_cbranch_execz .LBB160_23
; %bb.20:
	v_mad_u64_u32 v[12:13], s[2:3], v8, 6, 5
	v_mov_b32_e32 v15, 0
	s_mov_b64 s[2:3], 0
	v_mov_b32_e32 v0, v15
	v_mov_b32_e32 v1, v15
	;; [unrolled: 1-line block ×4, first 2 shown]
.LBB160_21:                             ; =>This Inner Loop Header: Depth=1
	v_ashrrev_i32_e32 v9, 31, v8
	v_lshl_add_u64 v[18:19], v[8:9], 2, s[6:7]
	global_load_dword v9, v[18:19], off
	v_add_u32_e32 v14, -5, v12
	v_add_u32_e32 v18, -2, v12
	v_mov_b32_e32 v23, v15
	v_mov_b32_e32 v19, v15
	;; [unrolled: 1-line block ×3, first 2 shown]
	v_lshl_add_u64 v[24:25], v[14:15], 3, s[8:9]
	v_lshl_add_u64 v[26:27], v[18:19], 3, s[8:9]
	;; [unrolled: 1-line block ×3, first 2 shown]
	global_load_dwordx4 v[18:21], v[24:25], off
	global_load_dwordx2 v[30:31], v[26:27], off
	global_load_dwordx2 v[32:33], v[28:29], off
	v_add_u32_e32 v8, 32, v8
	v_cmp_ge_i32_e32 vcc, v8, v16
	s_or_b64 s[2:3], vcc, s[2:3]
	s_waitcnt vmcnt(3)
	v_subrev_u32_e32 v9, s12, v9
	v_lshl_add_u32 v22, v9, 1, v9
	v_lshl_add_u64 v[24:25], v[22:23], 3, s[10:11]
	v_add_u32_e32 v14, 1, v22
	global_load_dwordx2 v[24:25], v[24:25], off
	v_lshl_add_u64 v[26:27], v[14:15], 3, s[10:11]
	global_load_dwordx2 v[26:27], v[26:27], off
	v_add_u32_e32 v14, -1, v12
	v_lshl_add_u64 v[28:29], v[14:15], 3, s[8:9]
	v_add_u32_e32 v14, -3, v12
	v_lshl_add_u64 v[34:35], v[14:15], 3, s[8:9]
	v_add_u32_e32 v14, 2, v22
	v_lshl_add_u64 v[22:23], v[14:15], 3, s[10:11]
	global_load_dwordx2 v[36:37], v[34:35], off
	global_load_dwordx2 v[38:39], v[28:29], off
	;; [unrolled: 1-line block ×3, first 2 shown]
	s_waitcnt vmcnt(7)
	v_xor_b32_e32 v22, 0x80000000, v21
	v_mov_b32_e32 v23, v20
	v_add_u32_e32 v12, 0xc0, v12
	s_waitcnt vmcnt(4)
	v_pk_fma_f32 v[10:11], v[18:19], v[24:25], v[10:11] op_sel_hi:[1,0,1]
	v_pk_fma_f32 v[0:1], v[30:31], v[24:25], v[0:1] op_sel_hi:[1,0,1]
	v_pk_fma_f32 v[10:11], v[18:19], v[24:25], v[10:11] op_sel:[1,1,0] op_sel_hi:[0,1,1] neg_lo:[1,0,0]
	v_pk_fma_f32 v[0:1], v[30:31], v[24:25], v[0:1] op_sel:[1,1,0] op_sel_hi:[0,1,1] neg_lo:[1,0,0]
	s_waitcnt vmcnt(3)
	v_pk_fma_f32 v[10:11], v[20:21], v[26:27], v[10:11] op_sel_hi:[1,0,1]
	s_waitcnt vmcnt(1)
	v_pk_fma_f32 v[0:1], v[38:39], v[26:27], v[0:1] op_sel_hi:[1,0,1]
	v_pk_fma_f32 v[10:11], v[22:23], v[26:27], v[10:11] op_sel:[0,1,0]
	v_pk_fma_f32 v[0:1], v[38:39], v[26:27], v[0:1] op_sel:[1,1,0] op_sel_hi:[0,1,1] neg_lo:[1,0,0]
	s_waitcnt vmcnt(0)
	v_pk_fma_f32 v[10:11], v[36:37], v[40:41], v[10:11] op_sel_hi:[1,0,1]
	v_pk_fma_f32 v[0:1], v[32:33], v[40:41], v[0:1] op_sel_hi:[1,0,1]
	v_pk_fma_f32 v[10:11], v[36:37], v[40:41], v[10:11] op_sel:[1,1,0] op_sel_hi:[0,1,1] neg_lo:[1,0,0]
	v_pk_fma_f32 v[0:1], v[32:33], v[40:41], v[0:1] op_sel:[1,1,0] op_sel_hi:[0,1,1] neg_lo:[1,0,0]
	s_andn2_b64 exec, exec, s[2:3]
	s_cbranch_execnz .LBB160_21
; %bb.22:
	s_or_b64 exec, exec, s[2:3]
.LBB160_23:
	s_or_b64 exec, exec, s[4:5]
.LBB160_24:
	v_mov_b32_dpp v12, v0 row_shr:1 row_mask:0xf bank_mask:0xf
	v_add_f32_e32 v0, v0, v12
	v_mov_b32_dpp v8, v10 row_shr:1 row_mask:0xf bank_mask:0xf
	v_add_f32_e32 v8, v10, v8
	;; [unrolled: 2-line block ×5, first 2 shown]
	v_mov_b32_dpp v9, v8 row_shr:2 row_mask:0xf bank_mask:0xf
	v_mov_b32_dpp v11, v10 row_shr:2 row_mask:0xf bank_mask:0xf
	;; [unrolled: 1-line block ×3, first 2 shown]
	v_add_f32_e32 v0, v0, v12
	v_add_f32_e32 v8, v8, v9
	v_mov_b32_dpp v12, v1 row_shr:1 row_mask:0xf bank_mask:0xf
	v_add_f32_e32 v1, v1, v12
	v_add_f32_e32 v10, v10, v11
	v_mov_b32_dpp v9, v8 row_shr:4 row_mask:0xf bank_mask:0xe
	v_mov_b32_dpp v12, v1 row_shr:2 row_mask:0xf bank_mask:0xf
	v_add_f32_e32 v1, v1, v12
	v_mov_b32_dpp v11, v10 row_shr:4 row_mask:0xf bank_mask:0xe
	v_add_f32_e32 v8, v8, v9
	;; [unrolled: 2-line block ×3, first 2 shown]
	v_add_f32_e32 v1, v1, v12
	v_mov_b32_dpp v9, v8 row_shr:8 row_mask:0xf bank_mask:0xc
	v_mov_b32_dpp v11, v10 row_shr:8 row_mask:0xf bank_mask:0xc
	;; [unrolled: 1-line block ×3, first 2 shown]
	v_add_f32_e32 v8, v8, v9
	v_add_f32_e32 v10, v10, v11
	;; [unrolled: 1-line block ×3, first 2 shown]
	v_mov_b32_dpp v9, v8 row_bcast:15 row_mask:0xa bank_mask:0xf
	v_mov_b32_dpp v11, v10 row_bcast:15 row_mask:0xa bank_mask:0xf
	;; [unrolled: 1-line block ×4, first 2 shown]
	v_cmp_eq_u32_e32 vcc, 31, v7
	s_and_b64 exec, exec, vcc
	s_cbranch_execz .LBB160_29
; %bb.25:
	s_load_dwordx2 s[2:3], s[0:1], 0x38
	v_add_f32_e32 v12, v10, v11
	v_add_f32_e32 v10, v1, v14
	v_and_b32_e32 v1, 0x7fffffff, v4
	v_cmp_eq_u32_e32 vcc, 0, v1
	v_cmp_eq_f32_e64 s[0:1], 0, v5
	v_add_f32_e32 v8, v8, v9
	v_add_f32_e32 v0, v0, v13
	s_and_b64 s[0:1], vcc, s[0:1]
	s_and_saveexec_b64 s[4:5], s[0:1]
	s_xor_b64 s[0:1], exec, s[4:5]
	s_cbranch_execz .LBB160_27
; %bb.26:
	v_lshlrev_b32_e32 v4, 1, v6
	v_xor_b32_e32 v14, 0x80000000, v3
	v_ashrrev_i32_e32 v5, 31, v4
	v_mov_b32_e32 v15, v2
	s_waitcnt lgkmcnt(0)
	v_lshl_add_u64 v[16:17], v[4:5], 3, s[2:3]
	v_pk_mul_f32 v[4:5], v[12:13], v[14:15] op_sel_hi:[0,1]
	v_pk_mul_f32 v[6:7], v[10:11], v[14:15] op_sel_hi:[0,1]
	v_pk_fma_f32 v[4:5], v[2:3], v[8:9], v[4:5] op_sel_hi:[1,0,1]
	v_pk_fma_f32 v[6:7], v[2:3], v[0:1], v[6:7] op_sel_hi:[1,0,1]
	global_store_dwordx4 v[16:17], v[4:7], off
                                        ; implicit-def: $vgpr3
                                        ; implicit-def: $vgpr4
                                        ; implicit-def: $vgpr6
                                        ; implicit-def: $vgpr8
                                        ; implicit-def: $vgpr12
                                        ; implicit-def: $vgpr0
                                        ; implicit-def: $vgpr10
.LBB160_27:
	s_andn2_saveexec_b64 s[0:1], s[0:1]
	s_cbranch_execz .LBB160_29
; %bb.28:
	v_lshlrev_b32_e32 v6, 1, v6
	v_ashrrev_i32_e32 v7, 31, v6
	s_waitcnt lgkmcnt(0)
	v_lshl_add_u64 v[6:7], v[6:7], 3, s[2:3]
	global_load_dwordx4 v[14:17], v[6:7], off
	v_xor_b32_e32 v18, 0x80000000, v3
	v_mov_b32_e32 v19, v2
	v_pk_mul_f32 v[12:13], v[12:13], v[18:19] op_sel_hi:[0,1]
	v_pk_mul_f32 v[10:11], v[10:11], v[18:19] op_sel_hi:[0,1]
	v_pk_fma_f32 v[8:9], v[2:3], v[8:9], v[12:13] op_sel_hi:[1,0,1]
	v_pk_fma_f32 v[0:1], v[2:3], v[0:1], v[10:11] op_sel_hi:[1,0,1]
	v_xor_b32_e32 v20, 0x80000000, v5
	v_mov_b32_e32 v21, v4
	s_waitcnt vmcnt(0)
	v_pk_fma_f32 v[2:3], v[4:5], v[14:15], v[8:9] op_sel_hi:[1,0,1]
	v_pk_fma_f32 v[4:5], v[4:5], v[16:17], v[0:1] op_sel_hi:[1,0,1]
	v_mov_b32_e32 v8, v17
	v_pk_fma_f32 v[0:1], v[20:21], v[14:15], v[2:3] op_sel:[0,1,0]
	v_pk_fma_f32 v[2:3], v[20:21], v[8:9], v[4:5] op_sel_hi:[1,0,1]
	global_store_dwordx4 v[6:7], v[0:3], off
.LBB160_29:
	s_endpgm
	.section	.rodata,"a",@progbits
	.p2align	6, 0x0
	.amdhsa_kernel _ZN9rocsparseL19gebsrmvn_2xn_kernelILj128ELj3ELj32E21rocsparse_complex_numIfEEEvi20rocsparse_direction_NS_24const_host_device_scalarIT2_EEPKiS8_PKS5_SA_S6_PS5_21rocsparse_index_base_b
		.amdhsa_group_segment_fixed_size 0
		.amdhsa_private_segment_fixed_size 0
		.amdhsa_kernarg_size 72
		.amdhsa_user_sgpr_count 2
		.amdhsa_user_sgpr_dispatch_ptr 0
		.amdhsa_user_sgpr_queue_ptr 0
		.amdhsa_user_sgpr_kernarg_segment_ptr 1
		.amdhsa_user_sgpr_dispatch_id 0
		.amdhsa_user_sgpr_kernarg_preload_length 0
		.amdhsa_user_sgpr_kernarg_preload_offset 0
		.amdhsa_user_sgpr_private_segment_size 0
		.amdhsa_uses_dynamic_stack 0
		.amdhsa_enable_private_segment 0
		.amdhsa_system_sgpr_workgroup_id_x 1
		.amdhsa_system_sgpr_workgroup_id_y 0
		.amdhsa_system_sgpr_workgroup_id_z 0
		.amdhsa_system_sgpr_workgroup_info 0
		.amdhsa_system_vgpr_workitem_id 0
		.amdhsa_next_free_vgpr 42
		.amdhsa_next_free_sgpr 16
		.amdhsa_accum_offset 44
		.amdhsa_reserve_vcc 1
		.amdhsa_float_round_mode_32 0
		.amdhsa_float_round_mode_16_64 0
		.amdhsa_float_denorm_mode_32 3
		.amdhsa_float_denorm_mode_16_64 3
		.amdhsa_dx10_clamp 1
		.amdhsa_ieee_mode 1
		.amdhsa_fp16_overflow 0
		.amdhsa_tg_split 0
		.amdhsa_exception_fp_ieee_invalid_op 0
		.amdhsa_exception_fp_denorm_src 0
		.amdhsa_exception_fp_ieee_div_zero 0
		.amdhsa_exception_fp_ieee_overflow 0
		.amdhsa_exception_fp_ieee_underflow 0
		.amdhsa_exception_fp_ieee_inexact 0
		.amdhsa_exception_int_div_zero 0
	.end_amdhsa_kernel
	.section	.text._ZN9rocsparseL19gebsrmvn_2xn_kernelILj128ELj3ELj32E21rocsparse_complex_numIfEEEvi20rocsparse_direction_NS_24const_host_device_scalarIT2_EEPKiS8_PKS5_SA_S6_PS5_21rocsparse_index_base_b,"axG",@progbits,_ZN9rocsparseL19gebsrmvn_2xn_kernelILj128ELj3ELj32E21rocsparse_complex_numIfEEEvi20rocsparse_direction_NS_24const_host_device_scalarIT2_EEPKiS8_PKS5_SA_S6_PS5_21rocsparse_index_base_b,comdat
.Lfunc_end160:
	.size	_ZN9rocsparseL19gebsrmvn_2xn_kernelILj128ELj3ELj32E21rocsparse_complex_numIfEEEvi20rocsparse_direction_NS_24const_host_device_scalarIT2_EEPKiS8_PKS5_SA_S6_PS5_21rocsparse_index_base_b, .Lfunc_end160-_ZN9rocsparseL19gebsrmvn_2xn_kernelILj128ELj3ELj32E21rocsparse_complex_numIfEEEvi20rocsparse_direction_NS_24const_host_device_scalarIT2_EEPKiS8_PKS5_SA_S6_PS5_21rocsparse_index_base_b
                                        ; -- End function
	.section	.AMDGPU.csdata,"",@progbits
; Kernel info:
; codeLenInByte = 1720
; NumSgprs: 22
; NumVgprs: 42
; NumAgprs: 0
; TotalNumVgprs: 42
; ScratchSize: 0
; MemoryBound: 0
; FloatMode: 240
; IeeeMode: 1
; LDSByteSize: 0 bytes/workgroup (compile time only)
; SGPRBlocks: 2
; VGPRBlocks: 5
; NumSGPRsForWavesPerEU: 22
; NumVGPRsForWavesPerEU: 42
; AccumOffset: 44
; Occupancy: 8
; WaveLimiterHint : 1
; COMPUTE_PGM_RSRC2:SCRATCH_EN: 0
; COMPUTE_PGM_RSRC2:USER_SGPR: 2
; COMPUTE_PGM_RSRC2:TRAP_HANDLER: 0
; COMPUTE_PGM_RSRC2:TGID_X_EN: 1
; COMPUTE_PGM_RSRC2:TGID_Y_EN: 0
; COMPUTE_PGM_RSRC2:TGID_Z_EN: 0
; COMPUTE_PGM_RSRC2:TIDIG_COMP_CNT: 0
; COMPUTE_PGM_RSRC3_GFX90A:ACCUM_OFFSET: 10
; COMPUTE_PGM_RSRC3_GFX90A:TG_SPLIT: 0
	.section	.text._ZN9rocsparseL19gebsrmvn_2xn_kernelILj128ELj3ELj64E21rocsparse_complex_numIfEEEvi20rocsparse_direction_NS_24const_host_device_scalarIT2_EEPKiS8_PKS5_SA_S6_PS5_21rocsparse_index_base_b,"axG",@progbits,_ZN9rocsparseL19gebsrmvn_2xn_kernelILj128ELj3ELj64E21rocsparse_complex_numIfEEEvi20rocsparse_direction_NS_24const_host_device_scalarIT2_EEPKiS8_PKS5_SA_S6_PS5_21rocsparse_index_base_b,comdat
	.globl	_ZN9rocsparseL19gebsrmvn_2xn_kernelILj128ELj3ELj64E21rocsparse_complex_numIfEEEvi20rocsparse_direction_NS_24const_host_device_scalarIT2_EEPKiS8_PKS5_SA_S6_PS5_21rocsparse_index_base_b ; -- Begin function _ZN9rocsparseL19gebsrmvn_2xn_kernelILj128ELj3ELj64E21rocsparse_complex_numIfEEEvi20rocsparse_direction_NS_24const_host_device_scalarIT2_EEPKiS8_PKS5_SA_S6_PS5_21rocsparse_index_base_b
	.p2align	8
	.type	_ZN9rocsparseL19gebsrmvn_2xn_kernelILj128ELj3ELj64E21rocsparse_complex_numIfEEEvi20rocsparse_direction_NS_24const_host_device_scalarIT2_EEPKiS8_PKS5_SA_S6_PS5_21rocsparse_index_base_b,@function
_ZN9rocsparseL19gebsrmvn_2xn_kernelILj128ELj3ELj64E21rocsparse_complex_numIfEEEvi20rocsparse_direction_NS_24const_host_device_scalarIT2_EEPKiS8_PKS5_SA_S6_PS5_21rocsparse_index_base_b: ; @_ZN9rocsparseL19gebsrmvn_2xn_kernelILj128ELj3ELj64E21rocsparse_complex_numIfEEEvi20rocsparse_direction_NS_24const_host_device_scalarIT2_EEPKiS8_PKS5_SA_S6_PS5_21rocsparse_index_base_b
; %bb.0:
	s_load_dwordx2 s[12:13], s[0:1], 0x40
	s_load_dwordx2 s[8:9], s[0:1], 0x8
	;; [unrolled: 1-line block ×3, first 2 shown]
	s_waitcnt lgkmcnt(0)
	s_bitcmp1_b32 s13, 0
	s_cselect_b64 s[4:5], -1, 0
	s_xor_b64 s[10:11], s[4:5], -1
	s_and_b64 vcc, exec, s[4:5]
	v_mov_b32_e32 v2, s8
	s_cbranch_vccnz .LBB161_2
; %bb.1:
	v_mov_b64_e32 v[2:3], s[8:9]
	flat_load_dword v2, v[2:3]
.LBB161_2:
	v_cndmask_b32_e64 v1, 0, 1, s[10:11]
	v_cmp_ne_u32_e64 s[4:5], 1, v1
	s_andn2_b64 vcc, exec, s[10:11]
	v_mov_b32_e32 v3, s9
	s_cbranch_vccz .LBB161_16
; %bb.3:
	s_and_b64 vcc, exec, s[4:5]
	v_mov_b32_e32 v4, s6
	s_cbranch_vccz .LBB161_17
.LBB161_4:
	s_and_b64 vcc, exec, s[4:5]
	v_mov_b32_e32 v5, s7
	s_cbranch_vccnz .LBB161_6
.LBB161_5:
	v_mov_b64_e32 v[6:7], s[6:7]
	flat_load_dword v5, v[6:7] offset:4
.LBB161_6:
	s_waitcnt vmcnt(0) lgkmcnt(0)
	v_and_b32_e32 v1, 0x7fffffff, v2
	v_cmp_eq_u32_e32 vcc, 0, v1
	v_cmp_eq_f32_e64 s[4:5], 0, v3
	s_and_b64 s[8:9], vcc, s[4:5]
	s_mov_b64 s[4:5], -1
	s_and_saveexec_b64 s[6:7], s[8:9]
; %bb.7:
	v_and_b32_e32 v1, 0x7fffffff, v5
	v_cmp_neq_f32_e32 vcc, 1.0, v4
	v_cmp_ne_u32_e64 s[4:5], 0, v1
	s_or_b64 s[4:5], vcc, s[4:5]
	s_orn2_b64 s[4:5], s[4:5], exec
; %bb.8:
	s_or_b64 exec, exec, s[6:7]
	s_and_saveexec_b64 s[6:7], s[4:5]
	s_cbranch_execz .LBB161_29
; %bb.9:
	s_load_dwordx2 s[14:15], s[0:1], 0x0
	v_lshrrev_b32_e32 v1, 6, v0
	v_lshl_or_b32 v6, s2, 1, v1
	s_waitcnt lgkmcnt(0)
	v_cmp_gt_i32_e32 vcc, s14, v6
	s_and_b64 exec, exec, vcc
	s_cbranch_execz .LBB161_29
; %bb.10:
	s_load_dwordx8 s[4:11], s[0:1], 0x10
	v_ashrrev_i32_e32 v7, 31, v6
	s_cmp_lg_u32 s15, 0
	s_waitcnt lgkmcnt(0)
	v_lshl_add_u64 v[8:9], v[6:7], 2, s[4:5]
	global_load_dwordx2 v[8:9], v[8:9], off
	v_and_b32_e32 v7, 63, v0
	s_waitcnt vmcnt(0)
	v_subrev_u32_e32 v0, s12, v8
	v_subrev_u32_e32 v16, s12, v9
	v_add_u32_e32 v8, v0, v7
	v_cmp_lt_i32_e64 s[2:3], v8, v16
	s_cbranch_scc0 .LBB161_18
; %bb.11:
	v_mov_b32_e32 v11, 0
	v_mov_b32_e32 v10, v11
	;; [unrolled: 1-line block ×4, first 2 shown]
	s_and_saveexec_b64 s[4:5], s[2:3]
	s_cbranch_execz .LBB161_15
; %bb.12:
	v_mov_b32_e32 v13, 0
	v_mul_lo_u32 v12, v8, 6
	s_mov_b64 s[14:15], 0
	v_mov_b32_e32 v14, v8
	v_mov_b32_e32 v0, v13
	;; [unrolled: 1-line block ×5, first 2 shown]
.LBB161_13:                             ; =>This Inner Loop Header: Depth=1
	v_ashrrev_i32_e32 v15, 31, v14
	v_lshl_add_u64 v[18:19], v[14:15], 2, s[6:7]
	global_load_dword v9, v[18:19], off
	v_lshl_add_u64 v[30:31], v[12:13], 3, s[8:9]
	v_mov_b32_e32 v33, v13
	v_add_u32_e32 v18, 2, v12
	v_mov_b32_e32 v19, v13
	v_add_u32_e32 v20, 4, v12
	v_mov_b32_e32 v21, v13
	v_lshl_add_u64 v[38:39], v[18:19], 3, s[8:9]
	v_lshl_add_u64 v[40:41], v[20:21], 3, s[8:9]
	global_load_dwordx4 v[18:21], v[30:31], off
	global_load_dwordx4 v[22:25], v[38:39], off
	;; [unrolled: 1-line block ×3, first 2 shown]
	v_mov_b32_e32 v35, v13
	v_mov_b32_e32 v37, v13
	v_add_u32_e32 v14, 64, v14
	v_cmp_ge_i32_e32 vcc, v14, v16
	v_add_u32_e32 v12, 0x180, v12
	s_or_b64 s[14:15], vcc, s[14:15]
	s_waitcnt vmcnt(3)
	v_subrev_u32_e32 v9, s12, v9
	v_lshl_add_u32 v32, v9, 1, v9
	v_lshl_add_u64 v[30:31], v[32:33], 3, s[10:11]
	global_load_dwordx2 v[30:31], v[30:31], off
	v_add_u32_e32 v34, 1, v32
	v_add_u32_e32 v36, 2, v32
	v_lshl_add_u64 v[32:33], v[34:35], 3, s[10:11]
	v_lshl_add_u64 v[34:35], v[36:37], 3, s[10:11]
	global_load_dwordx2 v[36:37], v[32:33], off
	global_load_dwordx2 v[38:39], v[34:35], off
	s_waitcnt vmcnt(5)
	v_xor_b32_e32 v32, 0x80000000, v21
	v_mov_b32_e32 v33, v20
	s_waitcnt vmcnt(4)
	v_xor_b32_e32 v34, 0x80000000, v25
	v_mov_b32_e32 v35, v24
	;; [unrolled: 3-line block ×3, first 2 shown]
	s_waitcnt vmcnt(2)
	v_pk_fma_f32 v[10:11], v[18:19], v[30:31], v[10:11] op_sel_hi:[1,0,1]
	v_pk_fma_f32 v[0:1], v[20:21], v[30:31], v[0:1] op_sel_hi:[1,0,1]
	v_pk_fma_f32 v[10:11], v[18:19], v[30:31], v[10:11] op_sel:[1,1,0] op_sel_hi:[0,1,1] neg_lo:[1,0,0]
	v_pk_fma_f32 v[0:1], v[32:33], v[30:31], v[0:1] op_sel:[0,1,0]
	s_waitcnt vmcnt(1)
	v_pk_fma_f32 v[10:11], v[22:23], v[36:37], v[10:11] op_sel_hi:[1,0,1]
	v_pk_fma_f32 v[0:1], v[24:25], v[36:37], v[0:1] op_sel_hi:[1,0,1]
	v_pk_fma_f32 v[10:11], v[22:23], v[36:37], v[10:11] op_sel:[1,1,0] op_sel_hi:[0,1,1] neg_lo:[1,0,0]
	v_pk_fma_f32 v[0:1], v[34:35], v[36:37], v[0:1] op_sel:[0,1,0]
	;; [unrolled: 5-line block ×3, first 2 shown]
	s_andn2_b64 exec, exec, s[14:15]
	s_cbranch_execnz .LBB161_13
; %bb.14:
	s_or_b64 exec, exec, s[14:15]
.LBB161_15:
	s_or_b64 exec, exec, s[4:5]
	s_cbranch_execz .LBB161_19
	s_branch .LBB161_24
.LBB161_16:
	v_mov_b64_e32 v[4:5], s[8:9]
	flat_load_dword v3, v[4:5] offset:4
	s_and_b64 vcc, exec, s[4:5]
	v_mov_b32_e32 v4, s6
	s_cbranch_vccnz .LBB161_4
.LBB161_17:
	v_mov_b64_e32 v[4:5], s[6:7]
	flat_load_dword v4, v[4:5]
	s_and_b64 vcc, exec, s[4:5]
	v_mov_b32_e32 v5, s7
	s_cbranch_vccz .LBB161_5
	s_branch .LBB161_6
.LBB161_18:
                                        ; implicit-def: $vgpr11
                                        ; implicit-def: $vgpr1
.LBB161_19:
	v_mov_b32_e32 v11, 0
	v_mov_b32_e32 v10, v11
	;; [unrolled: 1-line block ×4, first 2 shown]
	s_and_saveexec_b64 s[4:5], s[2:3]
	s_cbranch_execz .LBB161_23
; %bb.20:
	v_mad_u64_u32 v[12:13], s[2:3], v8, 6, 5
	v_mov_b32_e32 v15, 0
	s_mov_b64 s[2:3], 0
	v_mov_b32_e32 v0, v15
	v_mov_b32_e32 v1, v15
	;; [unrolled: 1-line block ×4, first 2 shown]
.LBB161_21:                             ; =>This Inner Loop Header: Depth=1
	v_ashrrev_i32_e32 v9, 31, v8
	v_lshl_add_u64 v[18:19], v[8:9], 2, s[6:7]
	global_load_dword v9, v[18:19], off
	v_add_u32_e32 v14, -5, v12
	v_add_u32_e32 v18, -2, v12
	v_mov_b32_e32 v23, v15
	v_mov_b32_e32 v19, v15
	;; [unrolled: 1-line block ×3, first 2 shown]
	v_lshl_add_u64 v[24:25], v[14:15], 3, s[8:9]
	v_lshl_add_u64 v[26:27], v[18:19], 3, s[8:9]
	;; [unrolled: 1-line block ×3, first 2 shown]
	global_load_dwordx4 v[18:21], v[24:25], off
	global_load_dwordx2 v[30:31], v[26:27], off
	global_load_dwordx2 v[32:33], v[28:29], off
	v_add_u32_e32 v8, 64, v8
	v_cmp_ge_i32_e32 vcc, v8, v16
	s_or_b64 s[2:3], vcc, s[2:3]
	s_waitcnt vmcnt(3)
	v_subrev_u32_e32 v9, s12, v9
	v_lshl_add_u32 v22, v9, 1, v9
	v_lshl_add_u64 v[24:25], v[22:23], 3, s[10:11]
	v_add_u32_e32 v14, 1, v22
	global_load_dwordx2 v[24:25], v[24:25], off
	v_lshl_add_u64 v[26:27], v[14:15], 3, s[10:11]
	global_load_dwordx2 v[26:27], v[26:27], off
	v_add_u32_e32 v14, -1, v12
	v_lshl_add_u64 v[28:29], v[14:15], 3, s[8:9]
	v_add_u32_e32 v14, -3, v12
	v_lshl_add_u64 v[34:35], v[14:15], 3, s[8:9]
	v_add_u32_e32 v14, 2, v22
	v_lshl_add_u64 v[22:23], v[14:15], 3, s[10:11]
	global_load_dwordx2 v[36:37], v[34:35], off
	global_load_dwordx2 v[38:39], v[28:29], off
	;; [unrolled: 1-line block ×3, first 2 shown]
	s_waitcnt vmcnt(7)
	v_xor_b32_e32 v22, 0x80000000, v21
	v_mov_b32_e32 v23, v20
	v_add_u32_e32 v12, 0x180, v12
	s_waitcnt vmcnt(4)
	v_pk_fma_f32 v[10:11], v[18:19], v[24:25], v[10:11] op_sel_hi:[1,0,1]
	v_pk_fma_f32 v[0:1], v[30:31], v[24:25], v[0:1] op_sel_hi:[1,0,1]
	v_pk_fma_f32 v[10:11], v[18:19], v[24:25], v[10:11] op_sel:[1,1,0] op_sel_hi:[0,1,1] neg_lo:[1,0,0]
	v_pk_fma_f32 v[0:1], v[30:31], v[24:25], v[0:1] op_sel:[1,1,0] op_sel_hi:[0,1,1] neg_lo:[1,0,0]
	s_waitcnt vmcnt(3)
	v_pk_fma_f32 v[10:11], v[20:21], v[26:27], v[10:11] op_sel_hi:[1,0,1]
	s_waitcnt vmcnt(1)
	v_pk_fma_f32 v[0:1], v[38:39], v[26:27], v[0:1] op_sel_hi:[1,0,1]
	v_pk_fma_f32 v[10:11], v[22:23], v[26:27], v[10:11] op_sel:[0,1,0]
	v_pk_fma_f32 v[0:1], v[38:39], v[26:27], v[0:1] op_sel:[1,1,0] op_sel_hi:[0,1,1] neg_lo:[1,0,0]
	s_waitcnt vmcnt(0)
	v_pk_fma_f32 v[10:11], v[36:37], v[40:41], v[10:11] op_sel_hi:[1,0,1]
	v_pk_fma_f32 v[0:1], v[32:33], v[40:41], v[0:1] op_sel_hi:[1,0,1]
	v_pk_fma_f32 v[10:11], v[36:37], v[40:41], v[10:11] op_sel:[1,1,0] op_sel_hi:[0,1,1] neg_lo:[1,0,0]
	v_pk_fma_f32 v[0:1], v[32:33], v[40:41], v[0:1] op_sel:[1,1,0] op_sel_hi:[0,1,1] neg_lo:[1,0,0]
	s_andn2_b64 exec, exec, s[2:3]
	s_cbranch_execnz .LBB161_21
; %bb.22:
	s_or_b64 exec, exec, s[2:3]
.LBB161_23:
	s_or_b64 exec, exec, s[4:5]
.LBB161_24:
	v_mov_b32_dpp v12, v0 row_shr:1 row_mask:0xf bank_mask:0xf
	v_add_f32_e32 v0, v0, v12
	v_mov_b32_dpp v8, v10 row_shr:1 row_mask:0xf bank_mask:0xf
	v_add_f32_e32 v8, v10, v8
	;; [unrolled: 2-line block ×5, first 2 shown]
	v_mov_b32_dpp v9, v8 row_shr:2 row_mask:0xf bank_mask:0xf
	v_mov_b32_dpp v11, v10 row_shr:2 row_mask:0xf bank_mask:0xf
	v_mov_b32_dpp v12, v0 row_shr:8 row_mask:0xf bank_mask:0xc
	v_add_f32_e32 v0, v0, v12
	v_add_f32_e32 v8, v8, v9
	;; [unrolled: 1-line block ×3, first 2 shown]
	v_mov_b32_dpp v12, v0 row_bcast:15 row_mask:0xa bank_mask:0xf
	v_add_f32_e32 v0, v0, v12
	v_mov_b32_dpp v9, v8 row_shr:4 row_mask:0xf bank_mask:0xe
	v_mov_b32_dpp v12, v1 row_shr:1 row_mask:0xf bank_mask:0xf
	v_add_f32_e32 v1, v1, v12
	v_mov_b32_dpp v11, v10 row_shr:4 row_mask:0xf bank_mask:0xe
	v_add_f32_e32 v8, v8, v9
	;; [unrolled: 2-line block ×3, first 2 shown]
	v_add_f32_e32 v10, v10, v11
	v_mov_b32_dpp v9, v8 row_shr:8 row_mask:0xf bank_mask:0xc
	v_mov_b32_dpp v12, v1 row_shr:4 row_mask:0xf bank_mask:0xe
	v_add_f32_e32 v1, v1, v12
	v_mov_b32_dpp v11, v10 row_shr:8 row_mask:0xf bank_mask:0xc
	v_add_f32_e32 v8, v8, v9
	;; [unrolled: 2-line block ×3, first 2 shown]
	v_add_f32_e32 v1, v1, v12
	v_mov_b32_dpp v9, v8 row_bcast:15 row_mask:0xa bank_mask:0xf
	v_mov_b32_dpp v11, v10 row_bcast:15 row_mask:0xa bank_mask:0xf
	;; [unrolled: 1-line block ×3, first 2 shown]
	v_add_f32_e32 v8, v8, v9
	v_add_f32_e32 v10, v10, v11
	;; [unrolled: 1-line block ×3, first 2 shown]
	v_mov_b32_dpp v9, v8 row_bcast:31 row_mask:0xc bank_mask:0xf
	v_mov_b32_dpp v11, v10 row_bcast:31 row_mask:0xc bank_mask:0xf
	;; [unrolled: 1-line block ×4, first 2 shown]
	v_cmp_eq_u32_e32 vcc, 63, v7
	s_and_b64 exec, exec, vcc
	s_cbranch_execz .LBB161_29
; %bb.25:
	s_load_dwordx2 s[2:3], s[0:1], 0x38
	v_add_f32_e32 v12, v10, v11
	v_add_f32_e32 v10, v1, v14
	v_and_b32_e32 v1, 0x7fffffff, v4
	v_cmp_eq_u32_e32 vcc, 0, v1
	v_cmp_eq_f32_e64 s[0:1], 0, v5
	v_add_f32_e32 v8, v8, v9
	v_add_f32_e32 v0, v0, v13
	s_and_b64 s[0:1], vcc, s[0:1]
	s_and_saveexec_b64 s[4:5], s[0:1]
	s_xor_b64 s[0:1], exec, s[4:5]
	s_cbranch_execz .LBB161_27
; %bb.26:
	v_lshlrev_b32_e32 v4, 1, v6
	v_xor_b32_e32 v14, 0x80000000, v3
	v_ashrrev_i32_e32 v5, 31, v4
	v_mov_b32_e32 v15, v2
	s_waitcnt lgkmcnt(0)
	v_lshl_add_u64 v[16:17], v[4:5], 3, s[2:3]
	v_pk_mul_f32 v[4:5], v[12:13], v[14:15] op_sel_hi:[0,1]
	v_pk_mul_f32 v[6:7], v[10:11], v[14:15] op_sel_hi:[0,1]
	v_pk_fma_f32 v[4:5], v[2:3], v[8:9], v[4:5] op_sel_hi:[1,0,1]
	v_pk_fma_f32 v[6:7], v[2:3], v[0:1], v[6:7] op_sel_hi:[1,0,1]
	global_store_dwordx4 v[16:17], v[4:7], off
                                        ; implicit-def: $vgpr3
                                        ; implicit-def: $vgpr4
                                        ; implicit-def: $vgpr6
                                        ; implicit-def: $vgpr8
                                        ; implicit-def: $vgpr12
                                        ; implicit-def: $vgpr0
                                        ; implicit-def: $vgpr10
.LBB161_27:
	s_andn2_saveexec_b64 s[0:1], s[0:1]
	s_cbranch_execz .LBB161_29
; %bb.28:
	v_lshlrev_b32_e32 v6, 1, v6
	v_ashrrev_i32_e32 v7, 31, v6
	s_waitcnt lgkmcnt(0)
	v_lshl_add_u64 v[6:7], v[6:7], 3, s[2:3]
	global_load_dwordx4 v[14:17], v[6:7], off
	v_xor_b32_e32 v18, 0x80000000, v3
	v_mov_b32_e32 v19, v2
	v_pk_mul_f32 v[12:13], v[12:13], v[18:19] op_sel_hi:[0,1]
	v_pk_mul_f32 v[10:11], v[10:11], v[18:19] op_sel_hi:[0,1]
	v_pk_fma_f32 v[8:9], v[2:3], v[8:9], v[12:13] op_sel_hi:[1,0,1]
	v_pk_fma_f32 v[0:1], v[2:3], v[0:1], v[10:11] op_sel_hi:[1,0,1]
	v_xor_b32_e32 v20, 0x80000000, v5
	v_mov_b32_e32 v21, v4
	s_waitcnt vmcnt(0)
	v_pk_fma_f32 v[2:3], v[4:5], v[14:15], v[8:9] op_sel_hi:[1,0,1]
	v_pk_fma_f32 v[4:5], v[4:5], v[16:17], v[0:1] op_sel_hi:[1,0,1]
	v_mov_b32_e32 v8, v17
	v_pk_fma_f32 v[0:1], v[20:21], v[14:15], v[2:3] op_sel:[0,1,0]
	v_pk_fma_f32 v[2:3], v[20:21], v[8:9], v[4:5] op_sel_hi:[1,0,1]
	global_store_dwordx4 v[6:7], v[0:3], off
.LBB161_29:
	s_endpgm
	.section	.rodata,"a",@progbits
	.p2align	6, 0x0
	.amdhsa_kernel _ZN9rocsparseL19gebsrmvn_2xn_kernelILj128ELj3ELj64E21rocsparse_complex_numIfEEEvi20rocsparse_direction_NS_24const_host_device_scalarIT2_EEPKiS8_PKS5_SA_S6_PS5_21rocsparse_index_base_b
		.amdhsa_group_segment_fixed_size 0
		.amdhsa_private_segment_fixed_size 0
		.amdhsa_kernarg_size 72
		.amdhsa_user_sgpr_count 2
		.amdhsa_user_sgpr_dispatch_ptr 0
		.amdhsa_user_sgpr_queue_ptr 0
		.amdhsa_user_sgpr_kernarg_segment_ptr 1
		.amdhsa_user_sgpr_dispatch_id 0
		.amdhsa_user_sgpr_kernarg_preload_length 0
		.amdhsa_user_sgpr_kernarg_preload_offset 0
		.amdhsa_user_sgpr_private_segment_size 0
		.amdhsa_uses_dynamic_stack 0
		.amdhsa_enable_private_segment 0
		.amdhsa_system_sgpr_workgroup_id_x 1
		.amdhsa_system_sgpr_workgroup_id_y 0
		.amdhsa_system_sgpr_workgroup_id_z 0
		.amdhsa_system_sgpr_workgroup_info 0
		.amdhsa_system_vgpr_workitem_id 0
		.amdhsa_next_free_vgpr 42
		.amdhsa_next_free_sgpr 16
		.amdhsa_accum_offset 44
		.amdhsa_reserve_vcc 1
		.amdhsa_float_round_mode_32 0
		.amdhsa_float_round_mode_16_64 0
		.amdhsa_float_denorm_mode_32 3
		.amdhsa_float_denorm_mode_16_64 3
		.amdhsa_dx10_clamp 1
		.amdhsa_ieee_mode 1
		.amdhsa_fp16_overflow 0
		.amdhsa_tg_split 0
		.amdhsa_exception_fp_ieee_invalid_op 0
		.amdhsa_exception_fp_denorm_src 0
		.amdhsa_exception_fp_ieee_div_zero 0
		.amdhsa_exception_fp_ieee_overflow 0
		.amdhsa_exception_fp_ieee_underflow 0
		.amdhsa_exception_fp_ieee_inexact 0
		.amdhsa_exception_int_div_zero 0
	.end_amdhsa_kernel
	.section	.text._ZN9rocsparseL19gebsrmvn_2xn_kernelILj128ELj3ELj64E21rocsparse_complex_numIfEEEvi20rocsparse_direction_NS_24const_host_device_scalarIT2_EEPKiS8_PKS5_SA_S6_PS5_21rocsparse_index_base_b,"axG",@progbits,_ZN9rocsparseL19gebsrmvn_2xn_kernelILj128ELj3ELj64E21rocsparse_complex_numIfEEEvi20rocsparse_direction_NS_24const_host_device_scalarIT2_EEPKiS8_PKS5_SA_S6_PS5_21rocsparse_index_base_b,comdat
.Lfunc_end161:
	.size	_ZN9rocsparseL19gebsrmvn_2xn_kernelILj128ELj3ELj64E21rocsparse_complex_numIfEEEvi20rocsparse_direction_NS_24const_host_device_scalarIT2_EEPKiS8_PKS5_SA_S6_PS5_21rocsparse_index_base_b, .Lfunc_end161-_ZN9rocsparseL19gebsrmvn_2xn_kernelILj128ELj3ELj64E21rocsparse_complex_numIfEEEvi20rocsparse_direction_NS_24const_host_device_scalarIT2_EEPKiS8_PKS5_SA_S6_PS5_21rocsparse_index_base_b
                                        ; -- End function
	.section	.AMDGPU.csdata,"",@progbits
; Kernel info:
; codeLenInByte = 1768
; NumSgprs: 22
; NumVgprs: 42
; NumAgprs: 0
; TotalNumVgprs: 42
; ScratchSize: 0
; MemoryBound: 0
; FloatMode: 240
; IeeeMode: 1
; LDSByteSize: 0 bytes/workgroup (compile time only)
; SGPRBlocks: 2
; VGPRBlocks: 5
; NumSGPRsForWavesPerEU: 22
; NumVGPRsForWavesPerEU: 42
; AccumOffset: 44
; Occupancy: 8
; WaveLimiterHint : 1
; COMPUTE_PGM_RSRC2:SCRATCH_EN: 0
; COMPUTE_PGM_RSRC2:USER_SGPR: 2
; COMPUTE_PGM_RSRC2:TRAP_HANDLER: 0
; COMPUTE_PGM_RSRC2:TGID_X_EN: 1
; COMPUTE_PGM_RSRC2:TGID_Y_EN: 0
; COMPUTE_PGM_RSRC2:TGID_Z_EN: 0
; COMPUTE_PGM_RSRC2:TIDIG_COMP_CNT: 0
; COMPUTE_PGM_RSRC3_GFX90A:ACCUM_OFFSET: 10
; COMPUTE_PGM_RSRC3_GFX90A:TG_SPLIT: 0
	.section	.text._ZN9rocsparseL19gebsrmvn_2xn_kernelILj128ELj4ELj4E21rocsparse_complex_numIfEEEvi20rocsparse_direction_NS_24const_host_device_scalarIT2_EEPKiS8_PKS5_SA_S6_PS5_21rocsparse_index_base_b,"axG",@progbits,_ZN9rocsparseL19gebsrmvn_2xn_kernelILj128ELj4ELj4E21rocsparse_complex_numIfEEEvi20rocsparse_direction_NS_24const_host_device_scalarIT2_EEPKiS8_PKS5_SA_S6_PS5_21rocsparse_index_base_b,comdat
	.globl	_ZN9rocsparseL19gebsrmvn_2xn_kernelILj128ELj4ELj4E21rocsparse_complex_numIfEEEvi20rocsparse_direction_NS_24const_host_device_scalarIT2_EEPKiS8_PKS5_SA_S6_PS5_21rocsparse_index_base_b ; -- Begin function _ZN9rocsparseL19gebsrmvn_2xn_kernelILj128ELj4ELj4E21rocsparse_complex_numIfEEEvi20rocsparse_direction_NS_24const_host_device_scalarIT2_EEPKiS8_PKS5_SA_S6_PS5_21rocsparse_index_base_b
	.p2align	8
	.type	_ZN9rocsparseL19gebsrmvn_2xn_kernelILj128ELj4ELj4E21rocsparse_complex_numIfEEEvi20rocsparse_direction_NS_24const_host_device_scalarIT2_EEPKiS8_PKS5_SA_S6_PS5_21rocsparse_index_base_b,@function
_ZN9rocsparseL19gebsrmvn_2xn_kernelILj128ELj4ELj4E21rocsparse_complex_numIfEEEvi20rocsparse_direction_NS_24const_host_device_scalarIT2_EEPKiS8_PKS5_SA_S6_PS5_21rocsparse_index_base_b: ; @_ZN9rocsparseL19gebsrmvn_2xn_kernelILj128ELj4ELj4E21rocsparse_complex_numIfEEEvi20rocsparse_direction_NS_24const_host_device_scalarIT2_EEPKiS8_PKS5_SA_S6_PS5_21rocsparse_index_base_b
; %bb.0:
	s_load_dwordx2 s[12:13], s[0:1], 0x40
	s_load_dwordx2 s[8:9], s[0:1], 0x8
	;; [unrolled: 1-line block ×3, first 2 shown]
	s_waitcnt lgkmcnt(0)
	s_bitcmp1_b32 s13, 0
	s_cselect_b64 s[4:5], -1, 0
	s_xor_b64 s[10:11], s[4:5], -1
	s_and_b64 vcc, exec, s[4:5]
	v_mov_b32_e32 v2, s8
	s_cbranch_vccnz .LBB162_2
; %bb.1:
	v_mov_b64_e32 v[2:3], s[8:9]
	flat_load_dword v2, v[2:3]
.LBB162_2:
	v_cndmask_b32_e64 v1, 0, 1, s[10:11]
	v_cmp_ne_u32_e64 s[4:5], 1, v1
	s_andn2_b64 vcc, exec, s[10:11]
	v_mov_b32_e32 v3, s9
	s_cbranch_vccz .LBB162_16
; %bb.3:
	s_and_b64 vcc, exec, s[4:5]
	v_mov_b32_e32 v4, s6
	s_cbranch_vccz .LBB162_17
.LBB162_4:
	s_and_b64 vcc, exec, s[4:5]
	v_mov_b32_e32 v5, s7
	s_cbranch_vccnz .LBB162_6
.LBB162_5:
	v_mov_b64_e32 v[6:7], s[6:7]
	flat_load_dword v5, v[6:7] offset:4
.LBB162_6:
	s_waitcnt vmcnt(0) lgkmcnt(0)
	v_and_b32_e32 v1, 0x7fffffff, v2
	v_cmp_eq_u32_e32 vcc, 0, v1
	v_cmp_eq_f32_e64 s[4:5], 0, v3
	s_and_b64 s[8:9], vcc, s[4:5]
	s_mov_b64 s[4:5], -1
	s_and_saveexec_b64 s[6:7], s[8:9]
; %bb.7:
	v_and_b32_e32 v1, 0x7fffffff, v5
	v_cmp_neq_f32_e32 vcc, 1.0, v4
	v_cmp_ne_u32_e64 s[4:5], 0, v1
	s_or_b64 s[4:5], vcc, s[4:5]
	s_orn2_b64 s[4:5], s[4:5], exec
; %bb.8:
	s_or_b64 exec, exec, s[6:7]
	s_and_saveexec_b64 s[6:7], s[4:5]
	s_cbranch_execz .LBB162_29
; %bb.9:
	s_load_dwordx2 s[14:15], s[0:1], 0x0
	v_lshrrev_b32_e32 v1, 2, v0
	v_lshl_or_b32 v6, s2, 5, v1
	s_waitcnt lgkmcnt(0)
	v_cmp_gt_i32_e32 vcc, s14, v6
	s_and_b64 exec, exec, vcc
	s_cbranch_execz .LBB162_29
; %bb.10:
	s_load_dwordx8 s[4:11], s[0:1], 0x10
	v_ashrrev_i32_e32 v7, 31, v6
	s_cmp_lg_u32 s15, 0
	s_waitcnt lgkmcnt(0)
	v_lshl_add_u64 v[8:9], v[6:7], 2, s[4:5]
	global_load_dwordx2 v[8:9], v[8:9], off
	v_and_b32_e32 v7, 3, v0
	s_waitcnt vmcnt(0)
	v_subrev_u32_e32 v0, s12, v8
	v_subrev_u32_e32 v16, s12, v9
	v_add_u32_e32 v0, v0, v7
	v_cmp_lt_i32_e64 s[2:3], v0, v16
	s_cbranch_scc0 .LBB162_18
; %bb.11:
	v_mov_b32_e32 v11, 0
	v_mov_b32_e32 v10, v11
	;; [unrolled: 1-line block ×4, first 2 shown]
	s_and_saveexec_b64 s[4:5], s[2:3]
	s_cbranch_execz .LBB162_15
; %bb.12:
	v_mov_b32_e32 v13, 0
	v_lshlrev_b32_e32 v12, 3, v0
	s_mov_b64 s[14:15], 0
	v_mov_b32_e32 v14, v0
	v_mov_b32_e32 v8, v13
	;; [unrolled: 1-line block ×5, first 2 shown]
.LBB162_13:                             ; =>This Inner Loop Header: Depth=1
	v_ashrrev_i32_e32 v15, 31, v14
	v_lshl_add_u64 v[18:19], v[14:15], 2, s[6:7]
	global_load_dword v1, v[18:19], off
	v_lshl_add_u64 v[42:43], v[12:13], 3, s[8:9]
	v_mov_b32_e32 v31, v13
	global_load_dwordx4 v[18:21], v[42:43], off offset:32
	global_load_dwordx4 v[22:25], v[42:43], off offset:16
	global_load_dwordx4 v[26:29], v[42:43], off
	v_add_u32_e32 v14, 4, v14
	v_cmp_ge_i32_e32 vcc, v14, v16
	v_add_u32_e32 v12, 32, v12
	s_or_b64 s[14:15], vcc, s[14:15]
	s_waitcnt vmcnt(3)
	v_subrev_u32_e32 v1, s12, v1
	v_lshlrev_b32_e32 v30, 2, v1
	v_lshl_add_u64 v[44:45], v[30:31], 3, s[10:11]
	global_load_dwordx4 v[30:33], v[44:45], off offset:16
	global_load_dwordx4 v[34:37], v[44:45], off
	global_load_dwordx4 v[38:41], v[42:43], off offset:48
	s_waitcnt vmcnt(3)
	v_xor_b32_e32 v42, 0x80000000, v29
	v_mov_b32_e32 v43, v28
	v_xor_b32_e32 v44, 0x80000000, v25
	v_mov_b32_e32 v45, v24
	v_xor_b32_e32 v46, 0x80000000, v21
	v_mov_b32_e32 v47, v20
	s_waitcnt vmcnt(2)
	v_mov_b32_e32 v52, v33
	s_waitcnt vmcnt(1)
	v_pk_fma_f32 v[10:11], v[26:27], v[34:35], v[10:11] op_sel_hi:[1,0,1]
	v_pk_fma_f32 v[8:9], v[28:29], v[34:35], v[8:9] op_sel_hi:[1,0,1]
	v_pk_fma_f32 v[10:11], v[26:27], v[34:35], v[10:11] op_sel:[1,1,0] op_sel_hi:[0,1,1] neg_lo:[1,0,0]
	v_pk_fma_f32 v[8:9], v[42:43], v[34:35], v[8:9] op_sel:[0,1,0]
	v_mov_b32_e32 v50, v37
	v_pk_fma_f32 v[10:11], v[22:23], v[36:37], v[10:11] op_sel_hi:[1,0,1]
	v_pk_fma_f32 v[8:9], v[24:25], v[36:37], v[8:9] op_sel_hi:[1,0,1]
	v_pk_fma_f32 v[10:11], v[22:23], v[50:51], v[10:11] op_sel:[1,0,0] op_sel_hi:[0,0,1] neg_lo:[1,0,0]
	v_pk_fma_f32 v[8:9], v[44:45], v[50:51], v[8:9] op_sel_hi:[1,0,1]
	v_pk_fma_f32 v[10:11], v[18:19], v[30:31], v[10:11] op_sel_hi:[1,0,1]
	;; [unrolled: 1-line block ×3, first 2 shown]
	v_pk_fma_f32 v[10:11], v[18:19], v[30:31], v[10:11] op_sel:[1,1,0] op_sel_hi:[0,1,1] neg_lo:[1,0,0]
	v_pk_fma_f32 v[8:9], v[46:47], v[30:31], v[8:9] op_sel:[0,1,0]
	s_waitcnt vmcnt(0)
	v_xor_b32_e32 v48, 0x80000000, v41
	v_mov_b32_e32 v49, v40
	v_pk_fma_f32 v[10:11], v[38:39], v[32:33], v[10:11] op_sel_hi:[1,0,1]
	v_pk_fma_f32 v[8:9], v[40:41], v[32:33], v[8:9] op_sel_hi:[1,0,1]
	v_pk_fma_f32 v[10:11], v[38:39], v[52:53], v[10:11] op_sel:[1,0,0] op_sel_hi:[0,0,1] neg_lo:[1,0,0]
	v_pk_fma_f32 v[8:9], v[48:49], v[52:53], v[8:9] op_sel_hi:[1,0,1]
	s_andn2_b64 exec, exec, s[14:15]
	s_cbranch_execnz .LBB162_13
; %bb.14:
	s_or_b64 exec, exec, s[14:15]
.LBB162_15:
	s_or_b64 exec, exec, s[4:5]
	s_cbranch_execz .LBB162_19
	s_branch .LBB162_24
.LBB162_16:
	v_mov_b64_e32 v[4:5], s[8:9]
	flat_load_dword v3, v[4:5] offset:4
	s_and_b64 vcc, exec, s[4:5]
	v_mov_b32_e32 v4, s6
	s_cbranch_vccnz .LBB162_4
.LBB162_17:
	v_mov_b64_e32 v[4:5], s[6:7]
	flat_load_dword v4, v[4:5]
	s_and_b64 vcc, exec, s[4:5]
	v_mov_b32_e32 v5, s7
	s_cbranch_vccz .LBB162_5
	s_branch .LBB162_6
.LBB162_18:
                                        ; implicit-def: $vgpr11
                                        ; implicit-def: $vgpr9
.LBB162_19:
	v_mov_b32_e32 v11, 0
	v_mov_b32_e32 v10, v11
	;; [unrolled: 1-line block ×4, first 2 shown]
	s_and_saveexec_b64 s[4:5], s[2:3]
	s_cbranch_execz .LBB162_23
; %bb.20:
	v_mov_b32_e32 v13, 0
	v_lshlrev_b32_e32 v12, 3, v0
	s_mov_b64 s[2:3], 0
	v_mov_b32_e32 v8, v13
	v_mov_b32_e32 v9, v13
	v_mov_b32_e32 v10, v13
	v_mov_b32_e32 v11, v13
.LBB162_21:                             ; =>This Inner Loop Header: Depth=1
	v_ashrrev_i32_e32 v1, 31, v0
	v_lshl_add_u64 v[14:15], v[0:1], 2, s[6:7]
	global_load_dword v1, v[14:15], off
	v_lshl_add_u64 v[14:15], v[12:13], 3, s[8:9]
	v_mov_b32_e32 v35, v13
	global_load_dwordx4 v[18:21], v[14:15], off
	global_load_dwordx4 v[22:25], v[14:15], off offset:16
	global_load_dwordx4 v[26:29], v[14:15], off offset:48
	;; [unrolled: 1-line block ×3, first 2 shown]
	v_add_u32_e32 v0, 4, v0
	v_cmp_ge_i32_e32 vcc, v0, v16
	v_add_u32_e32 v12, 32, v12
	s_or_b64 s[2:3], vcc, s[2:3]
	s_waitcnt vmcnt(4)
	v_subrev_u32_e32 v1, s12, v1
	v_lshlrev_b32_e32 v34, 2, v1
	v_lshl_add_u64 v[14:15], v[34:35], 3, s[10:11]
	global_load_dwordx4 v[34:37], v[14:15], off
	global_load_dwordx4 v[38:41], v[14:15], off offset:16
	s_waitcnt vmcnt(5)
	v_xor_b32_e32 v14, 0x80000000, v21
	v_mov_b32_e32 v15, v20
	s_waitcnt vmcnt(2)
	v_xor_b32_e32 v44, 0x80000000, v33
	v_mov_b32_e32 v45, v32
	v_xor_b32_e32 v42, 0x80000000, v25
	v_mov_b32_e32 v43, v24
	;; [unrolled: 2-line block ×3, first 2 shown]
	s_waitcnt vmcnt(1)
	v_pk_fma_f32 v[10:11], v[18:19], v[34:35], v[10:11] op_sel_hi:[1,0,1]
	v_pk_fma_f32 v[8:9], v[30:31], v[34:35], v[8:9] op_sel_hi:[1,0,1]
	v_pk_fma_f32 v[10:11], v[18:19], v[34:35], v[10:11] op_sel:[1,1,0] op_sel_hi:[0,1,1] neg_lo:[1,0,0]
	v_pk_fma_f32 v[8:9], v[30:31], v[34:35], v[8:9] op_sel:[1,1,0] op_sel_hi:[0,1,1] neg_lo:[1,0,0]
	v_mov_b32_e32 v48, v37
	v_pk_fma_f32 v[10:11], v[20:21], v[36:37], v[10:11] op_sel_hi:[1,0,1]
	v_pk_fma_f32 v[8:9], v[32:33], v[36:37], v[8:9] op_sel_hi:[1,0,1]
	;; [unrolled: 1-line block ×4, first 2 shown]
	s_waitcnt vmcnt(0)
	v_pk_fma_f32 v[10:11], v[22:23], v[38:39], v[10:11] op_sel_hi:[1,0,1]
	v_pk_fma_f32 v[8:9], v[26:27], v[38:39], v[8:9] op_sel_hi:[1,0,1]
	v_pk_fma_f32 v[10:11], v[22:23], v[38:39], v[10:11] op_sel:[1,1,0] op_sel_hi:[0,1,1] neg_lo:[1,0,0]
	v_pk_fma_f32 v[8:9], v[26:27], v[38:39], v[8:9] op_sel:[1,1,0] op_sel_hi:[0,1,1] neg_lo:[1,0,0]
	v_mov_b32_e32 v50, v41
	v_pk_fma_f32 v[10:11], v[24:25], v[40:41], v[10:11] op_sel_hi:[1,0,1]
	v_pk_fma_f32 v[8:9], v[28:29], v[40:41], v[8:9] op_sel_hi:[1,0,1]
	;; [unrolled: 1-line block ×4, first 2 shown]
	s_andn2_b64 exec, exec, s[2:3]
	s_cbranch_execnz .LBB162_21
; %bb.22:
	s_or_b64 exec, exec, s[2:3]
.LBB162_23:
	s_or_b64 exec, exec, s[4:5]
.LBB162_24:
	v_mov_b32_dpp v0, v10 row_shr:1 row_mask:0xf bank_mask:0xf
	v_mov_b32_dpp v12, v8 row_shr:1 row_mask:0xf bank_mask:0xf
	v_add_f32_e32 v0, v10, v0
	v_mov_b32_dpp v10, v11 row_shr:1 row_mask:0xf bank_mask:0xf
	v_add_f32_e32 v13, v8, v12
	;; [unrolled: 2-line block ×3, first 2 shown]
	v_add_f32_e32 v9, v9, v8
	v_mov_b32_dpp v1, v0 row_shr:2 row_mask:0xf bank_mask:0xf
	v_mov_b32_dpp v11, v10 row_shr:2 row_mask:0xf bank_mask:0xf
	v_mov_b32_dpp v14, v13 row_shr:2 row_mask:0xf bank_mask:0xf
	v_mov_b32_dpp v15, v9 row_shr:2 row_mask:0xf bank_mask:0xf
	v_cmp_eq_u32_e32 vcc, 3, v7
	s_and_b64 exec, exec, vcc
	s_cbranch_execz .LBB162_29
; %bb.25:
	s_load_dwordx2 s[2:3], s[0:1], 0x38
	v_add_f32_e32 v8, v0, v1
	v_and_b32_e32 v1, 0x7fffffff, v4
	v_cmp_eq_u32_e32 vcc, 0, v1
	v_cmp_eq_f32_e64 s[0:1], 0, v5
	v_add_f32_e32 v12, v10, v11
	v_add_f32_e32 v0, v13, v14
	;; [unrolled: 1-line block ×3, first 2 shown]
	s_and_b64 s[0:1], vcc, s[0:1]
	s_and_saveexec_b64 s[4:5], s[0:1]
	s_xor_b64 s[0:1], exec, s[4:5]
	s_cbranch_execz .LBB162_27
; %bb.26:
	v_lshlrev_b32_e32 v4, 1, v6
	v_xor_b32_e32 v14, 0x80000000, v3
	v_ashrrev_i32_e32 v5, 31, v4
	v_mov_b32_e32 v15, v2
	s_waitcnt lgkmcnt(0)
	v_lshl_add_u64 v[16:17], v[4:5], 3, s[2:3]
	v_pk_mul_f32 v[4:5], v[12:13], v[14:15] op_sel_hi:[0,1]
	v_pk_mul_f32 v[6:7], v[10:11], v[14:15] op_sel_hi:[0,1]
	v_pk_fma_f32 v[4:5], v[2:3], v[8:9], v[4:5] op_sel_hi:[1,0,1]
	v_pk_fma_f32 v[6:7], v[2:3], v[0:1], v[6:7] op_sel_hi:[1,0,1]
	global_store_dwordx4 v[16:17], v[4:7], off
                                        ; implicit-def: $vgpr3
                                        ; implicit-def: $vgpr4
                                        ; implicit-def: $vgpr6
                                        ; implicit-def: $vgpr8
                                        ; implicit-def: $vgpr12
                                        ; implicit-def: $vgpr0
                                        ; implicit-def: $vgpr10
.LBB162_27:
	s_andn2_saveexec_b64 s[0:1], s[0:1]
	s_cbranch_execz .LBB162_29
; %bb.28:
	v_lshlrev_b32_e32 v6, 1, v6
	v_ashrrev_i32_e32 v7, 31, v6
	s_waitcnt lgkmcnt(0)
	v_lshl_add_u64 v[6:7], v[6:7], 3, s[2:3]
	global_load_dwordx4 v[14:17], v[6:7], off
	v_xor_b32_e32 v18, 0x80000000, v3
	v_mov_b32_e32 v19, v2
	v_pk_mul_f32 v[12:13], v[12:13], v[18:19] op_sel_hi:[0,1]
	v_pk_mul_f32 v[10:11], v[10:11], v[18:19] op_sel_hi:[0,1]
	v_pk_fma_f32 v[8:9], v[2:3], v[8:9], v[12:13] op_sel_hi:[1,0,1]
	v_pk_fma_f32 v[0:1], v[2:3], v[0:1], v[10:11] op_sel_hi:[1,0,1]
	v_xor_b32_e32 v20, 0x80000000, v5
	v_mov_b32_e32 v21, v4
	s_waitcnt vmcnt(0)
	v_pk_fma_f32 v[2:3], v[4:5], v[14:15], v[8:9] op_sel_hi:[1,0,1]
	v_pk_fma_f32 v[4:5], v[4:5], v[16:17], v[0:1] op_sel_hi:[1,0,1]
	v_mov_b32_e32 v8, v17
	v_pk_fma_f32 v[0:1], v[20:21], v[14:15], v[2:3] op_sel:[0,1,0]
	v_pk_fma_f32 v[2:3], v[20:21], v[8:9], v[4:5] op_sel_hi:[1,0,1]
	global_store_dwordx4 v[6:7], v[0:3], off
.LBB162_29:
	s_endpgm
	.section	.rodata,"a",@progbits
	.p2align	6, 0x0
	.amdhsa_kernel _ZN9rocsparseL19gebsrmvn_2xn_kernelILj128ELj4ELj4E21rocsparse_complex_numIfEEEvi20rocsparse_direction_NS_24const_host_device_scalarIT2_EEPKiS8_PKS5_SA_S6_PS5_21rocsparse_index_base_b
		.amdhsa_group_segment_fixed_size 0
		.amdhsa_private_segment_fixed_size 0
		.amdhsa_kernarg_size 72
		.amdhsa_user_sgpr_count 2
		.amdhsa_user_sgpr_dispatch_ptr 0
		.amdhsa_user_sgpr_queue_ptr 0
		.amdhsa_user_sgpr_kernarg_segment_ptr 1
		.amdhsa_user_sgpr_dispatch_id 0
		.amdhsa_user_sgpr_kernarg_preload_length 0
		.amdhsa_user_sgpr_kernarg_preload_offset 0
		.amdhsa_user_sgpr_private_segment_size 0
		.amdhsa_uses_dynamic_stack 0
		.amdhsa_enable_private_segment 0
		.amdhsa_system_sgpr_workgroup_id_x 1
		.amdhsa_system_sgpr_workgroup_id_y 0
		.amdhsa_system_sgpr_workgroup_id_z 0
		.amdhsa_system_sgpr_workgroup_info 0
		.amdhsa_system_vgpr_workitem_id 0
		.amdhsa_next_free_vgpr 54
		.amdhsa_next_free_sgpr 16
		.amdhsa_accum_offset 56
		.amdhsa_reserve_vcc 1
		.amdhsa_float_round_mode_32 0
		.amdhsa_float_round_mode_16_64 0
		.amdhsa_float_denorm_mode_32 3
		.amdhsa_float_denorm_mode_16_64 3
		.amdhsa_dx10_clamp 1
		.amdhsa_ieee_mode 1
		.amdhsa_fp16_overflow 0
		.amdhsa_tg_split 0
		.amdhsa_exception_fp_ieee_invalid_op 0
		.amdhsa_exception_fp_denorm_src 0
		.amdhsa_exception_fp_ieee_div_zero 0
		.amdhsa_exception_fp_ieee_overflow 0
		.amdhsa_exception_fp_ieee_underflow 0
		.amdhsa_exception_fp_ieee_inexact 0
		.amdhsa_exception_int_div_zero 0
	.end_amdhsa_kernel
	.section	.text._ZN9rocsparseL19gebsrmvn_2xn_kernelILj128ELj4ELj4E21rocsparse_complex_numIfEEEvi20rocsparse_direction_NS_24const_host_device_scalarIT2_EEPKiS8_PKS5_SA_S6_PS5_21rocsparse_index_base_b,"axG",@progbits,_ZN9rocsparseL19gebsrmvn_2xn_kernelILj128ELj4ELj4E21rocsparse_complex_numIfEEEvi20rocsparse_direction_NS_24const_host_device_scalarIT2_EEPKiS8_PKS5_SA_S6_PS5_21rocsparse_index_base_b,comdat
.Lfunc_end162:
	.size	_ZN9rocsparseL19gebsrmvn_2xn_kernelILj128ELj4ELj4E21rocsparse_complex_numIfEEEvi20rocsparse_direction_NS_24const_host_device_scalarIT2_EEPKiS8_PKS5_SA_S6_PS5_21rocsparse_index_base_b, .Lfunc_end162-_ZN9rocsparseL19gebsrmvn_2xn_kernelILj128ELj4ELj4E21rocsparse_complex_numIfEEEvi20rocsparse_direction_NS_24const_host_device_scalarIT2_EEPKiS8_PKS5_SA_S6_PS5_21rocsparse_index_base_b
                                        ; -- End function
	.section	.AMDGPU.csdata,"",@progbits
; Kernel info:
; codeLenInByte = 1508
; NumSgprs: 22
; NumVgprs: 54
; NumAgprs: 0
; TotalNumVgprs: 54
; ScratchSize: 0
; MemoryBound: 0
; FloatMode: 240
; IeeeMode: 1
; LDSByteSize: 0 bytes/workgroup (compile time only)
; SGPRBlocks: 2
; VGPRBlocks: 6
; NumSGPRsForWavesPerEU: 22
; NumVGPRsForWavesPerEU: 54
; AccumOffset: 56
; Occupancy: 8
; WaveLimiterHint : 1
; COMPUTE_PGM_RSRC2:SCRATCH_EN: 0
; COMPUTE_PGM_RSRC2:USER_SGPR: 2
; COMPUTE_PGM_RSRC2:TRAP_HANDLER: 0
; COMPUTE_PGM_RSRC2:TGID_X_EN: 1
; COMPUTE_PGM_RSRC2:TGID_Y_EN: 0
; COMPUTE_PGM_RSRC2:TGID_Z_EN: 0
; COMPUTE_PGM_RSRC2:TIDIG_COMP_CNT: 0
; COMPUTE_PGM_RSRC3_GFX90A:ACCUM_OFFSET: 13
; COMPUTE_PGM_RSRC3_GFX90A:TG_SPLIT: 0
	.section	.text._ZN9rocsparseL19gebsrmvn_2xn_kernelILj128ELj4ELj8E21rocsparse_complex_numIfEEEvi20rocsparse_direction_NS_24const_host_device_scalarIT2_EEPKiS8_PKS5_SA_S6_PS5_21rocsparse_index_base_b,"axG",@progbits,_ZN9rocsparseL19gebsrmvn_2xn_kernelILj128ELj4ELj8E21rocsparse_complex_numIfEEEvi20rocsparse_direction_NS_24const_host_device_scalarIT2_EEPKiS8_PKS5_SA_S6_PS5_21rocsparse_index_base_b,comdat
	.globl	_ZN9rocsparseL19gebsrmvn_2xn_kernelILj128ELj4ELj8E21rocsparse_complex_numIfEEEvi20rocsparse_direction_NS_24const_host_device_scalarIT2_EEPKiS8_PKS5_SA_S6_PS5_21rocsparse_index_base_b ; -- Begin function _ZN9rocsparseL19gebsrmvn_2xn_kernelILj128ELj4ELj8E21rocsparse_complex_numIfEEEvi20rocsparse_direction_NS_24const_host_device_scalarIT2_EEPKiS8_PKS5_SA_S6_PS5_21rocsparse_index_base_b
	.p2align	8
	.type	_ZN9rocsparseL19gebsrmvn_2xn_kernelILj128ELj4ELj8E21rocsparse_complex_numIfEEEvi20rocsparse_direction_NS_24const_host_device_scalarIT2_EEPKiS8_PKS5_SA_S6_PS5_21rocsparse_index_base_b,@function
_ZN9rocsparseL19gebsrmvn_2xn_kernelILj128ELj4ELj8E21rocsparse_complex_numIfEEEvi20rocsparse_direction_NS_24const_host_device_scalarIT2_EEPKiS8_PKS5_SA_S6_PS5_21rocsparse_index_base_b: ; @_ZN9rocsparseL19gebsrmvn_2xn_kernelILj128ELj4ELj8E21rocsparse_complex_numIfEEEvi20rocsparse_direction_NS_24const_host_device_scalarIT2_EEPKiS8_PKS5_SA_S6_PS5_21rocsparse_index_base_b
; %bb.0:
	s_load_dwordx2 s[12:13], s[0:1], 0x40
	s_load_dwordx2 s[8:9], s[0:1], 0x8
	;; [unrolled: 1-line block ×3, first 2 shown]
	s_waitcnt lgkmcnt(0)
	s_bitcmp1_b32 s13, 0
	s_cselect_b64 s[4:5], -1, 0
	s_xor_b64 s[10:11], s[4:5], -1
	s_and_b64 vcc, exec, s[4:5]
	v_mov_b32_e32 v2, s8
	s_cbranch_vccnz .LBB163_2
; %bb.1:
	v_mov_b64_e32 v[2:3], s[8:9]
	flat_load_dword v2, v[2:3]
.LBB163_2:
	v_cndmask_b32_e64 v1, 0, 1, s[10:11]
	v_cmp_ne_u32_e64 s[4:5], 1, v1
	s_andn2_b64 vcc, exec, s[10:11]
	v_mov_b32_e32 v3, s9
	s_cbranch_vccz .LBB163_16
; %bb.3:
	s_and_b64 vcc, exec, s[4:5]
	v_mov_b32_e32 v4, s6
	s_cbranch_vccz .LBB163_17
.LBB163_4:
	s_and_b64 vcc, exec, s[4:5]
	v_mov_b32_e32 v5, s7
	s_cbranch_vccnz .LBB163_6
.LBB163_5:
	v_mov_b64_e32 v[6:7], s[6:7]
	flat_load_dword v5, v[6:7] offset:4
.LBB163_6:
	s_waitcnt vmcnt(0) lgkmcnt(0)
	v_and_b32_e32 v1, 0x7fffffff, v2
	v_cmp_eq_u32_e32 vcc, 0, v1
	v_cmp_eq_f32_e64 s[4:5], 0, v3
	s_and_b64 s[8:9], vcc, s[4:5]
	s_mov_b64 s[4:5], -1
	s_and_saveexec_b64 s[6:7], s[8:9]
; %bb.7:
	v_and_b32_e32 v1, 0x7fffffff, v5
	v_cmp_neq_f32_e32 vcc, 1.0, v4
	v_cmp_ne_u32_e64 s[4:5], 0, v1
	s_or_b64 s[4:5], vcc, s[4:5]
	s_orn2_b64 s[4:5], s[4:5], exec
; %bb.8:
	s_or_b64 exec, exec, s[6:7]
	s_and_saveexec_b64 s[6:7], s[4:5]
	s_cbranch_execz .LBB163_29
; %bb.9:
	s_load_dwordx2 s[14:15], s[0:1], 0x0
	v_lshrrev_b32_e32 v1, 3, v0
	v_lshl_or_b32 v6, s2, 4, v1
	s_waitcnt lgkmcnt(0)
	v_cmp_gt_i32_e32 vcc, s14, v6
	s_and_b64 exec, exec, vcc
	s_cbranch_execz .LBB163_29
; %bb.10:
	s_load_dwordx8 s[4:11], s[0:1], 0x10
	v_ashrrev_i32_e32 v7, 31, v6
	s_cmp_lg_u32 s15, 0
	s_waitcnt lgkmcnt(0)
	v_lshl_add_u64 v[8:9], v[6:7], 2, s[4:5]
	global_load_dwordx2 v[8:9], v[8:9], off
	v_and_b32_e32 v7, 7, v0
	s_waitcnt vmcnt(0)
	v_subrev_u32_e32 v0, s12, v8
	v_subrev_u32_e32 v16, s12, v9
	v_add_u32_e32 v0, v0, v7
	v_cmp_lt_i32_e64 s[2:3], v0, v16
	s_cbranch_scc0 .LBB163_18
; %bb.11:
	v_mov_b32_e32 v11, 0
	v_mov_b32_e32 v10, v11
	;; [unrolled: 1-line block ×4, first 2 shown]
	s_and_saveexec_b64 s[4:5], s[2:3]
	s_cbranch_execz .LBB163_15
; %bb.12:
	v_mov_b32_e32 v13, 0
	v_lshlrev_b32_e32 v12, 3, v0
	s_mov_b64 s[14:15], 0
	v_mov_b32_e32 v14, v0
	v_mov_b32_e32 v8, v13
	;; [unrolled: 1-line block ×5, first 2 shown]
.LBB163_13:                             ; =>This Inner Loop Header: Depth=1
	v_ashrrev_i32_e32 v15, 31, v14
	v_lshl_add_u64 v[18:19], v[14:15], 2, s[6:7]
	global_load_dword v1, v[18:19], off
	v_lshl_add_u64 v[42:43], v[12:13], 3, s[8:9]
	v_mov_b32_e32 v31, v13
	global_load_dwordx4 v[18:21], v[42:43], off offset:32
	global_load_dwordx4 v[22:25], v[42:43], off offset:16
	global_load_dwordx4 v[26:29], v[42:43], off
	v_add_u32_e32 v14, 8, v14
	v_cmp_ge_i32_e32 vcc, v14, v16
	v_add_u32_e32 v12, 64, v12
	s_or_b64 s[14:15], vcc, s[14:15]
	s_waitcnt vmcnt(3)
	v_subrev_u32_e32 v1, s12, v1
	v_lshlrev_b32_e32 v30, 2, v1
	v_lshl_add_u64 v[44:45], v[30:31], 3, s[10:11]
	global_load_dwordx4 v[30:33], v[44:45], off offset:16
	global_load_dwordx4 v[34:37], v[44:45], off
	global_load_dwordx4 v[38:41], v[42:43], off offset:48
	s_waitcnt vmcnt(3)
	v_xor_b32_e32 v42, 0x80000000, v29
	v_mov_b32_e32 v43, v28
	v_xor_b32_e32 v44, 0x80000000, v25
	v_mov_b32_e32 v45, v24
	;; [unrolled: 2-line block ×3, first 2 shown]
	s_waitcnt vmcnt(2)
	v_mov_b32_e32 v52, v33
	s_waitcnt vmcnt(1)
	v_pk_fma_f32 v[10:11], v[26:27], v[34:35], v[10:11] op_sel_hi:[1,0,1]
	v_pk_fma_f32 v[8:9], v[28:29], v[34:35], v[8:9] op_sel_hi:[1,0,1]
	v_pk_fma_f32 v[10:11], v[26:27], v[34:35], v[10:11] op_sel:[1,1,0] op_sel_hi:[0,1,1] neg_lo:[1,0,0]
	v_pk_fma_f32 v[8:9], v[42:43], v[34:35], v[8:9] op_sel:[0,1,0]
	v_mov_b32_e32 v50, v37
	v_pk_fma_f32 v[10:11], v[22:23], v[36:37], v[10:11] op_sel_hi:[1,0,1]
	v_pk_fma_f32 v[8:9], v[24:25], v[36:37], v[8:9] op_sel_hi:[1,0,1]
	v_pk_fma_f32 v[10:11], v[22:23], v[50:51], v[10:11] op_sel:[1,0,0] op_sel_hi:[0,0,1] neg_lo:[1,0,0]
	v_pk_fma_f32 v[8:9], v[44:45], v[50:51], v[8:9] op_sel_hi:[1,0,1]
	v_pk_fma_f32 v[10:11], v[18:19], v[30:31], v[10:11] op_sel_hi:[1,0,1]
	;; [unrolled: 1-line block ×3, first 2 shown]
	v_pk_fma_f32 v[10:11], v[18:19], v[30:31], v[10:11] op_sel:[1,1,0] op_sel_hi:[0,1,1] neg_lo:[1,0,0]
	v_pk_fma_f32 v[8:9], v[46:47], v[30:31], v[8:9] op_sel:[0,1,0]
	s_waitcnt vmcnt(0)
	v_xor_b32_e32 v48, 0x80000000, v41
	v_mov_b32_e32 v49, v40
	v_pk_fma_f32 v[10:11], v[38:39], v[32:33], v[10:11] op_sel_hi:[1,0,1]
	v_pk_fma_f32 v[8:9], v[40:41], v[32:33], v[8:9] op_sel_hi:[1,0,1]
	v_pk_fma_f32 v[10:11], v[38:39], v[52:53], v[10:11] op_sel:[1,0,0] op_sel_hi:[0,0,1] neg_lo:[1,0,0]
	v_pk_fma_f32 v[8:9], v[48:49], v[52:53], v[8:9] op_sel_hi:[1,0,1]
	s_andn2_b64 exec, exec, s[14:15]
	s_cbranch_execnz .LBB163_13
; %bb.14:
	s_or_b64 exec, exec, s[14:15]
.LBB163_15:
	s_or_b64 exec, exec, s[4:5]
	s_cbranch_execz .LBB163_19
	s_branch .LBB163_24
.LBB163_16:
	v_mov_b64_e32 v[4:5], s[8:9]
	flat_load_dword v3, v[4:5] offset:4
	s_and_b64 vcc, exec, s[4:5]
	v_mov_b32_e32 v4, s6
	s_cbranch_vccnz .LBB163_4
.LBB163_17:
	v_mov_b64_e32 v[4:5], s[6:7]
	flat_load_dword v4, v[4:5]
	s_and_b64 vcc, exec, s[4:5]
	v_mov_b32_e32 v5, s7
	s_cbranch_vccz .LBB163_5
	s_branch .LBB163_6
.LBB163_18:
                                        ; implicit-def: $vgpr11
                                        ; implicit-def: $vgpr9
.LBB163_19:
	v_mov_b32_e32 v11, 0
	v_mov_b32_e32 v10, v11
	;; [unrolled: 1-line block ×4, first 2 shown]
	s_and_saveexec_b64 s[4:5], s[2:3]
	s_cbranch_execz .LBB163_23
; %bb.20:
	v_mov_b32_e32 v13, 0
	v_lshlrev_b32_e32 v12, 3, v0
	s_mov_b64 s[2:3], 0
	v_mov_b32_e32 v8, v13
	v_mov_b32_e32 v9, v13
	;; [unrolled: 1-line block ×4, first 2 shown]
.LBB163_21:                             ; =>This Inner Loop Header: Depth=1
	v_ashrrev_i32_e32 v1, 31, v0
	v_lshl_add_u64 v[14:15], v[0:1], 2, s[6:7]
	global_load_dword v1, v[14:15], off
	v_lshl_add_u64 v[14:15], v[12:13], 3, s[8:9]
	v_mov_b32_e32 v35, v13
	global_load_dwordx4 v[18:21], v[14:15], off
	global_load_dwordx4 v[22:25], v[14:15], off offset:16
	global_load_dwordx4 v[26:29], v[14:15], off offset:48
	;; [unrolled: 1-line block ×3, first 2 shown]
	v_add_u32_e32 v0, 8, v0
	v_cmp_ge_i32_e32 vcc, v0, v16
	v_add_u32_e32 v12, 64, v12
	s_or_b64 s[2:3], vcc, s[2:3]
	s_waitcnt vmcnt(4)
	v_subrev_u32_e32 v1, s12, v1
	v_lshlrev_b32_e32 v34, 2, v1
	v_lshl_add_u64 v[14:15], v[34:35], 3, s[10:11]
	global_load_dwordx4 v[34:37], v[14:15], off
	global_load_dwordx4 v[38:41], v[14:15], off offset:16
	s_waitcnt vmcnt(5)
	v_xor_b32_e32 v14, 0x80000000, v21
	v_mov_b32_e32 v15, v20
	s_waitcnt vmcnt(2)
	v_xor_b32_e32 v44, 0x80000000, v33
	v_mov_b32_e32 v45, v32
	v_xor_b32_e32 v42, 0x80000000, v25
	v_mov_b32_e32 v43, v24
	;; [unrolled: 2-line block ×3, first 2 shown]
	s_waitcnt vmcnt(1)
	v_pk_fma_f32 v[10:11], v[18:19], v[34:35], v[10:11] op_sel_hi:[1,0,1]
	v_pk_fma_f32 v[8:9], v[30:31], v[34:35], v[8:9] op_sel_hi:[1,0,1]
	v_pk_fma_f32 v[10:11], v[18:19], v[34:35], v[10:11] op_sel:[1,1,0] op_sel_hi:[0,1,1] neg_lo:[1,0,0]
	v_pk_fma_f32 v[8:9], v[30:31], v[34:35], v[8:9] op_sel:[1,1,0] op_sel_hi:[0,1,1] neg_lo:[1,0,0]
	v_mov_b32_e32 v48, v37
	v_pk_fma_f32 v[10:11], v[20:21], v[36:37], v[10:11] op_sel_hi:[1,0,1]
	v_pk_fma_f32 v[8:9], v[32:33], v[36:37], v[8:9] op_sel_hi:[1,0,1]
	;; [unrolled: 1-line block ×4, first 2 shown]
	s_waitcnt vmcnt(0)
	v_pk_fma_f32 v[10:11], v[22:23], v[38:39], v[10:11] op_sel_hi:[1,0,1]
	v_pk_fma_f32 v[8:9], v[26:27], v[38:39], v[8:9] op_sel_hi:[1,0,1]
	v_pk_fma_f32 v[10:11], v[22:23], v[38:39], v[10:11] op_sel:[1,1,0] op_sel_hi:[0,1,1] neg_lo:[1,0,0]
	v_pk_fma_f32 v[8:9], v[26:27], v[38:39], v[8:9] op_sel:[1,1,0] op_sel_hi:[0,1,1] neg_lo:[1,0,0]
	v_mov_b32_e32 v50, v41
	v_pk_fma_f32 v[10:11], v[24:25], v[40:41], v[10:11] op_sel_hi:[1,0,1]
	v_pk_fma_f32 v[8:9], v[28:29], v[40:41], v[8:9] op_sel_hi:[1,0,1]
	;; [unrolled: 1-line block ×4, first 2 shown]
	s_andn2_b64 exec, exec, s[2:3]
	s_cbranch_execnz .LBB163_21
; %bb.22:
	s_or_b64 exec, exec, s[2:3]
.LBB163_23:
	s_or_b64 exec, exec, s[4:5]
.LBB163_24:
	v_mov_b32_dpp v12, v8 row_shr:1 row_mask:0xf bank_mask:0xf
	v_add_f32_e32 v8, v8, v12
	v_mov_b32_dpp v0, v10 row_shr:1 row_mask:0xf bank_mask:0xf
	v_add_f32_e32 v0, v10, v0
	v_mov_b32_dpp v12, v8 row_shr:2 row_mask:0xf bank_mask:0xf
	v_mov_b32_dpp v10, v11 row_shr:1 row_mask:0xf bank_mask:0xf
	v_add_f32_e32 v13, v8, v12
	v_mov_b32_dpp v8, v9 row_shr:1 row_mask:0xf bank_mask:0xf
	v_add_f32_e32 v10, v11, v10
	v_add_f32_e32 v8, v9, v8
	v_mov_b32_dpp v1, v0 row_shr:2 row_mask:0xf bank_mask:0xf
	v_mov_b32_dpp v11, v10 row_shr:2 row_mask:0xf bank_mask:0xf
	;; [unrolled: 1-line block ×3, first 2 shown]
	v_add_f32_e32 v0, v0, v1
	v_add_f32_e32 v10, v10, v11
	v_add_f32_e32 v9, v8, v9
	v_mov_b32_dpp v1, v0 row_shr:4 row_mask:0xf bank_mask:0xe
	v_mov_b32_dpp v11, v10 row_shr:4 row_mask:0xf bank_mask:0xe
	v_mov_b32_dpp v14, v13 row_shr:4 row_mask:0xf bank_mask:0xe
	v_mov_b32_dpp v15, v9 row_shr:4 row_mask:0xf bank_mask:0xe
	v_cmp_eq_u32_e32 vcc, 7, v7
	s_and_b64 exec, exec, vcc
	s_cbranch_execz .LBB163_29
; %bb.25:
	s_load_dwordx2 s[2:3], s[0:1], 0x38
	v_add_f32_e32 v8, v0, v1
	v_and_b32_e32 v1, 0x7fffffff, v4
	v_cmp_eq_u32_e32 vcc, 0, v1
	v_cmp_eq_f32_e64 s[0:1], 0, v5
	v_add_f32_e32 v12, v10, v11
	v_add_f32_e32 v0, v13, v14
	;; [unrolled: 1-line block ×3, first 2 shown]
	s_and_b64 s[0:1], vcc, s[0:1]
	s_and_saveexec_b64 s[4:5], s[0:1]
	s_xor_b64 s[0:1], exec, s[4:5]
	s_cbranch_execz .LBB163_27
; %bb.26:
	v_lshlrev_b32_e32 v4, 1, v6
	v_xor_b32_e32 v14, 0x80000000, v3
	v_ashrrev_i32_e32 v5, 31, v4
	v_mov_b32_e32 v15, v2
	s_waitcnt lgkmcnt(0)
	v_lshl_add_u64 v[16:17], v[4:5], 3, s[2:3]
	v_pk_mul_f32 v[4:5], v[12:13], v[14:15] op_sel_hi:[0,1]
	v_pk_mul_f32 v[6:7], v[10:11], v[14:15] op_sel_hi:[0,1]
	v_pk_fma_f32 v[4:5], v[2:3], v[8:9], v[4:5] op_sel_hi:[1,0,1]
	v_pk_fma_f32 v[6:7], v[2:3], v[0:1], v[6:7] op_sel_hi:[1,0,1]
	global_store_dwordx4 v[16:17], v[4:7], off
                                        ; implicit-def: $vgpr3
                                        ; implicit-def: $vgpr4
                                        ; implicit-def: $vgpr6
                                        ; implicit-def: $vgpr8
                                        ; implicit-def: $vgpr12
                                        ; implicit-def: $vgpr0
                                        ; implicit-def: $vgpr10
.LBB163_27:
	s_andn2_saveexec_b64 s[0:1], s[0:1]
	s_cbranch_execz .LBB163_29
; %bb.28:
	v_lshlrev_b32_e32 v6, 1, v6
	v_ashrrev_i32_e32 v7, 31, v6
	s_waitcnt lgkmcnt(0)
	v_lshl_add_u64 v[6:7], v[6:7], 3, s[2:3]
	global_load_dwordx4 v[14:17], v[6:7], off
	v_xor_b32_e32 v18, 0x80000000, v3
	v_mov_b32_e32 v19, v2
	v_pk_mul_f32 v[12:13], v[12:13], v[18:19] op_sel_hi:[0,1]
	v_pk_mul_f32 v[10:11], v[10:11], v[18:19] op_sel_hi:[0,1]
	v_pk_fma_f32 v[8:9], v[2:3], v[8:9], v[12:13] op_sel_hi:[1,0,1]
	v_pk_fma_f32 v[0:1], v[2:3], v[0:1], v[10:11] op_sel_hi:[1,0,1]
	v_xor_b32_e32 v20, 0x80000000, v5
	v_mov_b32_e32 v21, v4
	s_waitcnt vmcnt(0)
	v_pk_fma_f32 v[2:3], v[4:5], v[14:15], v[8:9] op_sel_hi:[1,0,1]
	v_pk_fma_f32 v[4:5], v[4:5], v[16:17], v[0:1] op_sel_hi:[1,0,1]
	v_mov_b32_e32 v8, v17
	v_pk_fma_f32 v[0:1], v[20:21], v[14:15], v[2:3] op_sel:[0,1,0]
	v_pk_fma_f32 v[2:3], v[20:21], v[8:9], v[4:5] op_sel_hi:[1,0,1]
	global_store_dwordx4 v[6:7], v[0:3], off
.LBB163_29:
	s_endpgm
	.section	.rodata,"a",@progbits
	.p2align	6, 0x0
	.amdhsa_kernel _ZN9rocsparseL19gebsrmvn_2xn_kernelILj128ELj4ELj8E21rocsparse_complex_numIfEEEvi20rocsparse_direction_NS_24const_host_device_scalarIT2_EEPKiS8_PKS5_SA_S6_PS5_21rocsparse_index_base_b
		.amdhsa_group_segment_fixed_size 0
		.amdhsa_private_segment_fixed_size 0
		.amdhsa_kernarg_size 72
		.amdhsa_user_sgpr_count 2
		.amdhsa_user_sgpr_dispatch_ptr 0
		.amdhsa_user_sgpr_queue_ptr 0
		.amdhsa_user_sgpr_kernarg_segment_ptr 1
		.amdhsa_user_sgpr_dispatch_id 0
		.amdhsa_user_sgpr_kernarg_preload_length 0
		.amdhsa_user_sgpr_kernarg_preload_offset 0
		.amdhsa_user_sgpr_private_segment_size 0
		.amdhsa_uses_dynamic_stack 0
		.amdhsa_enable_private_segment 0
		.amdhsa_system_sgpr_workgroup_id_x 1
		.amdhsa_system_sgpr_workgroup_id_y 0
		.amdhsa_system_sgpr_workgroup_id_z 0
		.amdhsa_system_sgpr_workgroup_info 0
		.amdhsa_system_vgpr_workitem_id 0
		.amdhsa_next_free_vgpr 54
		.amdhsa_next_free_sgpr 16
		.amdhsa_accum_offset 56
		.amdhsa_reserve_vcc 1
		.amdhsa_float_round_mode_32 0
		.amdhsa_float_round_mode_16_64 0
		.amdhsa_float_denorm_mode_32 3
		.amdhsa_float_denorm_mode_16_64 3
		.amdhsa_dx10_clamp 1
		.amdhsa_ieee_mode 1
		.amdhsa_fp16_overflow 0
		.amdhsa_tg_split 0
		.amdhsa_exception_fp_ieee_invalid_op 0
		.amdhsa_exception_fp_denorm_src 0
		.amdhsa_exception_fp_ieee_div_zero 0
		.amdhsa_exception_fp_ieee_overflow 0
		.amdhsa_exception_fp_ieee_underflow 0
		.amdhsa_exception_fp_ieee_inexact 0
		.amdhsa_exception_int_div_zero 0
	.end_amdhsa_kernel
	.section	.text._ZN9rocsparseL19gebsrmvn_2xn_kernelILj128ELj4ELj8E21rocsparse_complex_numIfEEEvi20rocsparse_direction_NS_24const_host_device_scalarIT2_EEPKiS8_PKS5_SA_S6_PS5_21rocsparse_index_base_b,"axG",@progbits,_ZN9rocsparseL19gebsrmvn_2xn_kernelILj128ELj4ELj8E21rocsparse_complex_numIfEEEvi20rocsparse_direction_NS_24const_host_device_scalarIT2_EEPKiS8_PKS5_SA_S6_PS5_21rocsparse_index_base_b,comdat
.Lfunc_end163:
	.size	_ZN9rocsparseL19gebsrmvn_2xn_kernelILj128ELj4ELj8E21rocsparse_complex_numIfEEEvi20rocsparse_direction_NS_24const_host_device_scalarIT2_EEPKiS8_PKS5_SA_S6_PS5_21rocsparse_index_base_b, .Lfunc_end163-_ZN9rocsparseL19gebsrmvn_2xn_kernelILj128ELj4ELj8E21rocsparse_complex_numIfEEEvi20rocsparse_direction_NS_24const_host_device_scalarIT2_EEPKiS8_PKS5_SA_S6_PS5_21rocsparse_index_base_b
                                        ; -- End function
	.section	.AMDGPU.csdata,"",@progbits
; Kernel info:
; codeLenInByte = 1556
; NumSgprs: 22
; NumVgprs: 54
; NumAgprs: 0
; TotalNumVgprs: 54
; ScratchSize: 0
; MemoryBound: 0
; FloatMode: 240
; IeeeMode: 1
; LDSByteSize: 0 bytes/workgroup (compile time only)
; SGPRBlocks: 2
; VGPRBlocks: 6
; NumSGPRsForWavesPerEU: 22
; NumVGPRsForWavesPerEU: 54
; AccumOffset: 56
; Occupancy: 8
; WaveLimiterHint : 1
; COMPUTE_PGM_RSRC2:SCRATCH_EN: 0
; COMPUTE_PGM_RSRC2:USER_SGPR: 2
; COMPUTE_PGM_RSRC2:TRAP_HANDLER: 0
; COMPUTE_PGM_RSRC2:TGID_X_EN: 1
; COMPUTE_PGM_RSRC2:TGID_Y_EN: 0
; COMPUTE_PGM_RSRC2:TGID_Z_EN: 0
; COMPUTE_PGM_RSRC2:TIDIG_COMP_CNT: 0
; COMPUTE_PGM_RSRC3_GFX90A:ACCUM_OFFSET: 13
; COMPUTE_PGM_RSRC3_GFX90A:TG_SPLIT: 0
	.section	.text._ZN9rocsparseL19gebsrmvn_2xn_kernelILj128ELj4ELj16E21rocsparse_complex_numIfEEEvi20rocsparse_direction_NS_24const_host_device_scalarIT2_EEPKiS8_PKS5_SA_S6_PS5_21rocsparse_index_base_b,"axG",@progbits,_ZN9rocsparseL19gebsrmvn_2xn_kernelILj128ELj4ELj16E21rocsparse_complex_numIfEEEvi20rocsparse_direction_NS_24const_host_device_scalarIT2_EEPKiS8_PKS5_SA_S6_PS5_21rocsparse_index_base_b,comdat
	.globl	_ZN9rocsparseL19gebsrmvn_2xn_kernelILj128ELj4ELj16E21rocsparse_complex_numIfEEEvi20rocsparse_direction_NS_24const_host_device_scalarIT2_EEPKiS8_PKS5_SA_S6_PS5_21rocsparse_index_base_b ; -- Begin function _ZN9rocsparseL19gebsrmvn_2xn_kernelILj128ELj4ELj16E21rocsparse_complex_numIfEEEvi20rocsparse_direction_NS_24const_host_device_scalarIT2_EEPKiS8_PKS5_SA_S6_PS5_21rocsparse_index_base_b
	.p2align	8
	.type	_ZN9rocsparseL19gebsrmvn_2xn_kernelILj128ELj4ELj16E21rocsparse_complex_numIfEEEvi20rocsparse_direction_NS_24const_host_device_scalarIT2_EEPKiS8_PKS5_SA_S6_PS5_21rocsparse_index_base_b,@function
_ZN9rocsparseL19gebsrmvn_2xn_kernelILj128ELj4ELj16E21rocsparse_complex_numIfEEEvi20rocsparse_direction_NS_24const_host_device_scalarIT2_EEPKiS8_PKS5_SA_S6_PS5_21rocsparse_index_base_b: ; @_ZN9rocsparseL19gebsrmvn_2xn_kernelILj128ELj4ELj16E21rocsparse_complex_numIfEEEvi20rocsparse_direction_NS_24const_host_device_scalarIT2_EEPKiS8_PKS5_SA_S6_PS5_21rocsparse_index_base_b
; %bb.0:
	s_load_dwordx2 s[12:13], s[0:1], 0x40
	s_load_dwordx2 s[8:9], s[0:1], 0x8
	;; [unrolled: 1-line block ×3, first 2 shown]
	s_waitcnt lgkmcnt(0)
	s_bitcmp1_b32 s13, 0
	s_cselect_b64 s[4:5], -1, 0
	s_xor_b64 s[10:11], s[4:5], -1
	s_and_b64 vcc, exec, s[4:5]
	v_mov_b32_e32 v2, s8
	s_cbranch_vccnz .LBB164_2
; %bb.1:
	v_mov_b64_e32 v[2:3], s[8:9]
	flat_load_dword v2, v[2:3]
.LBB164_2:
	v_cndmask_b32_e64 v1, 0, 1, s[10:11]
	v_cmp_ne_u32_e64 s[4:5], 1, v1
	s_andn2_b64 vcc, exec, s[10:11]
	v_mov_b32_e32 v3, s9
	s_cbranch_vccz .LBB164_16
; %bb.3:
	s_and_b64 vcc, exec, s[4:5]
	v_mov_b32_e32 v4, s6
	s_cbranch_vccz .LBB164_17
.LBB164_4:
	s_and_b64 vcc, exec, s[4:5]
	v_mov_b32_e32 v5, s7
	s_cbranch_vccnz .LBB164_6
.LBB164_5:
	v_mov_b64_e32 v[6:7], s[6:7]
	flat_load_dword v5, v[6:7] offset:4
.LBB164_6:
	s_waitcnt vmcnt(0) lgkmcnt(0)
	v_and_b32_e32 v1, 0x7fffffff, v2
	v_cmp_eq_u32_e32 vcc, 0, v1
	v_cmp_eq_f32_e64 s[4:5], 0, v3
	s_and_b64 s[8:9], vcc, s[4:5]
	s_mov_b64 s[4:5], -1
	s_and_saveexec_b64 s[6:7], s[8:9]
; %bb.7:
	v_and_b32_e32 v1, 0x7fffffff, v5
	v_cmp_neq_f32_e32 vcc, 1.0, v4
	v_cmp_ne_u32_e64 s[4:5], 0, v1
	s_or_b64 s[4:5], vcc, s[4:5]
	s_orn2_b64 s[4:5], s[4:5], exec
; %bb.8:
	s_or_b64 exec, exec, s[6:7]
	s_and_saveexec_b64 s[6:7], s[4:5]
	s_cbranch_execz .LBB164_29
; %bb.9:
	s_load_dwordx2 s[14:15], s[0:1], 0x0
	v_lshrrev_b32_e32 v1, 4, v0
	v_lshl_or_b32 v6, s2, 3, v1
	s_waitcnt lgkmcnt(0)
	v_cmp_gt_i32_e32 vcc, s14, v6
	s_and_b64 exec, exec, vcc
	s_cbranch_execz .LBB164_29
; %bb.10:
	s_load_dwordx8 s[4:11], s[0:1], 0x10
	v_ashrrev_i32_e32 v7, 31, v6
	s_cmp_lg_u32 s15, 0
	s_waitcnt lgkmcnt(0)
	v_lshl_add_u64 v[8:9], v[6:7], 2, s[4:5]
	global_load_dwordx2 v[8:9], v[8:9], off
	v_and_b32_e32 v7, 15, v0
	s_waitcnt vmcnt(0)
	v_subrev_u32_e32 v0, s12, v8
	v_subrev_u32_e32 v16, s12, v9
	v_add_u32_e32 v0, v0, v7
	v_cmp_lt_i32_e64 s[2:3], v0, v16
	s_cbranch_scc0 .LBB164_18
; %bb.11:
	v_mov_b32_e32 v11, 0
	v_mov_b32_e32 v10, v11
	;; [unrolled: 1-line block ×4, first 2 shown]
	s_and_saveexec_b64 s[4:5], s[2:3]
	s_cbranch_execz .LBB164_15
; %bb.12:
	v_mov_b32_e32 v13, 0
	v_lshlrev_b32_e32 v12, 3, v0
	s_mov_b64 s[14:15], 0
	v_mov_b32_e32 v14, v0
	v_mov_b32_e32 v8, v13
	;; [unrolled: 1-line block ×5, first 2 shown]
.LBB164_13:                             ; =>This Inner Loop Header: Depth=1
	v_ashrrev_i32_e32 v15, 31, v14
	v_lshl_add_u64 v[18:19], v[14:15], 2, s[6:7]
	global_load_dword v1, v[18:19], off
	v_lshl_add_u64 v[42:43], v[12:13], 3, s[8:9]
	v_mov_b32_e32 v31, v13
	global_load_dwordx4 v[18:21], v[42:43], off offset:32
	global_load_dwordx4 v[22:25], v[42:43], off offset:16
	global_load_dwordx4 v[26:29], v[42:43], off
	v_add_u32_e32 v14, 16, v14
	v_cmp_ge_i32_e32 vcc, v14, v16
	v_add_u32_e32 v12, 0x80, v12
	s_or_b64 s[14:15], vcc, s[14:15]
	s_waitcnt vmcnt(3)
	v_subrev_u32_e32 v1, s12, v1
	v_lshlrev_b32_e32 v30, 2, v1
	v_lshl_add_u64 v[44:45], v[30:31], 3, s[10:11]
	global_load_dwordx4 v[30:33], v[44:45], off offset:16
	global_load_dwordx4 v[34:37], v[44:45], off
	global_load_dwordx4 v[38:41], v[42:43], off offset:48
	s_waitcnt vmcnt(3)
	v_xor_b32_e32 v42, 0x80000000, v29
	v_mov_b32_e32 v43, v28
	v_xor_b32_e32 v44, 0x80000000, v25
	v_mov_b32_e32 v45, v24
	;; [unrolled: 2-line block ×3, first 2 shown]
	s_waitcnt vmcnt(2)
	v_mov_b32_e32 v52, v33
	s_waitcnt vmcnt(1)
	v_pk_fma_f32 v[10:11], v[26:27], v[34:35], v[10:11] op_sel_hi:[1,0,1]
	v_pk_fma_f32 v[8:9], v[28:29], v[34:35], v[8:9] op_sel_hi:[1,0,1]
	v_pk_fma_f32 v[10:11], v[26:27], v[34:35], v[10:11] op_sel:[1,1,0] op_sel_hi:[0,1,1] neg_lo:[1,0,0]
	v_pk_fma_f32 v[8:9], v[42:43], v[34:35], v[8:9] op_sel:[0,1,0]
	v_mov_b32_e32 v50, v37
	v_pk_fma_f32 v[10:11], v[22:23], v[36:37], v[10:11] op_sel_hi:[1,0,1]
	v_pk_fma_f32 v[8:9], v[24:25], v[36:37], v[8:9] op_sel_hi:[1,0,1]
	v_pk_fma_f32 v[10:11], v[22:23], v[50:51], v[10:11] op_sel:[1,0,0] op_sel_hi:[0,0,1] neg_lo:[1,0,0]
	v_pk_fma_f32 v[8:9], v[44:45], v[50:51], v[8:9] op_sel_hi:[1,0,1]
	v_pk_fma_f32 v[10:11], v[18:19], v[30:31], v[10:11] op_sel_hi:[1,0,1]
	;; [unrolled: 1-line block ×3, first 2 shown]
	v_pk_fma_f32 v[10:11], v[18:19], v[30:31], v[10:11] op_sel:[1,1,0] op_sel_hi:[0,1,1] neg_lo:[1,0,0]
	v_pk_fma_f32 v[8:9], v[46:47], v[30:31], v[8:9] op_sel:[0,1,0]
	s_waitcnt vmcnt(0)
	v_xor_b32_e32 v48, 0x80000000, v41
	v_mov_b32_e32 v49, v40
	v_pk_fma_f32 v[10:11], v[38:39], v[32:33], v[10:11] op_sel_hi:[1,0,1]
	v_pk_fma_f32 v[8:9], v[40:41], v[32:33], v[8:9] op_sel_hi:[1,0,1]
	v_pk_fma_f32 v[10:11], v[38:39], v[52:53], v[10:11] op_sel:[1,0,0] op_sel_hi:[0,0,1] neg_lo:[1,0,0]
	v_pk_fma_f32 v[8:9], v[48:49], v[52:53], v[8:9] op_sel_hi:[1,0,1]
	s_andn2_b64 exec, exec, s[14:15]
	s_cbranch_execnz .LBB164_13
; %bb.14:
	s_or_b64 exec, exec, s[14:15]
.LBB164_15:
	s_or_b64 exec, exec, s[4:5]
	s_cbranch_execz .LBB164_19
	s_branch .LBB164_24
.LBB164_16:
	v_mov_b64_e32 v[4:5], s[8:9]
	flat_load_dword v3, v[4:5] offset:4
	s_and_b64 vcc, exec, s[4:5]
	v_mov_b32_e32 v4, s6
	s_cbranch_vccnz .LBB164_4
.LBB164_17:
	v_mov_b64_e32 v[4:5], s[6:7]
	flat_load_dword v4, v[4:5]
	s_and_b64 vcc, exec, s[4:5]
	v_mov_b32_e32 v5, s7
	s_cbranch_vccz .LBB164_5
	s_branch .LBB164_6
.LBB164_18:
                                        ; implicit-def: $vgpr11
                                        ; implicit-def: $vgpr9
.LBB164_19:
	v_mov_b32_e32 v11, 0
	v_mov_b32_e32 v10, v11
	;; [unrolled: 1-line block ×4, first 2 shown]
	s_and_saveexec_b64 s[4:5], s[2:3]
	s_cbranch_execz .LBB164_23
; %bb.20:
	v_mov_b32_e32 v13, 0
	v_lshlrev_b32_e32 v12, 3, v0
	s_mov_b64 s[2:3], 0
	v_mov_b32_e32 v8, v13
	v_mov_b32_e32 v9, v13
	;; [unrolled: 1-line block ×4, first 2 shown]
.LBB164_21:                             ; =>This Inner Loop Header: Depth=1
	v_ashrrev_i32_e32 v1, 31, v0
	v_lshl_add_u64 v[14:15], v[0:1], 2, s[6:7]
	global_load_dword v1, v[14:15], off
	v_lshl_add_u64 v[14:15], v[12:13], 3, s[8:9]
	v_mov_b32_e32 v35, v13
	global_load_dwordx4 v[18:21], v[14:15], off
	global_load_dwordx4 v[22:25], v[14:15], off offset:16
	global_load_dwordx4 v[26:29], v[14:15], off offset:48
	;; [unrolled: 1-line block ×3, first 2 shown]
	v_add_u32_e32 v0, 16, v0
	v_cmp_ge_i32_e32 vcc, v0, v16
	v_add_u32_e32 v12, 0x80, v12
	s_or_b64 s[2:3], vcc, s[2:3]
	s_waitcnt vmcnt(4)
	v_subrev_u32_e32 v1, s12, v1
	v_lshlrev_b32_e32 v34, 2, v1
	v_lshl_add_u64 v[14:15], v[34:35], 3, s[10:11]
	global_load_dwordx4 v[34:37], v[14:15], off
	global_load_dwordx4 v[38:41], v[14:15], off offset:16
	s_waitcnt vmcnt(5)
	v_xor_b32_e32 v14, 0x80000000, v21
	v_mov_b32_e32 v15, v20
	s_waitcnt vmcnt(2)
	v_xor_b32_e32 v44, 0x80000000, v33
	v_mov_b32_e32 v45, v32
	v_xor_b32_e32 v42, 0x80000000, v25
	v_mov_b32_e32 v43, v24
	;; [unrolled: 2-line block ×3, first 2 shown]
	s_waitcnt vmcnt(1)
	v_pk_fma_f32 v[10:11], v[18:19], v[34:35], v[10:11] op_sel_hi:[1,0,1]
	v_pk_fma_f32 v[8:9], v[30:31], v[34:35], v[8:9] op_sel_hi:[1,0,1]
	v_pk_fma_f32 v[10:11], v[18:19], v[34:35], v[10:11] op_sel:[1,1,0] op_sel_hi:[0,1,1] neg_lo:[1,0,0]
	v_pk_fma_f32 v[8:9], v[30:31], v[34:35], v[8:9] op_sel:[1,1,0] op_sel_hi:[0,1,1] neg_lo:[1,0,0]
	v_mov_b32_e32 v48, v37
	v_pk_fma_f32 v[10:11], v[20:21], v[36:37], v[10:11] op_sel_hi:[1,0,1]
	v_pk_fma_f32 v[8:9], v[32:33], v[36:37], v[8:9] op_sel_hi:[1,0,1]
	v_pk_fma_f32 v[10:11], v[14:15], v[48:49], v[10:11] op_sel_hi:[1,0,1]
	v_pk_fma_f32 v[8:9], v[44:45], v[48:49], v[8:9] op_sel_hi:[1,0,1]
	s_waitcnt vmcnt(0)
	v_pk_fma_f32 v[10:11], v[22:23], v[38:39], v[10:11] op_sel_hi:[1,0,1]
	v_pk_fma_f32 v[8:9], v[26:27], v[38:39], v[8:9] op_sel_hi:[1,0,1]
	v_pk_fma_f32 v[10:11], v[22:23], v[38:39], v[10:11] op_sel:[1,1,0] op_sel_hi:[0,1,1] neg_lo:[1,0,0]
	v_pk_fma_f32 v[8:9], v[26:27], v[38:39], v[8:9] op_sel:[1,1,0] op_sel_hi:[0,1,1] neg_lo:[1,0,0]
	v_mov_b32_e32 v50, v41
	v_pk_fma_f32 v[10:11], v[24:25], v[40:41], v[10:11] op_sel_hi:[1,0,1]
	v_pk_fma_f32 v[8:9], v[28:29], v[40:41], v[8:9] op_sel_hi:[1,0,1]
	;; [unrolled: 1-line block ×4, first 2 shown]
	s_andn2_b64 exec, exec, s[2:3]
	s_cbranch_execnz .LBB164_21
; %bb.22:
	s_or_b64 exec, exec, s[2:3]
.LBB164_23:
	s_or_b64 exec, exec, s[4:5]
.LBB164_24:
	v_mov_b32_dpp v12, v8 row_shr:1 row_mask:0xf bank_mask:0xf
	v_add_f32_e32 v8, v8, v12
	v_mov_b32_dpp v0, v10 row_shr:1 row_mask:0xf bank_mask:0xf
	v_add_f32_e32 v0, v10, v0
	v_mov_b32_dpp v12, v8 row_shr:2 row_mask:0xf bank_mask:0xf
	v_add_f32_e32 v8, v8, v12
	v_mov_b32_dpp v10, v11 row_shr:1 row_mask:0xf bank_mask:0xf
	v_add_f32_e32 v10, v11, v10
	v_mov_b32_dpp v12, v8 row_shr:4 row_mask:0xf bank_mask:0xe
	v_add_f32_e32 v13, v8, v12
	v_mov_b32_dpp v8, v9 row_shr:1 row_mask:0xf bank_mask:0xf
	v_add_f32_e32 v8, v9, v8
	v_mov_b32_dpp v1, v0 row_shr:2 row_mask:0xf bank_mask:0xf
	v_mov_b32_dpp v11, v10 row_shr:2 row_mask:0xf bank_mask:0xf
	;; [unrolled: 1-line block ×3, first 2 shown]
	v_add_f32_e32 v0, v0, v1
	v_add_f32_e32 v10, v10, v11
	;; [unrolled: 1-line block ×3, first 2 shown]
	v_mov_b32_dpp v1, v0 row_shr:4 row_mask:0xf bank_mask:0xe
	v_mov_b32_dpp v11, v10 row_shr:4 row_mask:0xf bank_mask:0xe
	;; [unrolled: 1-line block ×3, first 2 shown]
	v_add_f32_e32 v0, v0, v1
	v_add_f32_e32 v10, v10, v11
	;; [unrolled: 1-line block ×3, first 2 shown]
	v_mov_b32_dpp v1, v0 row_shr:8 row_mask:0xf bank_mask:0xc
	v_mov_b32_dpp v11, v10 row_shr:8 row_mask:0xf bank_mask:0xc
	;; [unrolled: 1-line block ×4, first 2 shown]
	v_cmp_eq_u32_e32 vcc, 15, v7
	s_and_b64 exec, exec, vcc
	s_cbranch_execz .LBB164_29
; %bb.25:
	s_load_dwordx2 s[2:3], s[0:1], 0x38
	v_add_f32_e32 v8, v0, v1
	v_and_b32_e32 v1, 0x7fffffff, v4
	v_cmp_eq_u32_e32 vcc, 0, v1
	v_cmp_eq_f32_e64 s[0:1], 0, v5
	v_add_f32_e32 v12, v10, v11
	v_add_f32_e32 v0, v13, v14
	;; [unrolled: 1-line block ×3, first 2 shown]
	s_and_b64 s[0:1], vcc, s[0:1]
	s_and_saveexec_b64 s[4:5], s[0:1]
	s_xor_b64 s[0:1], exec, s[4:5]
	s_cbranch_execz .LBB164_27
; %bb.26:
	v_lshlrev_b32_e32 v4, 1, v6
	v_xor_b32_e32 v14, 0x80000000, v3
	v_ashrrev_i32_e32 v5, 31, v4
	v_mov_b32_e32 v15, v2
	s_waitcnt lgkmcnt(0)
	v_lshl_add_u64 v[16:17], v[4:5], 3, s[2:3]
	v_pk_mul_f32 v[4:5], v[12:13], v[14:15] op_sel_hi:[0,1]
	v_pk_mul_f32 v[6:7], v[10:11], v[14:15] op_sel_hi:[0,1]
	v_pk_fma_f32 v[4:5], v[2:3], v[8:9], v[4:5] op_sel_hi:[1,0,1]
	v_pk_fma_f32 v[6:7], v[2:3], v[0:1], v[6:7] op_sel_hi:[1,0,1]
	global_store_dwordx4 v[16:17], v[4:7], off
                                        ; implicit-def: $vgpr3
                                        ; implicit-def: $vgpr4
                                        ; implicit-def: $vgpr6
                                        ; implicit-def: $vgpr8
                                        ; implicit-def: $vgpr12
                                        ; implicit-def: $vgpr0
                                        ; implicit-def: $vgpr10
.LBB164_27:
	s_andn2_saveexec_b64 s[0:1], s[0:1]
	s_cbranch_execz .LBB164_29
; %bb.28:
	v_lshlrev_b32_e32 v6, 1, v6
	v_ashrrev_i32_e32 v7, 31, v6
	s_waitcnt lgkmcnt(0)
	v_lshl_add_u64 v[6:7], v[6:7], 3, s[2:3]
	global_load_dwordx4 v[14:17], v[6:7], off
	v_xor_b32_e32 v18, 0x80000000, v3
	v_mov_b32_e32 v19, v2
	v_pk_mul_f32 v[12:13], v[12:13], v[18:19] op_sel_hi:[0,1]
	v_pk_mul_f32 v[10:11], v[10:11], v[18:19] op_sel_hi:[0,1]
	v_pk_fma_f32 v[8:9], v[2:3], v[8:9], v[12:13] op_sel_hi:[1,0,1]
	v_pk_fma_f32 v[0:1], v[2:3], v[0:1], v[10:11] op_sel_hi:[1,0,1]
	v_xor_b32_e32 v20, 0x80000000, v5
	v_mov_b32_e32 v21, v4
	s_waitcnt vmcnt(0)
	v_pk_fma_f32 v[2:3], v[4:5], v[14:15], v[8:9] op_sel_hi:[1,0,1]
	v_pk_fma_f32 v[4:5], v[4:5], v[16:17], v[0:1] op_sel_hi:[1,0,1]
	v_mov_b32_e32 v8, v17
	v_pk_fma_f32 v[0:1], v[20:21], v[14:15], v[2:3] op_sel:[0,1,0]
	v_pk_fma_f32 v[2:3], v[20:21], v[8:9], v[4:5] op_sel_hi:[1,0,1]
	global_store_dwordx4 v[6:7], v[0:3], off
.LBB164_29:
	s_endpgm
	.section	.rodata,"a",@progbits
	.p2align	6, 0x0
	.amdhsa_kernel _ZN9rocsparseL19gebsrmvn_2xn_kernelILj128ELj4ELj16E21rocsparse_complex_numIfEEEvi20rocsparse_direction_NS_24const_host_device_scalarIT2_EEPKiS8_PKS5_SA_S6_PS5_21rocsparse_index_base_b
		.amdhsa_group_segment_fixed_size 0
		.amdhsa_private_segment_fixed_size 0
		.amdhsa_kernarg_size 72
		.amdhsa_user_sgpr_count 2
		.amdhsa_user_sgpr_dispatch_ptr 0
		.amdhsa_user_sgpr_queue_ptr 0
		.amdhsa_user_sgpr_kernarg_segment_ptr 1
		.amdhsa_user_sgpr_dispatch_id 0
		.amdhsa_user_sgpr_kernarg_preload_length 0
		.amdhsa_user_sgpr_kernarg_preload_offset 0
		.amdhsa_user_sgpr_private_segment_size 0
		.amdhsa_uses_dynamic_stack 0
		.amdhsa_enable_private_segment 0
		.amdhsa_system_sgpr_workgroup_id_x 1
		.amdhsa_system_sgpr_workgroup_id_y 0
		.amdhsa_system_sgpr_workgroup_id_z 0
		.amdhsa_system_sgpr_workgroup_info 0
		.amdhsa_system_vgpr_workitem_id 0
		.amdhsa_next_free_vgpr 54
		.amdhsa_next_free_sgpr 16
		.amdhsa_accum_offset 56
		.amdhsa_reserve_vcc 1
		.amdhsa_float_round_mode_32 0
		.amdhsa_float_round_mode_16_64 0
		.amdhsa_float_denorm_mode_32 3
		.amdhsa_float_denorm_mode_16_64 3
		.amdhsa_dx10_clamp 1
		.amdhsa_ieee_mode 1
		.amdhsa_fp16_overflow 0
		.amdhsa_tg_split 0
		.amdhsa_exception_fp_ieee_invalid_op 0
		.amdhsa_exception_fp_denorm_src 0
		.amdhsa_exception_fp_ieee_div_zero 0
		.amdhsa_exception_fp_ieee_overflow 0
		.amdhsa_exception_fp_ieee_underflow 0
		.amdhsa_exception_fp_ieee_inexact 0
		.amdhsa_exception_int_div_zero 0
	.end_amdhsa_kernel
	.section	.text._ZN9rocsparseL19gebsrmvn_2xn_kernelILj128ELj4ELj16E21rocsparse_complex_numIfEEEvi20rocsparse_direction_NS_24const_host_device_scalarIT2_EEPKiS8_PKS5_SA_S6_PS5_21rocsparse_index_base_b,"axG",@progbits,_ZN9rocsparseL19gebsrmvn_2xn_kernelILj128ELj4ELj16E21rocsparse_complex_numIfEEEvi20rocsparse_direction_NS_24const_host_device_scalarIT2_EEPKiS8_PKS5_SA_S6_PS5_21rocsparse_index_base_b,comdat
.Lfunc_end164:
	.size	_ZN9rocsparseL19gebsrmvn_2xn_kernelILj128ELj4ELj16E21rocsparse_complex_numIfEEEvi20rocsparse_direction_NS_24const_host_device_scalarIT2_EEPKiS8_PKS5_SA_S6_PS5_21rocsparse_index_base_b, .Lfunc_end164-_ZN9rocsparseL19gebsrmvn_2xn_kernelILj128ELj4ELj16E21rocsparse_complex_numIfEEEvi20rocsparse_direction_NS_24const_host_device_scalarIT2_EEPKiS8_PKS5_SA_S6_PS5_21rocsparse_index_base_b
                                        ; -- End function
	.section	.AMDGPU.csdata,"",@progbits
; Kernel info:
; codeLenInByte = 1612
; NumSgprs: 22
; NumVgprs: 54
; NumAgprs: 0
; TotalNumVgprs: 54
; ScratchSize: 0
; MemoryBound: 0
; FloatMode: 240
; IeeeMode: 1
; LDSByteSize: 0 bytes/workgroup (compile time only)
; SGPRBlocks: 2
; VGPRBlocks: 6
; NumSGPRsForWavesPerEU: 22
; NumVGPRsForWavesPerEU: 54
; AccumOffset: 56
; Occupancy: 8
; WaveLimiterHint : 1
; COMPUTE_PGM_RSRC2:SCRATCH_EN: 0
; COMPUTE_PGM_RSRC2:USER_SGPR: 2
; COMPUTE_PGM_RSRC2:TRAP_HANDLER: 0
; COMPUTE_PGM_RSRC2:TGID_X_EN: 1
; COMPUTE_PGM_RSRC2:TGID_Y_EN: 0
; COMPUTE_PGM_RSRC2:TGID_Z_EN: 0
; COMPUTE_PGM_RSRC2:TIDIG_COMP_CNT: 0
; COMPUTE_PGM_RSRC3_GFX90A:ACCUM_OFFSET: 13
; COMPUTE_PGM_RSRC3_GFX90A:TG_SPLIT: 0
	.section	.text._ZN9rocsparseL19gebsrmvn_2xn_kernelILj128ELj4ELj32E21rocsparse_complex_numIfEEEvi20rocsparse_direction_NS_24const_host_device_scalarIT2_EEPKiS8_PKS5_SA_S6_PS5_21rocsparse_index_base_b,"axG",@progbits,_ZN9rocsparseL19gebsrmvn_2xn_kernelILj128ELj4ELj32E21rocsparse_complex_numIfEEEvi20rocsparse_direction_NS_24const_host_device_scalarIT2_EEPKiS8_PKS5_SA_S6_PS5_21rocsparse_index_base_b,comdat
	.globl	_ZN9rocsparseL19gebsrmvn_2xn_kernelILj128ELj4ELj32E21rocsparse_complex_numIfEEEvi20rocsparse_direction_NS_24const_host_device_scalarIT2_EEPKiS8_PKS5_SA_S6_PS5_21rocsparse_index_base_b ; -- Begin function _ZN9rocsparseL19gebsrmvn_2xn_kernelILj128ELj4ELj32E21rocsparse_complex_numIfEEEvi20rocsparse_direction_NS_24const_host_device_scalarIT2_EEPKiS8_PKS5_SA_S6_PS5_21rocsparse_index_base_b
	.p2align	8
	.type	_ZN9rocsparseL19gebsrmvn_2xn_kernelILj128ELj4ELj32E21rocsparse_complex_numIfEEEvi20rocsparse_direction_NS_24const_host_device_scalarIT2_EEPKiS8_PKS5_SA_S6_PS5_21rocsparse_index_base_b,@function
_ZN9rocsparseL19gebsrmvn_2xn_kernelILj128ELj4ELj32E21rocsparse_complex_numIfEEEvi20rocsparse_direction_NS_24const_host_device_scalarIT2_EEPKiS8_PKS5_SA_S6_PS5_21rocsparse_index_base_b: ; @_ZN9rocsparseL19gebsrmvn_2xn_kernelILj128ELj4ELj32E21rocsparse_complex_numIfEEEvi20rocsparse_direction_NS_24const_host_device_scalarIT2_EEPKiS8_PKS5_SA_S6_PS5_21rocsparse_index_base_b
; %bb.0:
	s_load_dwordx2 s[12:13], s[0:1], 0x40
	s_load_dwordx2 s[8:9], s[0:1], 0x8
	;; [unrolled: 1-line block ×3, first 2 shown]
	s_waitcnt lgkmcnt(0)
	s_bitcmp1_b32 s13, 0
	s_cselect_b64 s[4:5], -1, 0
	s_xor_b64 s[10:11], s[4:5], -1
	s_and_b64 vcc, exec, s[4:5]
	v_mov_b32_e32 v2, s8
	s_cbranch_vccnz .LBB165_2
; %bb.1:
	v_mov_b64_e32 v[2:3], s[8:9]
	flat_load_dword v2, v[2:3]
.LBB165_2:
	v_cndmask_b32_e64 v1, 0, 1, s[10:11]
	v_cmp_ne_u32_e64 s[4:5], 1, v1
	s_andn2_b64 vcc, exec, s[10:11]
	v_mov_b32_e32 v3, s9
	s_cbranch_vccz .LBB165_16
; %bb.3:
	s_and_b64 vcc, exec, s[4:5]
	v_mov_b32_e32 v4, s6
	s_cbranch_vccz .LBB165_17
.LBB165_4:
	s_and_b64 vcc, exec, s[4:5]
	v_mov_b32_e32 v5, s7
	s_cbranch_vccnz .LBB165_6
.LBB165_5:
	v_mov_b64_e32 v[6:7], s[6:7]
	flat_load_dword v5, v[6:7] offset:4
.LBB165_6:
	s_waitcnt vmcnt(0) lgkmcnt(0)
	v_and_b32_e32 v1, 0x7fffffff, v2
	v_cmp_eq_u32_e32 vcc, 0, v1
	v_cmp_eq_f32_e64 s[4:5], 0, v3
	s_and_b64 s[8:9], vcc, s[4:5]
	s_mov_b64 s[4:5], -1
	s_and_saveexec_b64 s[6:7], s[8:9]
; %bb.7:
	v_and_b32_e32 v1, 0x7fffffff, v5
	v_cmp_neq_f32_e32 vcc, 1.0, v4
	v_cmp_ne_u32_e64 s[4:5], 0, v1
	s_or_b64 s[4:5], vcc, s[4:5]
	s_orn2_b64 s[4:5], s[4:5], exec
; %bb.8:
	s_or_b64 exec, exec, s[6:7]
	s_and_saveexec_b64 s[6:7], s[4:5]
	s_cbranch_execz .LBB165_29
; %bb.9:
	s_load_dwordx2 s[14:15], s[0:1], 0x0
	v_lshrrev_b32_e32 v1, 5, v0
	v_lshl_or_b32 v6, s2, 2, v1
	s_waitcnt lgkmcnt(0)
	v_cmp_gt_i32_e32 vcc, s14, v6
	s_and_b64 exec, exec, vcc
	s_cbranch_execz .LBB165_29
; %bb.10:
	s_load_dwordx8 s[4:11], s[0:1], 0x10
	v_ashrrev_i32_e32 v7, 31, v6
	s_cmp_lg_u32 s15, 0
	s_waitcnt lgkmcnt(0)
	v_lshl_add_u64 v[8:9], v[6:7], 2, s[4:5]
	global_load_dwordx2 v[8:9], v[8:9], off
	v_and_b32_e32 v7, 31, v0
	s_waitcnt vmcnt(0)
	v_subrev_u32_e32 v0, s12, v8
	v_subrev_u32_e32 v16, s12, v9
	v_add_u32_e32 v0, v0, v7
	v_cmp_lt_i32_e64 s[2:3], v0, v16
	s_cbranch_scc0 .LBB165_18
; %bb.11:
	v_mov_b32_e32 v11, 0
	v_mov_b32_e32 v10, v11
	;; [unrolled: 1-line block ×4, first 2 shown]
	s_and_saveexec_b64 s[4:5], s[2:3]
	s_cbranch_execz .LBB165_15
; %bb.12:
	v_mov_b32_e32 v13, 0
	v_lshlrev_b32_e32 v12, 3, v0
	s_mov_b64 s[14:15], 0
	v_mov_b32_e32 v14, v0
	v_mov_b32_e32 v8, v13
	;; [unrolled: 1-line block ×5, first 2 shown]
.LBB165_13:                             ; =>This Inner Loop Header: Depth=1
	v_ashrrev_i32_e32 v15, 31, v14
	v_lshl_add_u64 v[18:19], v[14:15], 2, s[6:7]
	global_load_dword v1, v[18:19], off
	v_lshl_add_u64 v[42:43], v[12:13], 3, s[8:9]
	v_mov_b32_e32 v31, v13
	global_load_dwordx4 v[18:21], v[42:43], off offset:32
	global_load_dwordx4 v[22:25], v[42:43], off offset:16
	global_load_dwordx4 v[26:29], v[42:43], off
	v_add_u32_e32 v14, 32, v14
	v_cmp_ge_i32_e32 vcc, v14, v16
	v_add_u32_e32 v12, 0x100, v12
	s_or_b64 s[14:15], vcc, s[14:15]
	s_waitcnt vmcnt(3)
	v_subrev_u32_e32 v1, s12, v1
	v_lshlrev_b32_e32 v30, 2, v1
	v_lshl_add_u64 v[44:45], v[30:31], 3, s[10:11]
	global_load_dwordx4 v[30:33], v[44:45], off offset:16
	global_load_dwordx4 v[34:37], v[44:45], off
	global_load_dwordx4 v[38:41], v[42:43], off offset:48
	s_waitcnt vmcnt(3)
	v_xor_b32_e32 v42, 0x80000000, v29
	v_mov_b32_e32 v43, v28
	v_xor_b32_e32 v44, 0x80000000, v25
	v_mov_b32_e32 v45, v24
	;; [unrolled: 2-line block ×3, first 2 shown]
	s_waitcnt vmcnt(2)
	v_mov_b32_e32 v52, v33
	s_waitcnt vmcnt(1)
	v_pk_fma_f32 v[10:11], v[26:27], v[34:35], v[10:11] op_sel_hi:[1,0,1]
	v_pk_fma_f32 v[8:9], v[28:29], v[34:35], v[8:9] op_sel_hi:[1,0,1]
	v_pk_fma_f32 v[10:11], v[26:27], v[34:35], v[10:11] op_sel:[1,1,0] op_sel_hi:[0,1,1] neg_lo:[1,0,0]
	v_pk_fma_f32 v[8:9], v[42:43], v[34:35], v[8:9] op_sel:[0,1,0]
	v_mov_b32_e32 v50, v37
	v_pk_fma_f32 v[10:11], v[22:23], v[36:37], v[10:11] op_sel_hi:[1,0,1]
	v_pk_fma_f32 v[8:9], v[24:25], v[36:37], v[8:9] op_sel_hi:[1,0,1]
	v_pk_fma_f32 v[10:11], v[22:23], v[50:51], v[10:11] op_sel:[1,0,0] op_sel_hi:[0,0,1] neg_lo:[1,0,0]
	v_pk_fma_f32 v[8:9], v[44:45], v[50:51], v[8:9] op_sel_hi:[1,0,1]
	v_pk_fma_f32 v[10:11], v[18:19], v[30:31], v[10:11] op_sel_hi:[1,0,1]
	;; [unrolled: 1-line block ×3, first 2 shown]
	v_pk_fma_f32 v[10:11], v[18:19], v[30:31], v[10:11] op_sel:[1,1,0] op_sel_hi:[0,1,1] neg_lo:[1,0,0]
	v_pk_fma_f32 v[8:9], v[46:47], v[30:31], v[8:9] op_sel:[0,1,0]
	s_waitcnt vmcnt(0)
	v_xor_b32_e32 v48, 0x80000000, v41
	v_mov_b32_e32 v49, v40
	v_pk_fma_f32 v[10:11], v[38:39], v[32:33], v[10:11] op_sel_hi:[1,0,1]
	v_pk_fma_f32 v[8:9], v[40:41], v[32:33], v[8:9] op_sel_hi:[1,0,1]
	v_pk_fma_f32 v[10:11], v[38:39], v[52:53], v[10:11] op_sel:[1,0,0] op_sel_hi:[0,0,1] neg_lo:[1,0,0]
	v_pk_fma_f32 v[8:9], v[48:49], v[52:53], v[8:9] op_sel_hi:[1,0,1]
	s_andn2_b64 exec, exec, s[14:15]
	s_cbranch_execnz .LBB165_13
; %bb.14:
	s_or_b64 exec, exec, s[14:15]
.LBB165_15:
	s_or_b64 exec, exec, s[4:5]
	s_cbranch_execz .LBB165_19
	s_branch .LBB165_24
.LBB165_16:
	v_mov_b64_e32 v[4:5], s[8:9]
	flat_load_dword v3, v[4:5] offset:4
	s_and_b64 vcc, exec, s[4:5]
	v_mov_b32_e32 v4, s6
	s_cbranch_vccnz .LBB165_4
.LBB165_17:
	v_mov_b64_e32 v[4:5], s[6:7]
	flat_load_dword v4, v[4:5]
	s_and_b64 vcc, exec, s[4:5]
	v_mov_b32_e32 v5, s7
	s_cbranch_vccz .LBB165_5
	s_branch .LBB165_6
.LBB165_18:
                                        ; implicit-def: $vgpr11
                                        ; implicit-def: $vgpr9
.LBB165_19:
	v_mov_b32_e32 v11, 0
	v_mov_b32_e32 v10, v11
	;; [unrolled: 1-line block ×4, first 2 shown]
	s_and_saveexec_b64 s[4:5], s[2:3]
	s_cbranch_execz .LBB165_23
; %bb.20:
	v_mov_b32_e32 v13, 0
	v_lshlrev_b32_e32 v12, 3, v0
	s_mov_b64 s[2:3], 0
	v_mov_b32_e32 v8, v13
	v_mov_b32_e32 v9, v13
	;; [unrolled: 1-line block ×4, first 2 shown]
.LBB165_21:                             ; =>This Inner Loop Header: Depth=1
	v_ashrrev_i32_e32 v1, 31, v0
	v_lshl_add_u64 v[14:15], v[0:1], 2, s[6:7]
	global_load_dword v1, v[14:15], off
	v_lshl_add_u64 v[14:15], v[12:13], 3, s[8:9]
	v_mov_b32_e32 v35, v13
	global_load_dwordx4 v[18:21], v[14:15], off
	global_load_dwordx4 v[22:25], v[14:15], off offset:16
	global_load_dwordx4 v[26:29], v[14:15], off offset:48
	;; [unrolled: 1-line block ×3, first 2 shown]
	v_add_u32_e32 v0, 32, v0
	v_cmp_ge_i32_e32 vcc, v0, v16
	v_add_u32_e32 v12, 0x100, v12
	s_or_b64 s[2:3], vcc, s[2:3]
	s_waitcnt vmcnt(4)
	v_subrev_u32_e32 v1, s12, v1
	v_lshlrev_b32_e32 v34, 2, v1
	v_lshl_add_u64 v[14:15], v[34:35], 3, s[10:11]
	global_load_dwordx4 v[34:37], v[14:15], off
	global_load_dwordx4 v[38:41], v[14:15], off offset:16
	s_waitcnt vmcnt(5)
	v_xor_b32_e32 v14, 0x80000000, v21
	v_mov_b32_e32 v15, v20
	s_waitcnt vmcnt(2)
	v_xor_b32_e32 v44, 0x80000000, v33
	v_mov_b32_e32 v45, v32
	v_xor_b32_e32 v42, 0x80000000, v25
	v_mov_b32_e32 v43, v24
	;; [unrolled: 2-line block ×3, first 2 shown]
	s_waitcnt vmcnt(1)
	v_pk_fma_f32 v[10:11], v[18:19], v[34:35], v[10:11] op_sel_hi:[1,0,1]
	v_pk_fma_f32 v[8:9], v[30:31], v[34:35], v[8:9] op_sel_hi:[1,0,1]
	v_pk_fma_f32 v[10:11], v[18:19], v[34:35], v[10:11] op_sel:[1,1,0] op_sel_hi:[0,1,1] neg_lo:[1,0,0]
	v_pk_fma_f32 v[8:9], v[30:31], v[34:35], v[8:9] op_sel:[1,1,0] op_sel_hi:[0,1,1] neg_lo:[1,0,0]
	v_mov_b32_e32 v48, v37
	v_pk_fma_f32 v[10:11], v[20:21], v[36:37], v[10:11] op_sel_hi:[1,0,1]
	v_pk_fma_f32 v[8:9], v[32:33], v[36:37], v[8:9] op_sel_hi:[1,0,1]
	;; [unrolled: 1-line block ×4, first 2 shown]
	s_waitcnt vmcnt(0)
	v_pk_fma_f32 v[10:11], v[22:23], v[38:39], v[10:11] op_sel_hi:[1,0,1]
	v_pk_fma_f32 v[8:9], v[26:27], v[38:39], v[8:9] op_sel_hi:[1,0,1]
	v_pk_fma_f32 v[10:11], v[22:23], v[38:39], v[10:11] op_sel:[1,1,0] op_sel_hi:[0,1,1] neg_lo:[1,0,0]
	v_pk_fma_f32 v[8:9], v[26:27], v[38:39], v[8:9] op_sel:[1,1,0] op_sel_hi:[0,1,1] neg_lo:[1,0,0]
	v_mov_b32_e32 v50, v41
	v_pk_fma_f32 v[10:11], v[24:25], v[40:41], v[10:11] op_sel_hi:[1,0,1]
	v_pk_fma_f32 v[8:9], v[28:29], v[40:41], v[8:9] op_sel_hi:[1,0,1]
	v_pk_fma_f32 v[10:11], v[42:43], v[50:51], v[10:11] op_sel_hi:[1,0,1]
	v_pk_fma_f32 v[8:9], v[46:47], v[50:51], v[8:9] op_sel_hi:[1,0,1]
	s_andn2_b64 exec, exec, s[2:3]
	s_cbranch_execnz .LBB165_21
; %bb.22:
	s_or_b64 exec, exec, s[2:3]
.LBB165_23:
	s_or_b64 exec, exec, s[4:5]
.LBB165_24:
	v_mov_b32_dpp v12, v8 row_shr:1 row_mask:0xf bank_mask:0xf
	v_add_f32_e32 v8, v8, v12
	v_mov_b32_dpp v0, v10 row_shr:1 row_mask:0xf bank_mask:0xf
	v_add_f32_e32 v0, v10, v0
	;; [unrolled: 2-line block ×5, first 2 shown]
	v_mov_b32_dpp v1, v0 row_shr:2 row_mask:0xf bank_mask:0xf
	v_mov_b32_dpp v11, v10 row_shr:2 row_mask:0xf bank_mask:0xf
	;; [unrolled: 1-line block ×3, first 2 shown]
	v_add_f32_e32 v13, v8, v12
	v_mov_b32_dpp v8, v9 row_shr:1 row_mask:0xf bank_mask:0xf
	v_add_f32_e32 v8, v9, v8
	v_add_f32_e32 v0, v0, v1
	;; [unrolled: 1-line block ×3, first 2 shown]
	v_mov_b32_dpp v9, v8 row_shr:2 row_mask:0xf bank_mask:0xf
	v_add_f32_e32 v8, v8, v9
	v_mov_b32_dpp v1, v0 row_shr:4 row_mask:0xf bank_mask:0xe
	v_mov_b32_dpp v11, v10 row_shr:4 row_mask:0xf bank_mask:0xe
	v_mov_b32_dpp v9, v8 row_shr:4 row_mask:0xf bank_mask:0xe
	v_add_f32_e32 v0, v0, v1
	v_add_f32_e32 v10, v10, v11
	;; [unrolled: 1-line block ×3, first 2 shown]
	v_mov_b32_dpp v1, v0 row_shr:8 row_mask:0xf bank_mask:0xc
	v_mov_b32_dpp v11, v10 row_shr:8 row_mask:0xf bank_mask:0xc
	;; [unrolled: 1-line block ×3, first 2 shown]
	v_add_f32_e32 v0, v0, v1
	v_add_f32_e32 v10, v10, v11
	;; [unrolled: 1-line block ×3, first 2 shown]
	v_mov_b32_dpp v1, v0 row_bcast:15 row_mask:0xa bank_mask:0xf
	v_mov_b32_dpp v11, v10 row_bcast:15 row_mask:0xa bank_mask:0xf
	;; [unrolled: 1-line block ×4, first 2 shown]
	v_cmp_eq_u32_e32 vcc, 31, v7
	s_and_b64 exec, exec, vcc
	s_cbranch_execz .LBB165_29
; %bb.25:
	s_load_dwordx2 s[2:3], s[0:1], 0x38
	v_add_f32_e32 v8, v0, v1
	v_and_b32_e32 v1, 0x7fffffff, v4
	v_cmp_eq_u32_e32 vcc, 0, v1
	v_cmp_eq_f32_e64 s[0:1], 0, v5
	v_add_f32_e32 v12, v10, v11
	v_add_f32_e32 v0, v13, v14
	;; [unrolled: 1-line block ×3, first 2 shown]
	s_and_b64 s[0:1], vcc, s[0:1]
	s_and_saveexec_b64 s[4:5], s[0:1]
	s_xor_b64 s[0:1], exec, s[4:5]
	s_cbranch_execz .LBB165_27
; %bb.26:
	v_lshlrev_b32_e32 v4, 1, v6
	v_xor_b32_e32 v14, 0x80000000, v3
	v_ashrrev_i32_e32 v5, 31, v4
	v_mov_b32_e32 v15, v2
	s_waitcnt lgkmcnt(0)
	v_lshl_add_u64 v[16:17], v[4:5], 3, s[2:3]
	v_pk_mul_f32 v[4:5], v[12:13], v[14:15] op_sel_hi:[0,1]
	v_pk_mul_f32 v[6:7], v[10:11], v[14:15] op_sel_hi:[0,1]
	v_pk_fma_f32 v[4:5], v[2:3], v[8:9], v[4:5] op_sel_hi:[1,0,1]
	v_pk_fma_f32 v[6:7], v[2:3], v[0:1], v[6:7] op_sel_hi:[1,0,1]
	global_store_dwordx4 v[16:17], v[4:7], off
                                        ; implicit-def: $vgpr3
                                        ; implicit-def: $vgpr4
                                        ; implicit-def: $vgpr6
                                        ; implicit-def: $vgpr8
                                        ; implicit-def: $vgpr12
                                        ; implicit-def: $vgpr0
                                        ; implicit-def: $vgpr10
.LBB165_27:
	s_andn2_saveexec_b64 s[0:1], s[0:1]
	s_cbranch_execz .LBB165_29
; %bb.28:
	v_lshlrev_b32_e32 v6, 1, v6
	v_ashrrev_i32_e32 v7, 31, v6
	s_waitcnt lgkmcnt(0)
	v_lshl_add_u64 v[6:7], v[6:7], 3, s[2:3]
	global_load_dwordx4 v[14:17], v[6:7], off
	v_xor_b32_e32 v18, 0x80000000, v3
	v_mov_b32_e32 v19, v2
	v_pk_mul_f32 v[12:13], v[12:13], v[18:19] op_sel_hi:[0,1]
	v_pk_mul_f32 v[10:11], v[10:11], v[18:19] op_sel_hi:[0,1]
	v_pk_fma_f32 v[8:9], v[2:3], v[8:9], v[12:13] op_sel_hi:[1,0,1]
	v_pk_fma_f32 v[0:1], v[2:3], v[0:1], v[10:11] op_sel_hi:[1,0,1]
	v_xor_b32_e32 v20, 0x80000000, v5
	v_mov_b32_e32 v21, v4
	s_waitcnt vmcnt(0)
	v_pk_fma_f32 v[2:3], v[4:5], v[14:15], v[8:9] op_sel_hi:[1,0,1]
	v_pk_fma_f32 v[4:5], v[4:5], v[16:17], v[0:1] op_sel_hi:[1,0,1]
	v_mov_b32_e32 v8, v17
	v_pk_fma_f32 v[0:1], v[20:21], v[14:15], v[2:3] op_sel:[0,1,0]
	v_pk_fma_f32 v[2:3], v[20:21], v[8:9], v[4:5] op_sel_hi:[1,0,1]
	global_store_dwordx4 v[6:7], v[0:3], off
.LBB165_29:
	s_endpgm
	.section	.rodata,"a",@progbits
	.p2align	6, 0x0
	.amdhsa_kernel _ZN9rocsparseL19gebsrmvn_2xn_kernelILj128ELj4ELj32E21rocsparse_complex_numIfEEEvi20rocsparse_direction_NS_24const_host_device_scalarIT2_EEPKiS8_PKS5_SA_S6_PS5_21rocsparse_index_base_b
		.amdhsa_group_segment_fixed_size 0
		.amdhsa_private_segment_fixed_size 0
		.amdhsa_kernarg_size 72
		.amdhsa_user_sgpr_count 2
		.amdhsa_user_sgpr_dispatch_ptr 0
		.amdhsa_user_sgpr_queue_ptr 0
		.amdhsa_user_sgpr_kernarg_segment_ptr 1
		.amdhsa_user_sgpr_dispatch_id 0
		.amdhsa_user_sgpr_kernarg_preload_length 0
		.amdhsa_user_sgpr_kernarg_preload_offset 0
		.amdhsa_user_sgpr_private_segment_size 0
		.amdhsa_uses_dynamic_stack 0
		.amdhsa_enable_private_segment 0
		.amdhsa_system_sgpr_workgroup_id_x 1
		.amdhsa_system_sgpr_workgroup_id_y 0
		.amdhsa_system_sgpr_workgroup_id_z 0
		.amdhsa_system_sgpr_workgroup_info 0
		.amdhsa_system_vgpr_workitem_id 0
		.amdhsa_next_free_vgpr 54
		.amdhsa_next_free_sgpr 16
		.amdhsa_accum_offset 56
		.amdhsa_reserve_vcc 1
		.amdhsa_float_round_mode_32 0
		.amdhsa_float_round_mode_16_64 0
		.amdhsa_float_denorm_mode_32 3
		.amdhsa_float_denorm_mode_16_64 3
		.amdhsa_dx10_clamp 1
		.amdhsa_ieee_mode 1
		.amdhsa_fp16_overflow 0
		.amdhsa_tg_split 0
		.amdhsa_exception_fp_ieee_invalid_op 0
		.amdhsa_exception_fp_denorm_src 0
		.amdhsa_exception_fp_ieee_div_zero 0
		.amdhsa_exception_fp_ieee_overflow 0
		.amdhsa_exception_fp_ieee_underflow 0
		.amdhsa_exception_fp_ieee_inexact 0
		.amdhsa_exception_int_div_zero 0
	.end_amdhsa_kernel
	.section	.text._ZN9rocsparseL19gebsrmvn_2xn_kernelILj128ELj4ELj32E21rocsparse_complex_numIfEEEvi20rocsparse_direction_NS_24const_host_device_scalarIT2_EEPKiS8_PKS5_SA_S6_PS5_21rocsparse_index_base_b,"axG",@progbits,_ZN9rocsparseL19gebsrmvn_2xn_kernelILj128ELj4ELj32E21rocsparse_complex_numIfEEEvi20rocsparse_direction_NS_24const_host_device_scalarIT2_EEPKiS8_PKS5_SA_S6_PS5_21rocsparse_index_base_b,comdat
.Lfunc_end165:
	.size	_ZN9rocsparseL19gebsrmvn_2xn_kernelILj128ELj4ELj32E21rocsparse_complex_numIfEEEvi20rocsparse_direction_NS_24const_host_device_scalarIT2_EEPKiS8_PKS5_SA_S6_PS5_21rocsparse_index_base_b, .Lfunc_end165-_ZN9rocsparseL19gebsrmvn_2xn_kernelILj128ELj4ELj32E21rocsparse_complex_numIfEEEvi20rocsparse_direction_NS_24const_host_device_scalarIT2_EEPKiS8_PKS5_SA_S6_PS5_21rocsparse_index_base_b
                                        ; -- End function
	.section	.AMDGPU.csdata,"",@progbits
; Kernel info:
; codeLenInByte = 1660
; NumSgprs: 22
; NumVgprs: 54
; NumAgprs: 0
; TotalNumVgprs: 54
; ScratchSize: 0
; MemoryBound: 0
; FloatMode: 240
; IeeeMode: 1
; LDSByteSize: 0 bytes/workgroup (compile time only)
; SGPRBlocks: 2
; VGPRBlocks: 6
; NumSGPRsForWavesPerEU: 22
; NumVGPRsForWavesPerEU: 54
; AccumOffset: 56
; Occupancy: 8
; WaveLimiterHint : 1
; COMPUTE_PGM_RSRC2:SCRATCH_EN: 0
; COMPUTE_PGM_RSRC2:USER_SGPR: 2
; COMPUTE_PGM_RSRC2:TRAP_HANDLER: 0
; COMPUTE_PGM_RSRC2:TGID_X_EN: 1
; COMPUTE_PGM_RSRC2:TGID_Y_EN: 0
; COMPUTE_PGM_RSRC2:TGID_Z_EN: 0
; COMPUTE_PGM_RSRC2:TIDIG_COMP_CNT: 0
; COMPUTE_PGM_RSRC3_GFX90A:ACCUM_OFFSET: 13
; COMPUTE_PGM_RSRC3_GFX90A:TG_SPLIT: 0
	.section	.text._ZN9rocsparseL19gebsrmvn_2xn_kernelILj128ELj4ELj64E21rocsparse_complex_numIfEEEvi20rocsparse_direction_NS_24const_host_device_scalarIT2_EEPKiS8_PKS5_SA_S6_PS5_21rocsparse_index_base_b,"axG",@progbits,_ZN9rocsparseL19gebsrmvn_2xn_kernelILj128ELj4ELj64E21rocsparse_complex_numIfEEEvi20rocsparse_direction_NS_24const_host_device_scalarIT2_EEPKiS8_PKS5_SA_S6_PS5_21rocsparse_index_base_b,comdat
	.globl	_ZN9rocsparseL19gebsrmvn_2xn_kernelILj128ELj4ELj64E21rocsparse_complex_numIfEEEvi20rocsparse_direction_NS_24const_host_device_scalarIT2_EEPKiS8_PKS5_SA_S6_PS5_21rocsparse_index_base_b ; -- Begin function _ZN9rocsparseL19gebsrmvn_2xn_kernelILj128ELj4ELj64E21rocsparse_complex_numIfEEEvi20rocsparse_direction_NS_24const_host_device_scalarIT2_EEPKiS8_PKS5_SA_S6_PS5_21rocsparse_index_base_b
	.p2align	8
	.type	_ZN9rocsparseL19gebsrmvn_2xn_kernelILj128ELj4ELj64E21rocsparse_complex_numIfEEEvi20rocsparse_direction_NS_24const_host_device_scalarIT2_EEPKiS8_PKS5_SA_S6_PS5_21rocsparse_index_base_b,@function
_ZN9rocsparseL19gebsrmvn_2xn_kernelILj128ELj4ELj64E21rocsparse_complex_numIfEEEvi20rocsparse_direction_NS_24const_host_device_scalarIT2_EEPKiS8_PKS5_SA_S6_PS5_21rocsparse_index_base_b: ; @_ZN9rocsparseL19gebsrmvn_2xn_kernelILj128ELj4ELj64E21rocsparse_complex_numIfEEEvi20rocsparse_direction_NS_24const_host_device_scalarIT2_EEPKiS8_PKS5_SA_S6_PS5_21rocsparse_index_base_b
; %bb.0:
	s_load_dwordx2 s[12:13], s[0:1], 0x40
	s_load_dwordx2 s[8:9], s[0:1], 0x8
	;; [unrolled: 1-line block ×3, first 2 shown]
	s_waitcnt lgkmcnt(0)
	s_bitcmp1_b32 s13, 0
	s_cselect_b64 s[4:5], -1, 0
	s_xor_b64 s[10:11], s[4:5], -1
	s_and_b64 vcc, exec, s[4:5]
	v_mov_b32_e32 v2, s8
	s_cbranch_vccnz .LBB166_2
; %bb.1:
	v_mov_b64_e32 v[2:3], s[8:9]
	flat_load_dword v2, v[2:3]
.LBB166_2:
	v_cndmask_b32_e64 v1, 0, 1, s[10:11]
	v_cmp_ne_u32_e64 s[4:5], 1, v1
	s_andn2_b64 vcc, exec, s[10:11]
	v_mov_b32_e32 v3, s9
	s_cbranch_vccz .LBB166_16
; %bb.3:
	s_and_b64 vcc, exec, s[4:5]
	v_mov_b32_e32 v4, s6
	s_cbranch_vccz .LBB166_17
.LBB166_4:
	s_and_b64 vcc, exec, s[4:5]
	v_mov_b32_e32 v5, s7
	s_cbranch_vccnz .LBB166_6
.LBB166_5:
	v_mov_b64_e32 v[6:7], s[6:7]
	flat_load_dword v5, v[6:7] offset:4
.LBB166_6:
	s_waitcnt vmcnt(0) lgkmcnt(0)
	v_and_b32_e32 v1, 0x7fffffff, v2
	v_cmp_eq_u32_e32 vcc, 0, v1
	v_cmp_eq_f32_e64 s[4:5], 0, v3
	s_and_b64 s[8:9], vcc, s[4:5]
	s_mov_b64 s[4:5], -1
	s_and_saveexec_b64 s[6:7], s[8:9]
; %bb.7:
	v_and_b32_e32 v1, 0x7fffffff, v5
	v_cmp_neq_f32_e32 vcc, 1.0, v4
	v_cmp_ne_u32_e64 s[4:5], 0, v1
	s_or_b64 s[4:5], vcc, s[4:5]
	s_orn2_b64 s[4:5], s[4:5], exec
; %bb.8:
	s_or_b64 exec, exec, s[6:7]
	s_and_saveexec_b64 s[6:7], s[4:5]
	s_cbranch_execz .LBB166_29
; %bb.9:
	s_load_dwordx2 s[14:15], s[0:1], 0x0
	v_lshrrev_b32_e32 v1, 6, v0
	v_lshl_or_b32 v6, s2, 1, v1
	s_waitcnt lgkmcnt(0)
	v_cmp_gt_i32_e32 vcc, s14, v6
	s_and_b64 exec, exec, vcc
	s_cbranch_execz .LBB166_29
; %bb.10:
	s_load_dwordx8 s[4:11], s[0:1], 0x10
	v_ashrrev_i32_e32 v7, 31, v6
	s_cmp_lg_u32 s15, 0
	s_waitcnt lgkmcnt(0)
	v_lshl_add_u64 v[8:9], v[6:7], 2, s[4:5]
	global_load_dwordx2 v[8:9], v[8:9], off
	v_and_b32_e32 v7, 63, v0
	s_waitcnt vmcnt(0)
	v_subrev_u32_e32 v0, s12, v8
	v_subrev_u32_e32 v16, s12, v9
	v_add_u32_e32 v0, v0, v7
	v_cmp_lt_i32_e64 s[2:3], v0, v16
	s_cbranch_scc0 .LBB166_18
; %bb.11:
	v_mov_b32_e32 v11, 0
	v_mov_b32_e32 v10, v11
	;; [unrolled: 1-line block ×4, first 2 shown]
	s_and_saveexec_b64 s[4:5], s[2:3]
	s_cbranch_execz .LBB166_15
; %bb.12:
	v_mov_b32_e32 v13, 0
	v_lshlrev_b32_e32 v12, 3, v0
	s_mov_b64 s[14:15], 0
	v_mov_b32_e32 v14, v0
	v_mov_b32_e32 v8, v13
	;; [unrolled: 1-line block ×5, first 2 shown]
.LBB166_13:                             ; =>This Inner Loop Header: Depth=1
	v_ashrrev_i32_e32 v15, 31, v14
	v_lshl_add_u64 v[18:19], v[14:15], 2, s[6:7]
	global_load_dword v1, v[18:19], off
	v_lshl_add_u64 v[42:43], v[12:13], 3, s[8:9]
	v_mov_b32_e32 v31, v13
	global_load_dwordx4 v[18:21], v[42:43], off offset:32
	global_load_dwordx4 v[22:25], v[42:43], off offset:16
	global_load_dwordx4 v[26:29], v[42:43], off
	v_add_u32_e32 v14, 64, v14
	v_cmp_ge_i32_e32 vcc, v14, v16
	v_add_u32_e32 v12, 0x200, v12
	s_or_b64 s[14:15], vcc, s[14:15]
	s_waitcnt vmcnt(3)
	v_subrev_u32_e32 v1, s12, v1
	v_lshlrev_b32_e32 v30, 2, v1
	v_lshl_add_u64 v[44:45], v[30:31], 3, s[10:11]
	global_load_dwordx4 v[30:33], v[44:45], off offset:16
	global_load_dwordx4 v[34:37], v[44:45], off
	global_load_dwordx4 v[38:41], v[42:43], off offset:48
	s_waitcnt vmcnt(3)
	v_xor_b32_e32 v42, 0x80000000, v29
	v_mov_b32_e32 v43, v28
	v_xor_b32_e32 v44, 0x80000000, v25
	v_mov_b32_e32 v45, v24
	;; [unrolled: 2-line block ×3, first 2 shown]
	s_waitcnt vmcnt(2)
	v_mov_b32_e32 v52, v33
	s_waitcnt vmcnt(1)
	v_pk_fma_f32 v[10:11], v[26:27], v[34:35], v[10:11] op_sel_hi:[1,0,1]
	v_pk_fma_f32 v[8:9], v[28:29], v[34:35], v[8:9] op_sel_hi:[1,0,1]
	v_pk_fma_f32 v[10:11], v[26:27], v[34:35], v[10:11] op_sel:[1,1,0] op_sel_hi:[0,1,1] neg_lo:[1,0,0]
	v_pk_fma_f32 v[8:9], v[42:43], v[34:35], v[8:9] op_sel:[0,1,0]
	v_mov_b32_e32 v50, v37
	v_pk_fma_f32 v[10:11], v[22:23], v[36:37], v[10:11] op_sel_hi:[1,0,1]
	v_pk_fma_f32 v[8:9], v[24:25], v[36:37], v[8:9] op_sel_hi:[1,0,1]
	v_pk_fma_f32 v[10:11], v[22:23], v[50:51], v[10:11] op_sel:[1,0,0] op_sel_hi:[0,0,1] neg_lo:[1,0,0]
	v_pk_fma_f32 v[8:9], v[44:45], v[50:51], v[8:9] op_sel_hi:[1,0,1]
	v_pk_fma_f32 v[10:11], v[18:19], v[30:31], v[10:11] op_sel_hi:[1,0,1]
	;; [unrolled: 1-line block ×3, first 2 shown]
	v_pk_fma_f32 v[10:11], v[18:19], v[30:31], v[10:11] op_sel:[1,1,0] op_sel_hi:[0,1,1] neg_lo:[1,0,0]
	v_pk_fma_f32 v[8:9], v[46:47], v[30:31], v[8:9] op_sel:[0,1,0]
	s_waitcnt vmcnt(0)
	v_xor_b32_e32 v48, 0x80000000, v41
	v_mov_b32_e32 v49, v40
	v_pk_fma_f32 v[10:11], v[38:39], v[32:33], v[10:11] op_sel_hi:[1,0,1]
	v_pk_fma_f32 v[8:9], v[40:41], v[32:33], v[8:9] op_sel_hi:[1,0,1]
	v_pk_fma_f32 v[10:11], v[38:39], v[52:53], v[10:11] op_sel:[1,0,0] op_sel_hi:[0,0,1] neg_lo:[1,0,0]
	v_pk_fma_f32 v[8:9], v[48:49], v[52:53], v[8:9] op_sel_hi:[1,0,1]
	s_andn2_b64 exec, exec, s[14:15]
	s_cbranch_execnz .LBB166_13
; %bb.14:
	s_or_b64 exec, exec, s[14:15]
.LBB166_15:
	s_or_b64 exec, exec, s[4:5]
	s_cbranch_execz .LBB166_19
	s_branch .LBB166_24
.LBB166_16:
	v_mov_b64_e32 v[4:5], s[8:9]
	flat_load_dword v3, v[4:5] offset:4
	s_and_b64 vcc, exec, s[4:5]
	v_mov_b32_e32 v4, s6
	s_cbranch_vccnz .LBB166_4
.LBB166_17:
	v_mov_b64_e32 v[4:5], s[6:7]
	flat_load_dword v4, v[4:5]
	s_and_b64 vcc, exec, s[4:5]
	v_mov_b32_e32 v5, s7
	s_cbranch_vccz .LBB166_5
	s_branch .LBB166_6
.LBB166_18:
                                        ; implicit-def: $vgpr11
                                        ; implicit-def: $vgpr9
.LBB166_19:
	v_mov_b32_e32 v11, 0
	v_mov_b32_e32 v10, v11
	;; [unrolled: 1-line block ×4, first 2 shown]
	s_and_saveexec_b64 s[4:5], s[2:3]
	s_cbranch_execz .LBB166_23
; %bb.20:
	v_mov_b32_e32 v13, 0
	v_lshlrev_b32_e32 v12, 3, v0
	s_mov_b64 s[2:3], 0
	v_mov_b32_e32 v8, v13
	v_mov_b32_e32 v9, v13
	;; [unrolled: 1-line block ×4, first 2 shown]
.LBB166_21:                             ; =>This Inner Loop Header: Depth=1
	v_ashrrev_i32_e32 v1, 31, v0
	v_lshl_add_u64 v[14:15], v[0:1], 2, s[6:7]
	global_load_dword v1, v[14:15], off
	v_lshl_add_u64 v[14:15], v[12:13], 3, s[8:9]
	v_mov_b32_e32 v35, v13
	global_load_dwordx4 v[18:21], v[14:15], off
	global_load_dwordx4 v[22:25], v[14:15], off offset:16
	global_load_dwordx4 v[26:29], v[14:15], off offset:48
	;; [unrolled: 1-line block ×3, first 2 shown]
	v_add_u32_e32 v0, 64, v0
	v_cmp_ge_i32_e32 vcc, v0, v16
	v_add_u32_e32 v12, 0x200, v12
	s_or_b64 s[2:3], vcc, s[2:3]
	s_waitcnt vmcnt(4)
	v_subrev_u32_e32 v1, s12, v1
	v_lshlrev_b32_e32 v34, 2, v1
	v_lshl_add_u64 v[14:15], v[34:35], 3, s[10:11]
	global_load_dwordx4 v[34:37], v[14:15], off
	global_load_dwordx4 v[38:41], v[14:15], off offset:16
	s_waitcnt vmcnt(5)
	v_xor_b32_e32 v14, 0x80000000, v21
	v_mov_b32_e32 v15, v20
	s_waitcnt vmcnt(2)
	v_xor_b32_e32 v44, 0x80000000, v33
	v_mov_b32_e32 v45, v32
	v_xor_b32_e32 v42, 0x80000000, v25
	v_mov_b32_e32 v43, v24
	;; [unrolled: 2-line block ×3, first 2 shown]
	s_waitcnt vmcnt(1)
	v_pk_fma_f32 v[10:11], v[18:19], v[34:35], v[10:11] op_sel_hi:[1,0,1]
	v_pk_fma_f32 v[8:9], v[30:31], v[34:35], v[8:9] op_sel_hi:[1,0,1]
	v_pk_fma_f32 v[10:11], v[18:19], v[34:35], v[10:11] op_sel:[1,1,0] op_sel_hi:[0,1,1] neg_lo:[1,0,0]
	v_pk_fma_f32 v[8:9], v[30:31], v[34:35], v[8:9] op_sel:[1,1,0] op_sel_hi:[0,1,1] neg_lo:[1,0,0]
	v_mov_b32_e32 v48, v37
	v_pk_fma_f32 v[10:11], v[20:21], v[36:37], v[10:11] op_sel_hi:[1,0,1]
	v_pk_fma_f32 v[8:9], v[32:33], v[36:37], v[8:9] op_sel_hi:[1,0,1]
	;; [unrolled: 1-line block ×4, first 2 shown]
	s_waitcnt vmcnt(0)
	v_pk_fma_f32 v[10:11], v[22:23], v[38:39], v[10:11] op_sel_hi:[1,0,1]
	v_pk_fma_f32 v[8:9], v[26:27], v[38:39], v[8:9] op_sel_hi:[1,0,1]
	v_pk_fma_f32 v[10:11], v[22:23], v[38:39], v[10:11] op_sel:[1,1,0] op_sel_hi:[0,1,1] neg_lo:[1,0,0]
	v_pk_fma_f32 v[8:9], v[26:27], v[38:39], v[8:9] op_sel:[1,1,0] op_sel_hi:[0,1,1] neg_lo:[1,0,0]
	v_mov_b32_e32 v50, v41
	v_pk_fma_f32 v[10:11], v[24:25], v[40:41], v[10:11] op_sel_hi:[1,0,1]
	v_pk_fma_f32 v[8:9], v[28:29], v[40:41], v[8:9] op_sel_hi:[1,0,1]
	;; [unrolled: 1-line block ×4, first 2 shown]
	s_andn2_b64 exec, exec, s[2:3]
	s_cbranch_execnz .LBB166_21
; %bb.22:
	s_or_b64 exec, exec, s[2:3]
.LBB166_23:
	s_or_b64 exec, exec, s[4:5]
.LBB166_24:
	v_mov_b32_dpp v12, v8 row_shr:1 row_mask:0xf bank_mask:0xf
	v_add_f32_e32 v8, v8, v12
	v_mov_b32_dpp v0, v10 row_shr:1 row_mask:0xf bank_mask:0xf
	v_add_f32_e32 v0, v10, v0
	v_mov_b32_dpp v12, v8 row_shr:2 row_mask:0xf bank_mask:0xf
	v_add_f32_e32 v8, v8, v12
	v_mov_b32_dpp v10, v11 row_shr:1 row_mask:0xf bank_mask:0xf
	v_add_f32_e32 v10, v11, v10
	v_mov_b32_dpp v12, v8 row_shr:4 row_mask:0xf bank_mask:0xe
	v_add_f32_e32 v8, v8, v12
	v_mov_b32_dpp v1, v0 row_shr:2 row_mask:0xf bank_mask:0xf
	v_mov_b32_dpp v11, v10 row_shr:2 row_mask:0xf bank_mask:0xf
	;; [unrolled: 1-line block ×3, first 2 shown]
	v_add_f32_e32 v8, v8, v12
	v_add_f32_e32 v0, v0, v1
	;; [unrolled: 1-line block ×3, first 2 shown]
	v_mov_b32_dpp v12, v8 row_bcast:15 row_mask:0xa bank_mask:0xf
	v_add_f32_e32 v13, v8, v12
	v_mov_b32_dpp v8, v9 row_shr:1 row_mask:0xf bank_mask:0xf
	v_add_f32_e32 v8, v9, v8
	v_mov_b32_dpp v1, v0 row_shr:4 row_mask:0xf bank_mask:0xe
	v_mov_b32_dpp v11, v10 row_shr:4 row_mask:0xf bank_mask:0xe
	v_mov_b32_dpp v9, v8 row_shr:2 row_mask:0xf bank_mask:0xf
	v_add_f32_e32 v8, v8, v9
	v_add_f32_e32 v0, v0, v1
	;; [unrolled: 1-line block ×3, first 2 shown]
	v_mov_b32_dpp v9, v8 row_shr:4 row_mask:0xf bank_mask:0xe
	v_add_f32_e32 v8, v8, v9
	v_mov_b32_dpp v1, v0 row_shr:8 row_mask:0xf bank_mask:0xc
	v_mov_b32_dpp v11, v10 row_shr:8 row_mask:0xf bank_mask:0xc
	;; [unrolled: 1-line block ×3, first 2 shown]
	v_add_f32_e32 v0, v0, v1
	v_add_f32_e32 v10, v10, v11
	;; [unrolled: 1-line block ×3, first 2 shown]
	v_mov_b32_dpp v1, v0 row_bcast:15 row_mask:0xa bank_mask:0xf
	v_mov_b32_dpp v11, v10 row_bcast:15 row_mask:0xa bank_mask:0xf
	;; [unrolled: 1-line block ×3, first 2 shown]
	v_add_f32_e32 v0, v0, v1
	v_add_f32_e32 v10, v10, v11
	;; [unrolled: 1-line block ×3, first 2 shown]
	v_mov_b32_dpp v1, v0 row_bcast:31 row_mask:0xc bank_mask:0xf
	v_mov_b32_dpp v11, v10 row_bcast:31 row_mask:0xc bank_mask:0xf
	;; [unrolled: 1-line block ×4, first 2 shown]
	v_cmp_eq_u32_e32 vcc, 63, v7
	s_and_b64 exec, exec, vcc
	s_cbranch_execz .LBB166_29
; %bb.25:
	s_load_dwordx2 s[2:3], s[0:1], 0x38
	v_add_f32_e32 v8, v0, v1
	v_and_b32_e32 v1, 0x7fffffff, v4
	v_cmp_eq_u32_e32 vcc, 0, v1
	v_cmp_eq_f32_e64 s[0:1], 0, v5
	v_add_f32_e32 v12, v10, v11
	v_add_f32_e32 v0, v13, v14
	;; [unrolled: 1-line block ×3, first 2 shown]
	s_and_b64 s[0:1], vcc, s[0:1]
	s_and_saveexec_b64 s[4:5], s[0:1]
	s_xor_b64 s[0:1], exec, s[4:5]
	s_cbranch_execz .LBB166_27
; %bb.26:
	v_lshlrev_b32_e32 v4, 1, v6
	v_xor_b32_e32 v14, 0x80000000, v3
	v_ashrrev_i32_e32 v5, 31, v4
	v_mov_b32_e32 v15, v2
	s_waitcnt lgkmcnt(0)
	v_lshl_add_u64 v[16:17], v[4:5], 3, s[2:3]
	v_pk_mul_f32 v[4:5], v[12:13], v[14:15] op_sel_hi:[0,1]
	v_pk_mul_f32 v[6:7], v[10:11], v[14:15] op_sel_hi:[0,1]
	v_pk_fma_f32 v[4:5], v[2:3], v[8:9], v[4:5] op_sel_hi:[1,0,1]
	v_pk_fma_f32 v[6:7], v[2:3], v[0:1], v[6:7] op_sel_hi:[1,0,1]
	global_store_dwordx4 v[16:17], v[4:7], off
                                        ; implicit-def: $vgpr3
                                        ; implicit-def: $vgpr4
                                        ; implicit-def: $vgpr6
                                        ; implicit-def: $vgpr8
                                        ; implicit-def: $vgpr12
                                        ; implicit-def: $vgpr0
                                        ; implicit-def: $vgpr10
.LBB166_27:
	s_andn2_saveexec_b64 s[0:1], s[0:1]
	s_cbranch_execz .LBB166_29
; %bb.28:
	v_lshlrev_b32_e32 v6, 1, v6
	v_ashrrev_i32_e32 v7, 31, v6
	s_waitcnt lgkmcnt(0)
	v_lshl_add_u64 v[6:7], v[6:7], 3, s[2:3]
	global_load_dwordx4 v[14:17], v[6:7], off
	v_xor_b32_e32 v18, 0x80000000, v3
	v_mov_b32_e32 v19, v2
	v_pk_mul_f32 v[12:13], v[12:13], v[18:19] op_sel_hi:[0,1]
	v_pk_mul_f32 v[10:11], v[10:11], v[18:19] op_sel_hi:[0,1]
	v_pk_fma_f32 v[8:9], v[2:3], v[8:9], v[12:13] op_sel_hi:[1,0,1]
	v_pk_fma_f32 v[0:1], v[2:3], v[0:1], v[10:11] op_sel_hi:[1,0,1]
	v_xor_b32_e32 v20, 0x80000000, v5
	v_mov_b32_e32 v21, v4
	s_waitcnt vmcnt(0)
	v_pk_fma_f32 v[2:3], v[4:5], v[14:15], v[8:9] op_sel_hi:[1,0,1]
	v_pk_fma_f32 v[4:5], v[4:5], v[16:17], v[0:1] op_sel_hi:[1,0,1]
	v_mov_b32_e32 v8, v17
	v_pk_fma_f32 v[0:1], v[20:21], v[14:15], v[2:3] op_sel:[0,1,0]
	v_pk_fma_f32 v[2:3], v[20:21], v[8:9], v[4:5] op_sel_hi:[1,0,1]
	global_store_dwordx4 v[6:7], v[0:3], off
.LBB166_29:
	s_endpgm
	.section	.rodata,"a",@progbits
	.p2align	6, 0x0
	.amdhsa_kernel _ZN9rocsparseL19gebsrmvn_2xn_kernelILj128ELj4ELj64E21rocsparse_complex_numIfEEEvi20rocsparse_direction_NS_24const_host_device_scalarIT2_EEPKiS8_PKS5_SA_S6_PS5_21rocsparse_index_base_b
		.amdhsa_group_segment_fixed_size 0
		.amdhsa_private_segment_fixed_size 0
		.amdhsa_kernarg_size 72
		.amdhsa_user_sgpr_count 2
		.amdhsa_user_sgpr_dispatch_ptr 0
		.amdhsa_user_sgpr_queue_ptr 0
		.amdhsa_user_sgpr_kernarg_segment_ptr 1
		.amdhsa_user_sgpr_dispatch_id 0
		.amdhsa_user_sgpr_kernarg_preload_length 0
		.amdhsa_user_sgpr_kernarg_preload_offset 0
		.amdhsa_user_sgpr_private_segment_size 0
		.amdhsa_uses_dynamic_stack 0
		.amdhsa_enable_private_segment 0
		.amdhsa_system_sgpr_workgroup_id_x 1
		.amdhsa_system_sgpr_workgroup_id_y 0
		.amdhsa_system_sgpr_workgroup_id_z 0
		.amdhsa_system_sgpr_workgroup_info 0
		.amdhsa_system_vgpr_workitem_id 0
		.amdhsa_next_free_vgpr 54
		.amdhsa_next_free_sgpr 16
		.amdhsa_accum_offset 56
		.amdhsa_reserve_vcc 1
		.amdhsa_float_round_mode_32 0
		.amdhsa_float_round_mode_16_64 0
		.amdhsa_float_denorm_mode_32 3
		.amdhsa_float_denorm_mode_16_64 3
		.amdhsa_dx10_clamp 1
		.amdhsa_ieee_mode 1
		.amdhsa_fp16_overflow 0
		.amdhsa_tg_split 0
		.amdhsa_exception_fp_ieee_invalid_op 0
		.amdhsa_exception_fp_denorm_src 0
		.amdhsa_exception_fp_ieee_div_zero 0
		.amdhsa_exception_fp_ieee_overflow 0
		.amdhsa_exception_fp_ieee_underflow 0
		.amdhsa_exception_fp_ieee_inexact 0
		.amdhsa_exception_int_div_zero 0
	.end_amdhsa_kernel
	.section	.text._ZN9rocsparseL19gebsrmvn_2xn_kernelILj128ELj4ELj64E21rocsparse_complex_numIfEEEvi20rocsparse_direction_NS_24const_host_device_scalarIT2_EEPKiS8_PKS5_SA_S6_PS5_21rocsparse_index_base_b,"axG",@progbits,_ZN9rocsparseL19gebsrmvn_2xn_kernelILj128ELj4ELj64E21rocsparse_complex_numIfEEEvi20rocsparse_direction_NS_24const_host_device_scalarIT2_EEPKiS8_PKS5_SA_S6_PS5_21rocsparse_index_base_b,comdat
.Lfunc_end166:
	.size	_ZN9rocsparseL19gebsrmvn_2xn_kernelILj128ELj4ELj64E21rocsparse_complex_numIfEEEvi20rocsparse_direction_NS_24const_host_device_scalarIT2_EEPKiS8_PKS5_SA_S6_PS5_21rocsparse_index_base_b, .Lfunc_end166-_ZN9rocsparseL19gebsrmvn_2xn_kernelILj128ELj4ELj64E21rocsparse_complex_numIfEEEvi20rocsparse_direction_NS_24const_host_device_scalarIT2_EEPKiS8_PKS5_SA_S6_PS5_21rocsparse_index_base_b
                                        ; -- End function
	.section	.AMDGPU.csdata,"",@progbits
; Kernel info:
; codeLenInByte = 1708
; NumSgprs: 22
; NumVgprs: 54
; NumAgprs: 0
; TotalNumVgprs: 54
; ScratchSize: 0
; MemoryBound: 0
; FloatMode: 240
; IeeeMode: 1
; LDSByteSize: 0 bytes/workgroup (compile time only)
; SGPRBlocks: 2
; VGPRBlocks: 6
; NumSGPRsForWavesPerEU: 22
; NumVGPRsForWavesPerEU: 54
; AccumOffset: 56
; Occupancy: 8
; WaveLimiterHint : 1
; COMPUTE_PGM_RSRC2:SCRATCH_EN: 0
; COMPUTE_PGM_RSRC2:USER_SGPR: 2
; COMPUTE_PGM_RSRC2:TRAP_HANDLER: 0
; COMPUTE_PGM_RSRC2:TGID_X_EN: 1
; COMPUTE_PGM_RSRC2:TGID_Y_EN: 0
; COMPUTE_PGM_RSRC2:TGID_Z_EN: 0
; COMPUTE_PGM_RSRC2:TIDIG_COMP_CNT: 0
; COMPUTE_PGM_RSRC3_GFX90A:ACCUM_OFFSET: 13
; COMPUTE_PGM_RSRC3_GFX90A:TG_SPLIT: 0
	.section	.text._ZN9rocsparseL19gebsrmvn_2xn_kernelILj128ELj5ELj4E21rocsparse_complex_numIfEEEvi20rocsparse_direction_NS_24const_host_device_scalarIT2_EEPKiS8_PKS5_SA_S6_PS5_21rocsparse_index_base_b,"axG",@progbits,_ZN9rocsparseL19gebsrmvn_2xn_kernelILj128ELj5ELj4E21rocsparse_complex_numIfEEEvi20rocsparse_direction_NS_24const_host_device_scalarIT2_EEPKiS8_PKS5_SA_S6_PS5_21rocsparse_index_base_b,comdat
	.globl	_ZN9rocsparseL19gebsrmvn_2xn_kernelILj128ELj5ELj4E21rocsparse_complex_numIfEEEvi20rocsparse_direction_NS_24const_host_device_scalarIT2_EEPKiS8_PKS5_SA_S6_PS5_21rocsparse_index_base_b ; -- Begin function _ZN9rocsparseL19gebsrmvn_2xn_kernelILj128ELj5ELj4E21rocsparse_complex_numIfEEEvi20rocsparse_direction_NS_24const_host_device_scalarIT2_EEPKiS8_PKS5_SA_S6_PS5_21rocsparse_index_base_b
	.p2align	8
	.type	_ZN9rocsparseL19gebsrmvn_2xn_kernelILj128ELj5ELj4E21rocsparse_complex_numIfEEEvi20rocsparse_direction_NS_24const_host_device_scalarIT2_EEPKiS8_PKS5_SA_S6_PS5_21rocsparse_index_base_b,@function
_ZN9rocsparseL19gebsrmvn_2xn_kernelILj128ELj5ELj4E21rocsparse_complex_numIfEEEvi20rocsparse_direction_NS_24const_host_device_scalarIT2_EEPKiS8_PKS5_SA_S6_PS5_21rocsparse_index_base_b: ; @_ZN9rocsparseL19gebsrmvn_2xn_kernelILj128ELj5ELj4E21rocsparse_complex_numIfEEEvi20rocsparse_direction_NS_24const_host_device_scalarIT2_EEPKiS8_PKS5_SA_S6_PS5_21rocsparse_index_base_b
; %bb.0:
	s_load_dwordx2 s[12:13], s[0:1], 0x40
	s_load_dwordx2 s[8:9], s[0:1], 0x8
	;; [unrolled: 1-line block ×3, first 2 shown]
	s_waitcnt lgkmcnt(0)
	s_bitcmp1_b32 s13, 0
	s_cselect_b64 s[4:5], -1, 0
	s_xor_b64 s[10:11], s[4:5], -1
	s_and_b64 vcc, exec, s[4:5]
	v_mov_b32_e32 v2, s8
	s_cbranch_vccnz .LBB167_2
; %bb.1:
	v_mov_b64_e32 v[2:3], s[8:9]
	flat_load_dword v2, v[2:3]
.LBB167_2:
	v_cndmask_b32_e64 v1, 0, 1, s[10:11]
	v_cmp_ne_u32_e64 s[4:5], 1, v1
	s_andn2_b64 vcc, exec, s[10:11]
	v_mov_b32_e32 v3, s9
	s_cbranch_vccz .LBB167_16
; %bb.3:
	s_and_b64 vcc, exec, s[4:5]
	v_mov_b32_e32 v4, s6
	s_cbranch_vccz .LBB167_17
.LBB167_4:
	s_and_b64 vcc, exec, s[4:5]
	v_mov_b32_e32 v5, s7
	s_cbranch_vccnz .LBB167_6
.LBB167_5:
	v_mov_b64_e32 v[6:7], s[6:7]
	flat_load_dword v5, v[6:7] offset:4
.LBB167_6:
	s_waitcnt vmcnt(0) lgkmcnt(0)
	v_and_b32_e32 v1, 0x7fffffff, v2
	v_cmp_eq_u32_e32 vcc, 0, v1
	v_cmp_eq_f32_e64 s[4:5], 0, v3
	s_and_b64 s[8:9], vcc, s[4:5]
	s_mov_b64 s[4:5], -1
	s_and_saveexec_b64 s[6:7], s[8:9]
; %bb.7:
	v_and_b32_e32 v1, 0x7fffffff, v5
	v_cmp_neq_f32_e32 vcc, 1.0, v4
	v_cmp_ne_u32_e64 s[4:5], 0, v1
	s_or_b64 s[4:5], vcc, s[4:5]
	s_orn2_b64 s[4:5], s[4:5], exec
; %bb.8:
	s_or_b64 exec, exec, s[6:7]
	s_and_saveexec_b64 s[6:7], s[4:5]
	s_cbranch_execz .LBB167_29
; %bb.9:
	s_load_dwordx2 s[14:15], s[0:1], 0x0
	v_lshrrev_b32_e32 v1, 2, v0
	v_lshl_or_b32 v6, s2, 5, v1
	s_waitcnt lgkmcnt(0)
	v_cmp_gt_i32_e32 vcc, s14, v6
	s_and_b64 exec, exec, vcc
	s_cbranch_execz .LBB167_29
; %bb.10:
	s_load_dwordx8 s[4:11], s[0:1], 0x10
	v_ashrrev_i32_e32 v7, 31, v6
	s_cmp_lg_u32 s15, 0
	s_waitcnt lgkmcnt(0)
	v_lshl_add_u64 v[8:9], v[6:7], 2, s[4:5]
	global_load_dwordx2 v[8:9], v[8:9], off
	v_and_b32_e32 v7, 3, v0
	s_waitcnt vmcnt(0)
	v_subrev_u32_e32 v0, s12, v8
	v_subrev_u32_e32 v18, s12, v9
	v_add_u32_e32 v0, v0, v7
	v_cmp_lt_i32_e64 s[2:3], v0, v18
	s_cbranch_scc0 .LBB167_18
; %bb.11:
	v_mov_b32_e32 v9, 0
	v_mov_b32_e32 v8, v9
	;; [unrolled: 1-line block ×4, first 2 shown]
	s_and_saveexec_b64 s[4:5], s[2:3]
	s_cbranch_execz .LBB167_15
; %bb.12:
	v_mad_u64_u32 v[12:13], s[14:15], v0, 10, 8
	v_mov_b32_e32 v15, 0
	s_mov_b64 s[14:15], 0
	v_mov_b32_e32 v16, v0
	v_mov_b32_e32 v10, v15
	;; [unrolled: 1-line block ×5, first 2 shown]
.LBB167_13:                             ; =>This Inner Loop Header: Depth=1
	v_ashrrev_i32_e32 v17, 31, v16
	v_lshl_add_u64 v[20:21], v[16:17], 2, s[6:7]
	global_load_dword v1, v[20:21], off
	v_add_u32_e32 v14, -8, v12
	v_mov_b32_e32 v41, v15
	v_mov_b32_e32 v13, v15
	v_lshl_add_u64 v[28:29], v[14:15], 3, s[8:9]
	v_add_u32_e32 v14, -6, v12
	v_lshl_add_u64 v[30:31], v[12:13], 3, s[8:9]
	global_load_dwordx4 v[20:23], v[28:29], off
	global_load_dwordx4 v[24:27], v[30:31], off
	v_lshl_add_u64 v[28:29], v[14:15], 3, s[8:9]
	global_load_dwordx4 v[28:31], v[28:29], off
	v_add_u32_e32 v16, 4, v16
	v_cmp_ge_i32_e32 vcc, v16, v18
	s_or_b64 s[14:15], vcc, s[14:15]
	s_waitcnt vmcnt(3)
	v_subrev_u32_e32 v1, s12, v1
	v_lshl_add_u32 v40, v1, 2, v1
	v_lshl_add_u64 v[32:33], v[40:41], 3, s[10:11]
	v_add_u32_e32 v14, 1, v40
	global_load_dwordx2 v[42:43], v[32:33], off
	v_lshl_add_u64 v[32:33], v[14:15], 3, s[10:11]
	v_add_u32_e32 v14, -4, v12
	global_load_dwordx2 v[44:45], v[32:33], off
	v_lshl_add_u64 v[32:33], v[14:15], 3, s[8:9]
	v_add_u32_e32 v14, 2, v40
	global_load_dwordx4 v[32:35], v[32:33], off
	v_lshl_add_u64 v[36:37], v[14:15], 3, s[10:11]
	v_add_u32_e32 v14, -2, v12
	global_load_dwordx2 v[46:47], v[36:37], off
	v_lshl_add_u64 v[36:37], v[14:15], 3, s[8:9]
	v_add_u32_e32 v14, 3, v40
	global_load_dwordx4 v[36:39], v[36:37], off
	v_lshl_add_u64 v[48:49], v[14:15], 3, s[10:11]
	v_add_u32_e32 v14, 4, v40
	global_load_dwordx2 v[40:41], v[48:49], off
	v_lshl_add_u64 v[48:49], v[14:15], 3, s[10:11]
	global_load_dwordx2 v[48:49], v[48:49], off
	s_waitcnt vmcnt(9)
	v_mov_b32_e32 v50, v23
	v_mov_b32_e32 v51, v22
	v_xor_b32_e32 v23, 0x80000000, v23
	s_waitcnt vmcnt(7)
	v_mov_b32_e32 v54, v31
	v_mov_b32_e32 v55, v30
	v_xor_b32_e32 v31, 0x80000000, v31
	v_mov_b32_e32 v52, v27
	v_mov_b32_e32 v53, v26
	v_xor_b32_e32 v27, 0x80000000, v27
	v_add_u32_e32 v12, 40, v12
	s_waitcnt vmcnt(6)
	v_pk_fma_f32 v[8:9], v[20:21], v[42:43], v[8:9] op_sel_hi:[1,0,1]
	v_pk_fma_f32 v[10:11], v[50:51], v[42:43], v[10:11] op_sel_hi:[1,0,1]
	v_pk_fma_f32 v[8:9], v[20:21], v[42:43], v[8:9] op_sel:[1,1,0] op_sel_hi:[0,1,1] neg_lo:[1,0,0]
	v_pk_fma_f32 v[10:11], v[22:23], v[42:43], v[10:11] op_sel:[0,1,0]
	s_waitcnt vmcnt(5)
	v_pk_fma_f32 v[8:9], v[28:29], v[44:45], v[8:9] op_sel_hi:[1,0,1]
	v_pk_fma_f32 v[10:11], v[54:55], v[44:45], v[10:11] op_sel_hi:[1,0,1]
	s_waitcnt vmcnt(4)
	v_mov_b32_e32 v20, v35
	v_mov_b32_e32 v21, v34
	v_pk_fma_f32 v[8:9], v[28:29], v[44:45], v[8:9] op_sel:[1,1,0] op_sel_hi:[0,1,1] neg_lo:[1,0,0]
	v_pk_fma_f32 v[10:11], v[30:31], v[44:45], v[10:11] op_sel:[0,1,0]
	v_xor_b32_e32 v35, 0x80000000, v35
	s_waitcnt vmcnt(3)
	v_pk_fma_f32 v[8:9], v[32:33], v[46:47], v[8:9] op_sel_hi:[1,0,1]
	v_pk_fma_f32 v[10:11], v[20:21], v[46:47], v[10:11] op_sel_hi:[1,0,1]
	s_waitcnt vmcnt(2)
	v_mov_b32_e32 v20, v39
	v_mov_b32_e32 v21, v38
	v_pk_fma_f32 v[8:9], v[32:33], v[46:47], v[8:9] op_sel:[1,1,0] op_sel_hi:[0,1,1] neg_lo:[1,0,0]
	v_pk_fma_f32 v[10:11], v[34:35], v[46:47], v[10:11] op_sel:[0,1,0]
	v_xor_b32_e32 v39, 0x80000000, v39
	s_waitcnt vmcnt(1)
	v_pk_fma_f32 v[8:9], v[36:37], v[40:41], v[8:9] op_sel_hi:[1,0,1]
	v_pk_fma_f32 v[10:11], v[20:21], v[40:41], v[10:11] op_sel_hi:[1,0,1]
	v_pk_fma_f32 v[8:9], v[36:37], v[40:41], v[8:9] op_sel:[1,1,0] op_sel_hi:[0,1,1] neg_lo:[1,0,0]
	v_pk_fma_f32 v[10:11], v[38:39], v[40:41], v[10:11] op_sel:[0,1,0]
	s_waitcnt vmcnt(0)
	v_pk_fma_f32 v[8:9], v[24:25], v[48:49], v[8:9] op_sel_hi:[1,0,1]
	v_pk_fma_f32 v[10:11], v[52:53], v[48:49], v[10:11] op_sel_hi:[1,0,1]
	v_pk_fma_f32 v[8:9], v[24:25], v[48:49], v[8:9] op_sel:[1,1,0] op_sel_hi:[0,1,1] neg_lo:[1,0,0]
	v_pk_fma_f32 v[10:11], v[26:27], v[48:49], v[10:11] op_sel:[0,1,0]
	s_andn2_b64 exec, exec, s[14:15]
	s_cbranch_execnz .LBB167_13
; %bb.14:
	s_or_b64 exec, exec, s[14:15]
.LBB167_15:
	s_or_b64 exec, exec, s[4:5]
	s_cbranch_execz .LBB167_19
	s_branch .LBB167_24
.LBB167_16:
	v_mov_b64_e32 v[4:5], s[8:9]
	flat_load_dword v3, v[4:5] offset:4
	s_and_b64 vcc, exec, s[4:5]
	v_mov_b32_e32 v4, s6
	s_cbranch_vccnz .LBB167_4
.LBB167_17:
	v_mov_b64_e32 v[4:5], s[6:7]
	flat_load_dword v4, v[4:5]
	s_and_b64 vcc, exec, s[4:5]
	v_mov_b32_e32 v5, s7
	s_cbranch_vccz .LBB167_5
	s_branch .LBB167_6
.LBB167_18:
                                        ; implicit-def: $vgpr9
                                        ; implicit-def: $vgpr11
.LBB167_19:
	v_mov_b32_e32 v9, 0
	v_mov_b32_e32 v8, v9
	;; [unrolled: 1-line block ×4, first 2 shown]
	s_and_saveexec_b64 s[4:5], s[2:3]
	s_cbranch_execz .LBB167_23
; %bb.20:
	v_mad_u64_u32 v[12:13], s[2:3], v0, 10, 9
	v_mov_b32_e32 v15, 0
	s_mov_b64 s[2:3], 0
	v_mov_b32_e32 v10, v15
	v_mov_b32_e32 v11, v15
	;; [unrolled: 1-line block ×4, first 2 shown]
.LBB167_21:                             ; =>This Inner Loop Header: Depth=1
	v_ashrrev_i32_e32 v1, 31, v0
	v_lshl_add_u64 v[16:17], v[0:1], 2, s[6:7]
	global_load_dword v1, v[16:17], off
	v_add_u32_e32 v14, -9, v12
	v_add_u32_e32 v16, -4, v12
	v_mov_b32_e32 v17, v15
	v_mov_b32_e32 v13, v15
	v_lshl_add_u64 v[26:27], v[14:15], 3, s[8:9]
	v_lshl_add_u64 v[16:17], v[16:17], 3, s[8:9]
	;; [unrolled: 1-line block ×3, first 2 shown]
	global_load_dwordx4 v[20:23], v[26:27], off
	global_load_dwordx2 v[30:31], v[16:17], off
	global_load_dwordx2 v[32:33], v[28:29], off
	v_mov_b32_e32 v25, v15
	v_add_u32_e32 v0, 4, v0
	v_cmp_ge_i32_e32 vcc, v0, v18
	s_or_b64 s[2:3], vcc, s[2:3]
	s_waitcnt vmcnt(3)
	v_subrev_u32_e32 v1, s12, v1
	v_lshl_add_u32 v24, v1, 2, v1
	v_add_u32_e32 v14, 1, v24
	v_lshl_add_u64 v[26:27], v[14:15], 3, s[10:11]
	v_add_u32_e32 v14, -3, v12
	v_lshl_add_u64 v[28:29], v[14:15], 3, s[8:9]
	v_add_u32_e32 v14, -7, v12
	v_lshl_add_u64 v[34:35], v[14:15], 3, s[8:9]
	v_add_u32_e32 v14, 2, v24
	v_lshl_add_u64 v[16:17], v[24:25], 3, s[10:11]
	v_lshl_add_u64 v[36:37], v[14:15], 3, s[10:11]
	v_add_u32_e32 v14, -2, v12
	global_load_dwordx2 v[16:17], v[16:17], off
	s_waitcnt vmcnt(2)
	v_xor_b32_e32 v1, 0x80000000, v31
	global_load_dwordx2 v[26:27], v[26:27], off
	s_nop 0
	global_load_dwordx2 v[38:39], v[34:35], off
	global_load_dwordx2 v[40:41], v[28:29], off
	;; [unrolled: 1-line block ×3, first 2 shown]
	v_lshl_add_u64 v[28:29], v[14:15], 3, s[8:9]
	v_add_u32_e32 v14, -6, v12
	v_lshl_add_u64 v[34:35], v[14:15], 3, s[8:9]
	v_add_u32_e32 v14, 3, v24
	v_lshl_add_u64 v[36:37], v[14:15], 3, s[10:11]
	v_add_u32_e32 v14, -1, v12
	global_load_dwordx2 v[44:45], v[34:35], off
	global_load_dwordx2 v[46:47], v[28:29], off
	;; [unrolled: 1-line block ×3, first 2 shown]
	v_lshl_add_u64 v[28:29], v[14:15], 3, s[8:9]
	v_add_u32_e32 v14, -5, v12
	v_lshl_add_u64 v[34:35], v[14:15], 3, s[8:9]
	v_add_u32_e32 v14, 4, v24
	global_load_dwordx2 v[24:25], v[34:35], off
	global_load_dwordx2 v[36:37], v[28:29], off
	v_lshl_add_u64 v[28:29], v[14:15], 3, s[10:11]
	global_load_dwordx2 v[28:29], v[28:29], off
	v_xor_b32_e32 v34, 0x80000000, v23
	v_mov_b32_e32 v35, v22
	s_waitcnt vmcnt(11)
	v_xor_b32_e32 v13, 0x80000000, v33
	v_add_u32_e32 v12, 40, v12
	s_waitcnt vmcnt(10)
	v_pk_fma_f32 v[8:9], v[20:21], v[16:17], v[8:9] op_sel_hi:[1,0,1]
	v_pk_fma_f32 v[10:11], v[30:31], v[16:17], v[10:11] op_sel:[1,0,0] op_sel_hi:[0,0,1]
	v_mov_b32_e32 v31, v1
	v_pk_fma_f32 v[8:9], v[20:21], v[16:17], v[8:9] op_sel:[1,1,0] op_sel_hi:[0,1,1] neg_lo:[1,0,0]
	v_pk_fma_f32 v[10:11], v[30:31], v[16:17], v[10:11] op_sel:[0,1,0]
	s_waitcnt vmcnt(7)
	v_xor_b32_e32 v1, 0x80000000, v41
	v_pk_fma_f32 v[8:9], v[22:23], v[26:27], v[8:9] op_sel_hi:[1,0,1]
	v_pk_fma_f32 v[10:11], v[40:41], v[26:27], v[10:11] op_sel:[1,0,0] op_sel_hi:[0,0,1]
	v_mov_b32_e32 v41, v1
	v_pk_fma_f32 v[8:9], v[34:35], v[26:27], v[8:9] op_sel:[0,1,0]
	v_pk_fma_f32 v[10:11], v[40:41], v[26:27], v[10:11] op_sel:[0,1,0]
	s_waitcnt vmcnt(4)
	v_xor_b32_e32 v1, 0x80000000, v47
	v_pk_fma_f32 v[8:9], v[38:39], v[42:43], v[8:9] op_sel_hi:[1,0,1]
	v_pk_fma_f32 v[10:11], v[46:47], v[42:43], v[10:11] op_sel:[1,0,0] op_sel_hi:[0,0,1]
	v_mov_b32_e32 v47, v1
	v_pk_fma_f32 v[8:9], v[38:39], v[42:43], v[8:9] op_sel:[1,1,0] op_sel_hi:[0,1,1] neg_lo:[1,0,0]
	v_pk_fma_f32 v[10:11], v[46:47], v[42:43], v[10:11] op_sel:[0,1,0]
	s_waitcnt vmcnt(1)
	v_xor_b32_e32 v1, 0x80000000, v37
	v_pk_fma_f32 v[8:9], v[44:45], v[48:49], v[8:9] op_sel_hi:[1,0,1]
	v_pk_fma_f32 v[10:11], v[36:37], v[48:49], v[10:11] op_sel:[1,0,0] op_sel_hi:[0,0,1]
	v_mov_b32_e32 v37, v1
	v_pk_fma_f32 v[8:9], v[44:45], v[48:49], v[8:9] op_sel:[1,1,0] op_sel_hi:[0,1,1] neg_lo:[1,0,0]
	v_pk_fma_f32 v[10:11], v[36:37], v[48:49], v[10:11] op_sel:[0,1,0]
	s_waitcnt vmcnt(0)
	v_pk_fma_f32 v[8:9], v[24:25], v[28:29], v[8:9] op_sel_hi:[1,0,1]
	v_pk_fma_f32 v[10:11], v[32:33], v[28:29], v[10:11] op_sel:[1,0,0] op_sel_hi:[0,0,1]
	v_mov_b32_e32 v33, v13
	v_pk_fma_f32 v[8:9], v[24:25], v[28:29], v[8:9] op_sel:[1,1,0] op_sel_hi:[0,1,1] neg_lo:[1,0,0]
	v_pk_fma_f32 v[10:11], v[32:33], v[28:29], v[10:11] op_sel:[0,1,0]
	s_andn2_b64 exec, exec, s[2:3]
	s_cbranch_execnz .LBB167_21
; %bb.22:
	s_or_b64 exec, exec, s[2:3]
.LBB167_23:
	s_or_b64 exec, exec, s[4:5]
.LBB167_24:
	v_mov_b32_dpp v0, v8 row_shr:1 row_mask:0xf bank_mask:0xf
	v_add_f32_e32 v0, v8, v0
	v_mov_b32_dpp v8, v9 row_shr:1 row_mask:0xf bank_mask:0xf
	v_add_f32_e32 v9, v9, v8
	v_mov_b32_dpp v1, v0 row_shr:2 row_mask:0xf bank_mask:0xf
	v_mov_b32_dpp v8, v11 row_shr:1 row_mask:0xf bank_mask:0xf
	v_add_f32_e32 v11, v11, v8
	v_mov_b32_dpp v12, v9 row_shr:2 row_mask:0xf bank_mask:0xf
	;; [unrolled: 3-line block ×3, first 2 shown]
	v_cmp_eq_u32_e32 vcc, 3, v7
	v_mov_b32_dpp v14, v10 row_shr:2 row_mask:0xf bank_mask:0xf
	s_and_b64 exec, exec, vcc
	s_cbranch_execz .LBB167_29
; %bb.25:
	s_load_dwordx2 s[2:3], s[0:1], 0x38
	v_add_f32_e32 v8, v0, v1
	v_and_b32_e32 v1, 0x7fffffff, v4
	v_cmp_eq_u32_e32 vcc, 0, v1
	v_cmp_eq_f32_e64 s[0:1], 0, v5
	v_add_f32_e32 v12, v9, v12
	v_add_f32_e32 v0, v11, v13
	;; [unrolled: 1-line block ×3, first 2 shown]
	s_and_b64 s[0:1], vcc, s[0:1]
	s_and_saveexec_b64 s[4:5], s[0:1]
	s_xor_b64 s[0:1], exec, s[4:5]
	s_cbranch_execz .LBB167_27
; %bb.26:
	v_lshlrev_b32_e32 v4, 1, v6
	v_xor_b32_e32 v14, 0x80000000, v3
	v_ashrrev_i32_e32 v5, 31, v4
	v_mov_b32_e32 v15, v2
	s_waitcnt lgkmcnt(0)
	v_lshl_add_u64 v[16:17], v[4:5], 3, s[2:3]
	v_pk_mul_f32 v[4:5], v[12:13], v[14:15] op_sel_hi:[0,1]
	v_pk_mul_f32 v[6:7], v[10:11], v[14:15] op_sel_hi:[0,1]
	v_pk_fma_f32 v[4:5], v[2:3], v[8:9], v[4:5] op_sel_hi:[1,0,1]
	v_pk_fma_f32 v[6:7], v[2:3], v[0:1], v[6:7] op_sel_hi:[1,0,1]
	global_store_dwordx4 v[16:17], v[4:7], off
                                        ; implicit-def: $vgpr3
                                        ; implicit-def: $vgpr4
                                        ; implicit-def: $vgpr6
                                        ; implicit-def: $vgpr8
                                        ; implicit-def: $vgpr12
                                        ; implicit-def: $vgpr0
                                        ; implicit-def: $vgpr10
.LBB167_27:
	s_andn2_saveexec_b64 s[0:1], s[0:1]
	s_cbranch_execz .LBB167_29
; %bb.28:
	v_lshlrev_b32_e32 v6, 1, v6
	v_ashrrev_i32_e32 v7, 31, v6
	s_waitcnt lgkmcnt(0)
	v_lshl_add_u64 v[6:7], v[6:7], 3, s[2:3]
	global_load_dwordx4 v[14:17], v[6:7], off
	v_xor_b32_e32 v18, 0x80000000, v3
	v_mov_b32_e32 v19, v2
	v_pk_mul_f32 v[12:13], v[12:13], v[18:19] op_sel_hi:[0,1]
	v_pk_mul_f32 v[10:11], v[10:11], v[18:19] op_sel_hi:[0,1]
	v_pk_fma_f32 v[8:9], v[2:3], v[8:9], v[12:13] op_sel_hi:[1,0,1]
	v_pk_fma_f32 v[0:1], v[2:3], v[0:1], v[10:11] op_sel_hi:[1,0,1]
	v_xor_b32_e32 v20, 0x80000000, v5
	v_mov_b32_e32 v21, v4
	s_waitcnt vmcnt(0)
	v_pk_fma_f32 v[2:3], v[4:5], v[14:15], v[8:9] op_sel_hi:[1,0,1]
	v_pk_fma_f32 v[4:5], v[4:5], v[16:17], v[0:1] op_sel_hi:[1,0,1]
	v_mov_b32_e32 v8, v17
	v_pk_fma_f32 v[0:1], v[20:21], v[14:15], v[2:3] op_sel:[0,1,0]
	v_pk_fma_f32 v[2:3], v[20:21], v[8:9], v[4:5] op_sel_hi:[1,0,1]
	global_store_dwordx4 v[6:7], v[0:3], off
.LBB167_29:
	s_endpgm
	.section	.rodata,"a",@progbits
	.p2align	6, 0x0
	.amdhsa_kernel _ZN9rocsparseL19gebsrmvn_2xn_kernelILj128ELj5ELj4E21rocsparse_complex_numIfEEEvi20rocsparse_direction_NS_24const_host_device_scalarIT2_EEPKiS8_PKS5_SA_S6_PS5_21rocsparse_index_base_b
		.amdhsa_group_segment_fixed_size 0
		.amdhsa_private_segment_fixed_size 0
		.amdhsa_kernarg_size 72
		.amdhsa_user_sgpr_count 2
		.amdhsa_user_sgpr_dispatch_ptr 0
		.amdhsa_user_sgpr_queue_ptr 0
		.amdhsa_user_sgpr_kernarg_segment_ptr 1
		.amdhsa_user_sgpr_dispatch_id 0
		.amdhsa_user_sgpr_kernarg_preload_length 0
		.amdhsa_user_sgpr_kernarg_preload_offset 0
		.amdhsa_user_sgpr_private_segment_size 0
		.amdhsa_uses_dynamic_stack 0
		.amdhsa_enable_private_segment 0
		.amdhsa_system_sgpr_workgroup_id_x 1
		.amdhsa_system_sgpr_workgroup_id_y 0
		.amdhsa_system_sgpr_workgroup_id_z 0
		.amdhsa_system_sgpr_workgroup_info 0
		.amdhsa_system_vgpr_workitem_id 0
		.amdhsa_next_free_vgpr 56
		.amdhsa_next_free_sgpr 16
		.amdhsa_accum_offset 56
		.amdhsa_reserve_vcc 1
		.amdhsa_float_round_mode_32 0
		.amdhsa_float_round_mode_16_64 0
		.amdhsa_float_denorm_mode_32 3
		.amdhsa_float_denorm_mode_16_64 3
		.amdhsa_dx10_clamp 1
		.amdhsa_ieee_mode 1
		.amdhsa_fp16_overflow 0
		.amdhsa_tg_split 0
		.amdhsa_exception_fp_ieee_invalid_op 0
		.amdhsa_exception_fp_denorm_src 0
		.amdhsa_exception_fp_ieee_div_zero 0
		.amdhsa_exception_fp_ieee_overflow 0
		.amdhsa_exception_fp_ieee_underflow 0
		.amdhsa_exception_fp_ieee_inexact 0
		.amdhsa_exception_int_div_zero 0
	.end_amdhsa_kernel
	.section	.text._ZN9rocsparseL19gebsrmvn_2xn_kernelILj128ELj5ELj4E21rocsparse_complex_numIfEEEvi20rocsparse_direction_NS_24const_host_device_scalarIT2_EEPKiS8_PKS5_SA_S6_PS5_21rocsparse_index_base_b,"axG",@progbits,_ZN9rocsparseL19gebsrmvn_2xn_kernelILj128ELj5ELj4E21rocsparse_complex_numIfEEEvi20rocsparse_direction_NS_24const_host_device_scalarIT2_EEPKiS8_PKS5_SA_S6_PS5_21rocsparse_index_base_b,comdat
.Lfunc_end167:
	.size	_ZN9rocsparseL19gebsrmvn_2xn_kernelILj128ELj5ELj4E21rocsparse_complex_numIfEEEvi20rocsparse_direction_NS_24const_host_device_scalarIT2_EEPKiS8_PKS5_SA_S6_PS5_21rocsparse_index_base_b, .Lfunc_end167-_ZN9rocsparseL19gebsrmvn_2xn_kernelILj128ELj5ELj4E21rocsparse_complex_numIfEEEvi20rocsparse_direction_NS_24const_host_device_scalarIT2_EEPKiS8_PKS5_SA_S6_PS5_21rocsparse_index_base_b
                                        ; -- End function
	.section	.AMDGPU.csdata,"",@progbits
; Kernel info:
; codeLenInByte = 2012
; NumSgprs: 22
; NumVgprs: 56
; NumAgprs: 0
; TotalNumVgprs: 56
; ScratchSize: 0
; MemoryBound: 0
; FloatMode: 240
; IeeeMode: 1
; LDSByteSize: 0 bytes/workgroup (compile time only)
; SGPRBlocks: 2
; VGPRBlocks: 6
; NumSGPRsForWavesPerEU: 22
; NumVGPRsForWavesPerEU: 56
; AccumOffset: 56
; Occupancy: 8
; WaveLimiterHint : 1
; COMPUTE_PGM_RSRC2:SCRATCH_EN: 0
; COMPUTE_PGM_RSRC2:USER_SGPR: 2
; COMPUTE_PGM_RSRC2:TRAP_HANDLER: 0
; COMPUTE_PGM_RSRC2:TGID_X_EN: 1
; COMPUTE_PGM_RSRC2:TGID_Y_EN: 0
; COMPUTE_PGM_RSRC2:TGID_Z_EN: 0
; COMPUTE_PGM_RSRC2:TIDIG_COMP_CNT: 0
; COMPUTE_PGM_RSRC3_GFX90A:ACCUM_OFFSET: 13
; COMPUTE_PGM_RSRC3_GFX90A:TG_SPLIT: 0
	.section	.text._ZN9rocsparseL19gebsrmvn_2xn_kernelILj128ELj5ELj8E21rocsparse_complex_numIfEEEvi20rocsparse_direction_NS_24const_host_device_scalarIT2_EEPKiS8_PKS5_SA_S6_PS5_21rocsparse_index_base_b,"axG",@progbits,_ZN9rocsparseL19gebsrmvn_2xn_kernelILj128ELj5ELj8E21rocsparse_complex_numIfEEEvi20rocsparse_direction_NS_24const_host_device_scalarIT2_EEPKiS8_PKS5_SA_S6_PS5_21rocsparse_index_base_b,comdat
	.globl	_ZN9rocsparseL19gebsrmvn_2xn_kernelILj128ELj5ELj8E21rocsparse_complex_numIfEEEvi20rocsparse_direction_NS_24const_host_device_scalarIT2_EEPKiS8_PKS5_SA_S6_PS5_21rocsparse_index_base_b ; -- Begin function _ZN9rocsparseL19gebsrmvn_2xn_kernelILj128ELj5ELj8E21rocsparse_complex_numIfEEEvi20rocsparse_direction_NS_24const_host_device_scalarIT2_EEPKiS8_PKS5_SA_S6_PS5_21rocsparse_index_base_b
	.p2align	8
	.type	_ZN9rocsparseL19gebsrmvn_2xn_kernelILj128ELj5ELj8E21rocsparse_complex_numIfEEEvi20rocsparse_direction_NS_24const_host_device_scalarIT2_EEPKiS8_PKS5_SA_S6_PS5_21rocsparse_index_base_b,@function
_ZN9rocsparseL19gebsrmvn_2xn_kernelILj128ELj5ELj8E21rocsparse_complex_numIfEEEvi20rocsparse_direction_NS_24const_host_device_scalarIT2_EEPKiS8_PKS5_SA_S6_PS5_21rocsparse_index_base_b: ; @_ZN9rocsparseL19gebsrmvn_2xn_kernelILj128ELj5ELj8E21rocsparse_complex_numIfEEEvi20rocsparse_direction_NS_24const_host_device_scalarIT2_EEPKiS8_PKS5_SA_S6_PS5_21rocsparse_index_base_b
; %bb.0:
	s_load_dwordx2 s[12:13], s[0:1], 0x40
	s_load_dwordx2 s[8:9], s[0:1], 0x8
	;; [unrolled: 1-line block ×3, first 2 shown]
	s_waitcnt lgkmcnt(0)
	s_bitcmp1_b32 s13, 0
	s_cselect_b64 s[4:5], -1, 0
	s_xor_b64 s[10:11], s[4:5], -1
	s_and_b64 vcc, exec, s[4:5]
	v_mov_b32_e32 v2, s8
	s_cbranch_vccnz .LBB168_2
; %bb.1:
	v_mov_b64_e32 v[2:3], s[8:9]
	flat_load_dword v2, v[2:3]
.LBB168_2:
	v_cndmask_b32_e64 v1, 0, 1, s[10:11]
	v_cmp_ne_u32_e64 s[4:5], 1, v1
	s_andn2_b64 vcc, exec, s[10:11]
	v_mov_b32_e32 v3, s9
	s_cbranch_vccz .LBB168_16
; %bb.3:
	s_and_b64 vcc, exec, s[4:5]
	v_mov_b32_e32 v4, s6
	s_cbranch_vccz .LBB168_17
.LBB168_4:
	s_and_b64 vcc, exec, s[4:5]
	v_mov_b32_e32 v5, s7
	s_cbranch_vccnz .LBB168_6
.LBB168_5:
	v_mov_b64_e32 v[6:7], s[6:7]
	flat_load_dword v5, v[6:7] offset:4
.LBB168_6:
	s_waitcnt vmcnt(0) lgkmcnt(0)
	v_and_b32_e32 v1, 0x7fffffff, v2
	v_cmp_eq_u32_e32 vcc, 0, v1
	v_cmp_eq_f32_e64 s[4:5], 0, v3
	s_and_b64 s[8:9], vcc, s[4:5]
	s_mov_b64 s[4:5], -1
	s_and_saveexec_b64 s[6:7], s[8:9]
; %bb.7:
	v_and_b32_e32 v1, 0x7fffffff, v5
	v_cmp_neq_f32_e32 vcc, 1.0, v4
	v_cmp_ne_u32_e64 s[4:5], 0, v1
	s_or_b64 s[4:5], vcc, s[4:5]
	s_orn2_b64 s[4:5], s[4:5], exec
; %bb.8:
	s_or_b64 exec, exec, s[6:7]
	s_and_saveexec_b64 s[6:7], s[4:5]
	s_cbranch_execz .LBB168_29
; %bb.9:
	s_load_dwordx2 s[14:15], s[0:1], 0x0
	v_lshrrev_b32_e32 v1, 3, v0
	v_lshl_or_b32 v6, s2, 4, v1
	s_waitcnt lgkmcnt(0)
	v_cmp_gt_i32_e32 vcc, s14, v6
	s_and_b64 exec, exec, vcc
	s_cbranch_execz .LBB168_29
; %bb.10:
	s_load_dwordx8 s[4:11], s[0:1], 0x10
	v_ashrrev_i32_e32 v7, 31, v6
	s_cmp_lg_u32 s15, 0
	s_waitcnt lgkmcnt(0)
	v_lshl_add_u64 v[8:9], v[6:7], 2, s[4:5]
	global_load_dwordx2 v[8:9], v[8:9], off
	v_and_b32_e32 v7, 7, v0
	s_waitcnt vmcnt(0)
	v_subrev_u32_e32 v0, s12, v8
	v_subrev_u32_e32 v18, s12, v9
	v_add_u32_e32 v0, v0, v7
	v_cmp_lt_i32_e64 s[2:3], v0, v18
	s_cbranch_scc0 .LBB168_18
; %bb.11:
	v_mov_b32_e32 v11, 0
	v_mov_b32_e32 v10, v11
	;; [unrolled: 1-line block ×4, first 2 shown]
	s_and_saveexec_b64 s[4:5], s[2:3]
	s_cbranch_execz .LBB168_15
; %bb.12:
	v_mad_u64_u32 v[12:13], s[14:15], v0, 10, 8
	v_mov_b32_e32 v15, 0
	s_mov_b64 s[14:15], 0
	v_mov_b32_e32 v16, v0
	v_mov_b32_e32 v8, v15
	;; [unrolled: 1-line block ×5, first 2 shown]
.LBB168_13:                             ; =>This Inner Loop Header: Depth=1
	v_ashrrev_i32_e32 v17, 31, v16
	v_lshl_add_u64 v[20:21], v[16:17], 2, s[6:7]
	global_load_dword v1, v[20:21], off
	v_add_u32_e32 v14, -8, v12
	v_mov_b32_e32 v41, v15
	v_mov_b32_e32 v13, v15
	v_lshl_add_u64 v[28:29], v[14:15], 3, s[8:9]
	v_add_u32_e32 v14, -6, v12
	v_lshl_add_u64 v[30:31], v[12:13], 3, s[8:9]
	global_load_dwordx4 v[20:23], v[28:29], off
	global_load_dwordx4 v[24:27], v[30:31], off
	v_lshl_add_u64 v[28:29], v[14:15], 3, s[8:9]
	global_load_dwordx4 v[28:31], v[28:29], off
	v_add_u32_e32 v16, 8, v16
	v_cmp_ge_i32_e32 vcc, v16, v18
	s_or_b64 s[14:15], vcc, s[14:15]
	s_waitcnt vmcnt(3)
	v_subrev_u32_e32 v1, s12, v1
	v_lshl_add_u32 v40, v1, 2, v1
	v_lshl_add_u64 v[32:33], v[40:41], 3, s[10:11]
	v_add_u32_e32 v14, 1, v40
	global_load_dwordx2 v[42:43], v[32:33], off
	v_lshl_add_u64 v[32:33], v[14:15], 3, s[10:11]
	v_add_u32_e32 v14, -4, v12
	global_load_dwordx2 v[44:45], v[32:33], off
	v_lshl_add_u64 v[32:33], v[14:15], 3, s[8:9]
	v_add_u32_e32 v14, 2, v40
	global_load_dwordx4 v[32:35], v[32:33], off
	v_lshl_add_u64 v[36:37], v[14:15], 3, s[10:11]
	v_add_u32_e32 v14, -2, v12
	global_load_dwordx2 v[46:47], v[36:37], off
	v_lshl_add_u64 v[36:37], v[14:15], 3, s[8:9]
	v_add_u32_e32 v14, 3, v40
	global_load_dwordx4 v[36:39], v[36:37], off
	v_lshl_add_u64 v[48:49], v[14:15], 3, s[10:11]
	v_add_u32_e32 v14, 4, v40
	global_load_dwordx2 v[40:41], v[48:49], off
	v_lshl_add_u64 v[48:49], v[14:15], 3, s[10:11]
	global_load_dwordx2 v[48:49], v[48:49], off
	s_waitcnt vmcnt(9)
	v_mov_b32_e32 v50, v23
	v_mov_b32_e32 v51, v22
	v_xor_b32_e32 v23, 0x80000000, v23
	s_waitcnt vmcnt(7)
	v_mov_b32_e32 v54, v31
	v_mov_b32_e32 v55, v30
	v_xor_b32_e32 v31, 0x80000000, v31
	v_mov_b32_e32 v52, v27
	v_mov_b32_e32 v53, v26
	v_xor_b32_e32 v27, 0x80000000, v27
	v_add_u32_e32 v12, 0x50, v12
	s_waitcnt vmcnt(6)
	v_pk_fma_f32 v[10:11], v[20:21], v[42:43], v[10:11] op_sel_hi:[1,0,1]
	v_pk_fma_f32 v[8:9], v[50:51], v[42:43], v[8:9] op_sel_hi:[1,0,1]
	v_pk_fma_f32 v[10:11], v[20:21], v[42:43], v[10:11] op_sel:[1,1,0] op_sel_hi:[0,1,1] neg_lo:[1,0,0]
	v_pk_fma_f32 v[8:9], v[22:23], v[42:43], v[8:9] op_sel:[0,1,0]
	s_waitcnt vmcnt(5)
	v_pk_fma_f32 v[10:11], v[28:29], v[44:45], v[10:11] op_sel_hi:[1,0,1]
	v_pk_fma_f32 v[8:9], v[54:55], v[44:45], v[8:9] op_sel_hi:[1,0,1]
	s_waitcnt vmcnt(4)
	v_mov_b32_e32 v20, v35
	v_mov_b32_e32 v21, v34
	v_pk_fma_f32 v[10:11], v[28:29], v[44:45], v[10:11] op_sel:[1,1,0] op_sel_hi:[0,1,1] neg_lo:[1,0,0]
	v_pk_fma_f32 v[8:9], v[30:31], v[44:45], v[8:9] op_sel:[0,1,0]
	v_xor_b32_e32 v35, 0x80000000, v35
	s_waitcnt vmcnt(3)
	v_pk_fma_f32 v[10:11], v[32:33], v[46:47], v[10:11] op_sel_hi:[1,0,1]
	v_pk_fma_f32 v[8:9], v[20:21], v[46:47], v[8:9] op_sel_hi:[1,0,1]
	s_waitcnt vmcnt(2)
	v_mov_b32_e32 v20, v39
	v_mov_b32_e32 v21, v38
	v_pk_fma_f32 v[10:11], v[32:33], v[46:47], v[10:11] op_sel:[1,1,0] op_sel_hi:[0,1,1] neg_lo:[1,0,0]
	v_pk_fma_f32 v[8:9], v[34:35], v[46:47], v[8:9] op_sel:[0,1,0]
	v_xor_b32_e32 v39, 0x80000000, v39
	s_waitcnt vmcnt(1)
	v_pk_fma_f32 v[10:11], v[36:37], v[40:41], v[10:11] op_sel_hi:[1,0,1]
	v_pk_fma_f32 v[8:9], v[20:21], v[40:41], v[8:9] op_sel_hi:[1,0,1]
	v_pk_fma_f32 v[10:11], v[36:37], v[40:41], v[10:11] op_sel:[1,1,0] op_sel_hi:[0,1,1] neg_lo:[1,0,0]
	v_pk_fma_f32 v[8:9], v[38:39], v[40:41], v[8:9] op_sel:[0,1,0]
	s_waitcnt vmcnt(0)
	v_pk_fma_f32 v[10:11], v[24:25], v[48:49], v[10:11] op_sel_hi:[1,0,1]
	v_pk_fma_f32 v[8:9], v[52:53], v[48:49], v[8:9] op_sel_hi:[1,0,1]
	v_pk_fma_f32 v[10:11], v[24:25], v[48:49], v[10:11] op_sel:[1,1,0] op_sel_hi:[0,1,1] neg_lo:[1,0,0]
	v_pk_fma_f32 v[8:9], v[26:27], v[48:49], v[8:9] op_sel:[0,1,0]
	s_andn2_b64 exec, exec, s[14:15]
	s_cbranch_execnz .LBB168_13
; %bb.14:
	s_or_b64 exec, exec, s[14:15]
.LBB168_15:
	s_or_b64 exec, exec, s[4:5]
	s_cbranch_execz .LBB168_19
	s_branch .LBB168_24
.LBB168_16:
	v_mov_b64_e32 v[4:5], s[8:9]
	flat_load_dword v3, v[4:5] offset:4
	s_and_b64 vcc, exec, s[4:5]
	v_mov_b32_e32 v4, s6
	s_cbranch_vccnz .LBB168_4
.LBB168_17:
	v_mov_b64_e32 v[4:5], s[6:7]
	flat_load_dword v4, v[4:5]
	s_and_b64 vcc, exec, s[4:5]
	v_mov_b32_e32 v5, s7
	s_cbranch_vccz .LBB168_5
	s_branch .LBB168_6
.LBB168_18:
                                        ; implicit-def: $vgpr11
                                        ; implicit-def: $vgpr9
.LBB168_19:
	v_mov_b32_e32 v11, 0
	v_mov_b32_e32 v10, v11
	;; [unrolled: 1-line block ×4, first 2 shown]
	s_and_saveexec_b64 s[4:5], s[2:3]
	s_cbranch_execz .LBB168_23
; %bb.20:
	v_mad_u64_u32 v[12:13], s[2:3], v0, 10, 9
	v_mov_b32_e32 v15, 0
	s_mov_b64 s[2:3], 0
	v_mov_b32_e32 v8, v15
	v_mov_b32_e32 v9, v15
	;; [unrolled: 1-line block ×4, first 2 shown]
.LBB168_21:                             ; =>This Inner Loop Header: Depth=1
	v_ashrrev_i32_e32 v1, 31, v0
	v_lshl_add_u64 v[16:17], v[0:1], 2, s[6:7]
	global_load_dword v1, v[16:17], off
	v_add_u32_e32 v14, -9, v12
	v_add_u32_e32 v16, -4, v12
	v_mov_b32_e32 v17, v15
	v_mov_b32_e32 v13, v15
	v_lshl_add_u64 v[26:27], v[14:15], 3, s[8:9]
	v_lshl_add_u64 v[16:17], v[16:17], 3, s[8:9]
	;; [unrolled: 1-line block ×3, first 2 shown]
	global_load_dwordx4 v[20:23], v[26:27], off
	global_load_dwordx2 v[30:31], v[16:17], off
	global_load_dwordx2 v[32:33], v[28:29], off
	v_mov_b32_e32 v25, v15
	v_add_u32_e32 v0, 8, v0
	v_cmp_ge_i32_e32 vcc, v0, v18
	s_or_b64 s[2:3], vcc, s[2:3]
	s_waitcnt vmcnt(3)
	v_subrev_u32_e32 v1, s12, v1
	v_lshl_add_u32 v24, v1, 2, v1
	v_add_u32_e32 v14, 1, v24
	v_lshl_add_u64 v[26:27], v[14:15], 3, s[10:11]
	v_add_u32_e32 v14, -3, v12
	v_lshl_add_u64 v[28:29], v[14:15], 3, s[8:9]
	v_add_u32_e32 v14, -7, v12
	v_lshl_add_u64 v[34:35], v[14:15], 3, s[8:9]
	v_add_u32_e32 v14, 2, v24
	v_lshl_add_u64 v[16:17], v[24:25], 3, s[10:11]
	v_lshl_add_u64 v[36:37], v[14:15], 3, s[10:11]
	v_add_u32_e32 v14, -2, v12
	global_load_dwordx2 v[16:17], v[16:17], off
	s_waitcnt vmcnt(2)
	v_xor_b32_e32 v1, 0x80000000, v31
	global_load_dwordx2 v[26:27], v[26:27], off
	s_nop 0
	global_load_dwordx2 v[38:39], v[34:35], off
	global_load_dwordx2 v[40:41], v[28:29], off
	;; [unrolled: 1-line block ×3, first 2 shown]
	v_lshl_add_u64 v[28:29], v[14:15], 3, s[8:9]
	v_add_u32_e32 v14, -6, v12
	v_lshl_add_u64 v[34:35], v[14:15], 3, s[8:9]
	v_add_u32_e32 v14, 3, v24
	v_lshl_add_u64 v[36:37], v[14:15], 3, s[10:11]
	v_add_u32_e32 v14, -1, v12
	global_load_dwordx2 v[44:45], v[34:35], off
	global_load_dwordx2 v[46:47], v[28:29], off
	;; [unrolled: 1-line block ×3, first 2 shown]
	v_lshl_add_u64 v[28:29], v[14:15], 3, s[8:9]
	v_add_u32_e32 v14, -5, v12
	v_lshl_add_u64 v[34:35], v[14:15], 3, s[8:9]
	v_add_u32_e32 v14, 4, v24
	global_load_dwordx2 v[24:25], v[34:35], off
	global_load_dwordx2 v[36:37], v[28:29], off
	v_lshl_add_u64 v[28:29], v[14:15], 3, s[10:11]
	global_load_dwordx2 v[28:29], v[28:29], off
	v_xor_b32_e32 v34, 0x80000000, v23
	v_mov_b32_e32 v35, v22
	s_waitcnt vmcnt(11)
	v_xor_b32_e32 v13, 0x80000000, v33
	v_add_u32_e32 v12, 0x50, v12
	s_waitcnt vmcnt(10)
	v_pk_fma_f32 v[10:11], v[20:21], v[16:17], v[10:11] op_sel_hi:[1,0,1]
	v_pk_fma_f32 v[8:9], v[30:31], v[16:17], v[8:9] op_sel:[1,0,0] op_sel_hi:[0,0,1]
	v_mov_b32_e32 v31, v1
	v_pk_fma_f32 v[10:11], v[20:21], v[16:17], v[10:11] op_sel:[1,1,0] op_sel_hi:[0,1,1] neg_lo:[1,0,0]
	v_pk_fma_f32 v[8:9], v[30:31], v[16:17], v[8:9] op_sel:[0,1,0]
	s_waitcnt vmcnt(7)
	v_xor_b32_e32 v1, 0x80000000, v41
	v_pk_fma_f32 v[10:11], v[22:23], v[26:27], v[10:11] op_sel_hi:[1,0,1]
	v_pk_fma_f32 v[8:9], v[40:41], v[26:27], v[8:9] op_sel:[1,0,0] op_sel_hi:[0,0,1]
	v_mov_b32_e32 v41, v1
	v_pk_fma_f32 v[10:11], v[34:35], v[26:27], v[10:11] op_sel:[0,1,0]
	v_pk_fma_f32 v[8:9], v[40:41], v[26:27], v[8:9] op_sel:[0,1,0]
	s_waitcnt vmcnt(4)
	v_xor_b32_e32 v1, 0x80000000, v47
	v_pk_fma_f32 v[10:11], v[38:39], v[42:43], v[10:11] op_sel_hi:[1,0,1]
	v_pk_fma_f32 v[8:9], v[46:47], v[42:43], v[8:9] op_sel:[1,0,0] op_sel_hi:[0,0,1]
	v_mov_b32_e32 v47, v1
	v_pk_fma_f32 v[10:11], v[38:39], v[42:43], v[10:11] op_sel:[1,1,0] op_sel_hi:[0,1,1] neg_lo:[1,0,0]
	v_pk_fma_f32 v[8:9], v[46:47], v[42:43], v[8:9] op_sel:[0,1,0]
	s_waitcnt vmcnt(1)
	v_xor_b32_e32 v1, 0x80000000, v37
	v_pk_fma_f32 v[10:11], v[44:45], v[48:49], v[10:11] op_sel_hi:[1,0,1]
	v_pk_fma_f32 v[8:9], v[36:37], v[48:49], v[8:9] op_sel:[1,0,0] op_sel_hi:[0,0,1]
	v_mov_b32_e32 v37, v1
	v_pk_fma_f32 v[10:11], v[44:45], v[48:49], v[10:11] op_sel:[1,1,0] op_sel_hi:[0,1,1] neg_lo:[1,0,0]
	v_pk_fma_f32 v[8:9], v[36:37], v[48:49], v[8:9] op_sel:[0,1,0]
	s_waitcnt vmcnt(0)
	v_pk_fma_f32 v[10:11], v[24:25], v[28:29], v[10:11] op_sel_hi:[1,0,1]
	v_pk_fma_f32 v[8:9], v[32:33], v[28:29], v[8:9] op_sel:[1,0,0] op_sel_hi:[0,0,1]
	v_mov_b32_e32 v33, v13
	v_pk_fma_f32 v[10:11], v[24:25], v[28:29], v[10:11] op_sel:[1,1,0] op_sel_hi:[0,1,1] neg_lo:[1,0,0]
	v_pk_fma_f32 v[8:9], v[32:33], v[28:29], v[8:9] op_sel:[0,1,0]
	s_andn2_b64 exec, exec, s[2:3]
	s_cbranch_execnz .LBB168_21
; %bb.22:
	s_or_b64 exec, exec, s[2:3]
.LBB168_23:
	s_or_b64 exec, exec, s[4:5]
.LBB168_24:
	v_mov_b32_dpp v12, v9 row_shr:1 row_mask:0xf bank_mask:0xf
	v_add_f32_e32 v9, v9, v12
	v_mov_b32_dpp v0, v10 row_shr:1 row_mask:0xf bank_mask:0xf
	v_add_f32_e32 v0, v10, v0
	v_mov_b32_dpp v12, v9 row_shr:2 row_mask:0xf bank_mask:0xf
	v_mov_b32_dpp v10, v11 row_shr:1 row_mask:0xf bank_mask:0xf
	v_add_f32_e32 v9, v9, v12
	v_mov_b32_dpp v12, v8 row_shr:1 row_mask:0xf bank_mask:0xf
	v_add_f32_e32 v10, v11, v10
	v_add_f32_e32 v8, v8, v12
	v_mov_b32_dpp v1, v0 row_shr:2 row_mask:0xf bank_mask:0xf
	v_mov_b32_dpp v11, v10 row_shr:2 row_mask:0xf bank_mask:0xf
	;; [unrolled: 1-line block ×3, first 2 shown]
	v_add_f32_e32 v0, v0, v1
	v_add_f32_e32 v10, v10, v11
	;; [unrolled: 1-line block ×3, first 2 shown]
	v_mov_b32_dpp v1, v0 row_shr:4 row_mask:0xf bank_mask:0xe
	v_mov_b32_dpp v11, v10 row_shr:4 row_mask:0xf bank_mask:0xe
	;; [unrolled: 1-line block ×4, first 2 shown]
	v_cmp_eq_u32_e32 vcc, 7, v7
	s_and_b64 exec, exec, vcc
	s_cbranch_execz .LBB168_29
; %bb.25:
	s_load_dwordx2 s[2:3], s[0:1], 0x38
	v_add_f32_e32 v8, v0, v1
	v_and_b32_e32 v1, 0x7fffffff, v4
	v_cmp_eq_u32_e32 vcc, 0, v1
	v_cmp_eq_f32_e64 s[0:1], 0, v5
	v_add_f32_e32 v12, v10, v11
	v_add_f32_e32 v0, v9, v13
	;; [unrolled: 1-line block ×3, first 2 shown]
	s_and_b64 s[0:1], vcc, s[0:1]
	s_and_saveexec_b64 s[4:5], s[0:1]
	s_xor_b64 s[0:1], exec, s[4:5]
	s_cbranch_execz .LBB168_27
; %bb.26:
	v_lshlrev_b32_e32 v4, 1, v6
	v_xor_b32_e32 v14, 0x80000000, v3
	v_ashrrev_i32_e32 v5, 31, v4
	v_mov_b32_e32 v15, v2
	s_waitcnt lgkmcnt(0)
	v_lshl_add_u64 v[16:17], v[4:5], 3, s[2:3]
	v_pk_mul_f32 v[4:5], v[12:13], v[14:15] op_sel_hi:[0,1]
	v_pk_mul_f32 v[6:7], v[10:11], v[14:15] op_sel_hi:[0,1]
	v_pk_fma_f32 v[4:5], v[2:3], v[8:9], v[4:5] op_sel_hi:[1,0,1]
	v_pk_fma_f32 v[6:7], v[2:3], v[0:1], v[6:7] op_sel_hi:[1,0,1]
	global_store_dwordx4 v[16:17], v[4:7], off
                                        ; implicit-def: $vgpr3
                                        ; implicit-def: $vgpr4
                                        ; implicit-def: $vgpr6
                                        ; implicit-def: $vgpr8
                                        ; implicit-def: $vgpr12
                                        ; implicit-def: $vgpr0
                                        ; implicit-def: $vgpr10
.LBB168_27:
	s_andn2_saveexec_b64 s[0:1], s[0:1]
	s_cbranch_execz .LBB168_29
; %bb.28:
	v_lshlrev_b32_e32 v6, 1, v6
	v_ashrrev_i32_e32 v7, 31, v6
	s_waitcnt lgkmcnt(0)
	v_lshl_add_u64 v[6:7], v[6:7], 3, s[2:3]
	global_load_dwordx4 v[14:17], v[6:7], off
	v_xor_b32_e32 v18, 0x80000000, v3
	v_mov_b32_e32 v19, v2
	v_pk_mul_f32 v[12:13], v[12:13], v[18:19] op_sel_hi:[0,1]
	v_pk_mul_f32 v[10:11], v[10:11], v[18:19] op_sel_hi:[0,1]
	v_pk_fma_f32 v[8:9], v[2:3], v[8:9], v[12:13] op_sel_hi:[1,0,1]
	v_pk_fma_f32 v[0:1], v[2:3], v[0:1], v[10:11] op_sel_hi:[1,0,1]
	v_xor_b32_e32 v20, 0x80000000, v5
	v_mov_b32_e32 v21, v4
	s_waitcnt vmcnt(0)
	v_pk_fma_f32 v[2:3], v[4:5], v[14:15], v[8:9] op_sel_hi:[1,0,1]
	v_pk_fma_f32 v[4:5], v[4:5], v[16:17], v[0:1] op_sel_hi:[1,0,1]
	v_mov_b32_e32 v8, v17
	v_pk_fma_f32 v[0:1], v[20:21], v[14:15], v[2:3] op_sel:[0,1,0]
	v_pk_fma_f32 v[2:3], v[20:21], v[8:9], v[4:5] op_sel_hi:[1,0,1]
	global_store_dwordx4 v[6:7], v[0:3], off
.LBB168_29:
	s_endpgm
	.section	.rodata,"a",@progbits
	.p2align	6, 0x0
	.amdhsa_kernel _ZN9rocsparseL19gebsrmvn_2xn_kernelILj128ELj5ELj8E21rocsparse_complex_numIfEEEvi20rocsparse_direction_NS_24const_host_device_scalarIT2_EEPKiS8_PKS5_SA_S6_PS5_21rocsparse_index_base_b
		.amdhsa_group_segment_fixed_size 0
		.amdhsa_private_segment_fixed_size 0
		.amdhsa_kernarg_size 72
		.amdhsa_user_sgpr_count 2
		.amdhsa_user_sgpr_dispatch_ptr 0
		.amdhsa_user_sgpr_queue_ptr 0
		.amdhsa_user_sgpr_kernarg_segment_ptr 1
		.amdhsa_user_sgpr_dispatch_id 0
		.amdhsa_user_sgpr_kernarg_preload_length 0
		.amdhsa_user_sgpr_kernarg_preload_offset 0
		.amdhsa_user_sgpr_private_segment_size 0
		.amdhsa_uses_dynamic_stack 0
		.amdhsa_enable_private_segment 0
		.amdhsa_system_sgpr_workgroup_id_x 1
		.amdhsa_system_sgpr_workgroup_id_y 0
		.amdhsa_system_sgpr_workgroup_id_z 0
		.amdhsa_system_sgpr_workgroup_info 0
		.amdhsa_system_vgpr_workitem_id 0
		.amdhsa_next_free_vgpr 56
		.amdhsa_next_free_sgpr 16
		.amdhsa_accum_offset 56
		.amdhsa_reserve_vcc 1
		.amdhsa_float_round_mode_32 0
		.amdhsa_float_round_mode_16_64 0
		.amdhsa_float_denorm_mode_32 3
		.amdhsa_float_denorm_mode_16_64 3
		.amdhsa_dx10_clamp 1
		.amdhsa_ieee_mode 1
		.amdhsa_fp16_overflow 0
		.amdhsa_tg_split 0
		.amdhsa_exception_fp_ieee_invalid_op 0
		.amdhsa_exception_fp_denorm_src 0
		.amdhsa_exception_fp_ieee_div_zero 0
		.amdhsa_exception_fp_ieee_overflow 0
		.amdhsa_exception_fp_ieee_underflow 0
		.amdhsa_exception_fp_ieee_inexact 0
		.amdhsa_exception_int_div_zero 0
	.end_amdhsa_kernel
	.section	.text._ZN9rocsparseL19gebsrmvn_2xn_kernelILj128ELj5ELj8E21rocsparse_complex_numIfEEEvi20rocsparse_direction_NS_24const_host_device_scalarIT2_EEPKiS8_PKS5_SA_S6_PS5_21rocsparse_index_base_b,"axG",@progbits,_ZN9rocsparseL19gebsrmvn_2xn_kernelILj128ELj5ELj8E21rocsparse_complex_numIfEEEvi20rocsparse_direction_NS_24const_host_device_scalarIT2_EEPKiS8_PKS5_SA_S6_PS5_21rocsparse_index_base_b,comdat
.Lfunc_end168:
	.size	_ZN9rocsparseL19gebsrmvn_2xn_kernelILj128ELj5ELj8E21rocsparse_complex_numIfEEEvi20rocsparse_direction_NS_24const_host_device_scalarIT2_EEPKiS8_PKS5_SA_S6_PS5_21rocsparse_index_base_b, .Lfunc_end168-_ZN9rocsparseL19gebsrmvn_2xn_kernelILj128ELj5ELj8E21rocsparse_complex_numIfEEEvi20rocsparse_direction_NS_24const_host_device_scalarIT2_EEPKiS8_PKS5_SA_S6_PS5_21rocsparse_index_base_b
                                        ; -- End function
	.section	.AMDGPU.csdata,"",@progbits
; Kernel info:
; codeLenInByte = 2068
; NumSgprs: 22
; NumVgprs: 56
; NumAgprs: 0
; TotalNumVgprs: 56
; ScratchSize: 0
; MemoryBound: 0
; FloatMode: 240
; IeeeMode: 1
; LDSByteSize: 0 bytes/workgroup (compile time only)
; SGPRBlocks: 2
; VGPRBlocks: 6
; NumSGPRsForWavesPerEU: 22
; NumVGPRsForWavesPerEU: 56
; AccumOffset: 56
; Occupancy: 8
; WaveLimiterHint : 1
; COMPUTE_PGM_RSRC2:SCRATCH_EN: 0
; COMPUTE_PGM_RSRC2:USER_SGPR: 2
; COMPUTE_PGM_RSRC2:TRAP_HANDLER: 0
; COMPUTE_PGM_RSRC2:TGID_X_EN: 1
; COMPUTE_PGM_RSRC2:TGID_Y_EN: 0
; COMPUTE_PGM_RSRC2:TGID_Z_EN: 0
; COMPUTE_PGM_RSRC2:TIDIG_COMP_CNT: 0
; COMPUTE_PGM_RSRC3_GFX90A:ACCUM_OFFSET: 13
; COMPUTE_PGM_RSRC3_GFX90A:TG_SPLIT: 0
	.section	.text._ZN9rocsparseL19gebsrmvn_2xn_kernelILj128ELj5ELj16E21rocsparse_complex_numIfEEEvi20rocsparse_direction_NS_24const_host_device_scalarIT2_EEPKiS8_PKS5_SA_S6_PS5_21rocsparse_index_base_b,"axG",@progbits,_ZN9rocsparseL19gebsrmvn_2xn_kernelILj128ELj5ELj16E21rocsparse_complex_numIfEEEvi20rocsparse_direction_NS_24const_host_device_scalarIT2_EEPKiS8_PKS5_SA_S6_PS5_21rocsparse_index_base_b,comdat
	.globl	_ZN9rocsparseL19gebsrmvn_2xn_kernelILj128ELj5ELj16E21rocsparse_complex_numIfEEEvi20rocsparse_direction_NS_24const_host_device_scalarIT2_EEPKiS8_PKS5_SA_S6_PS5_21rocsparse_index_base_b ; -- Begin function _ZN9rocsparseL19gebsrmvn_2xn_kernelILj128ELj5ELj16E21rocsparse_complex_numIfEEEvi20rocsparse_direction_NS_24const_host_device_scalarIT2_EEPKiS8_PKS5_SA_S6_PS5_21rocsparse_index_base_b
	.p2align	8
	.type	_ZN9rocsparseL19gebsrmvn_2xn_kernelILj128ELj5ELj16E21rocsparse_complex_numIfEEEvi20rocsparse_direction_NS_24const_host_device_scalarIT2_EEPKiS8_PKS5_SA_S6_PS5_21rocsparse_index_base_b,@function
_ZN9rocsparseL19gebsrmvn_2xn_kernelILj128ELj5ELj16E21rocsparse_complex_numIfEEEvi20rocsparse_direction_NS_24const_host_device_scalarIT2_EEPKiS8_PKS5_SA_S6_PS5_21rocsparse_index_base_b: ; @_ZN9rocsparseL19gebsrmvn_2xn_kernelILj128ELj5ELj16E21rocsparse_complex_numIfEEEvi20rocsparse_direction_NS_24const_host_device_scalarIT2_EEPKiS8_PKS5_SA_S6_PS5_21rocsparse_index_base_b
; %bb.0:
	s_load_dwordx2 s[12:13], s[0:1], 0x40
	s_load_dwordx2 s[8:9], s[0:1], 0x8
	;; [unrolled: 1-line block ×3, first 2 shown]
	s_waitcnt lgkmcnt(0)
	s_bitcmp1_b32 s13, 0
	s_cselect_b64 s[4:5], -1, 0
	s_xor_b64 s[10:11], s[4:5], -1
	s_and_b64 vcc, exec, s[4:5]
	v_mov_b32_e32 v2, s8
	s_cbranch_vccnz .LBB169_2
; %bb.1:
	v_mov_b64_e32 v[2:3], s[8:9]
	flat_load_dword v2, v[2:3]
.LBB169_2:
	v_cndmask_b32_e64 v1, 0, 1, s[10:11]
	v_cmp_ne_u32_e64 s[4:5], 1, v1
	s_andn2_b64 vcc, exec, s[10:11]
	v_mov_b32_e32 v3, s9
	s_cbranch_vccz .LBB169_16
; %bb.3:
	s_and_b64 vcc, exec, s[4:5]
	v_mov_b32_e32 v4, s6
	s_cbranch_vccz .LBB169_17
.LBB169_4:
	s_and_b64 vcc, exec, s[4:5]
	v_mov_b32_e32 v5, s7
	s_cbranch_vccnz .LBB169_6
.LBB169_5:
	v_mov_b64_e32 v[6:7], s[6:7]
	flat_load_dword v5, v[6:7] offset:4
.LBB169_6:
	s_waitcnt vmcnt(0) lgkmcnt(0)
	v_and_b32_e32 v1, 0x7fffffff, v2
	v_cmp_eq_u32_e32 vcc, 0, v1
	v_cmp_eq_f32_e64 s[4:5], 0, v3
	s_and_b64 s[8:9], vcc, s[4:5]
	s_mov_b64 s[4:5], -1
	s_and_saveexec_b64 s[6:7], s[8:9]
; %bb.7:
	v_and_b32_e32 v1, 0x7fffffff, v5
	v_cmp_neq_f32_e32 vcc, 1.0, v4
	v_cmp_ne_u32_e64 s[4:5], 0, v1
	s_or_b64 s[4:5], vcc, s[4:5]
	s_orn2_b64 s[4:5], s[4:5], exec
; %bb.8:
	s_or_b64 exec, exec, s[6:7]
	s_and_saveexec_b64 s[6:7], s[4:5]
	s_cbranch_execz .LBB169_29
; %bb.9:
	s_load_dwordx2 s[14:15], s[0:1], 0x0
	v_lshrrev_b32_e32 v1, 4, v0
	v_lshl_or_b32 v6, s2, 3, v1
	s_waitcnt lgkmcnt(0)
	v_cmp_gt_i32_e32 vcc, s14, v6
	s_and_b64 exec, exec, vcc
	s_cbranch_execz .LBB169_29
; %bb.10:
	s_load_dwordx8 s[4:11], s[0:1], 0x10
	v_ashrrev_i32_e32 v7, 31, v6
	s_cmp_lg_u32 s15, 0
	s_waitcnt lgkmcnt(0)
	v_lshl_add_u64 v[8:9], v[6:7], 2, s[4:5]
	global_load_dwordx2 v[8:9], v[8:9], off
	v_and_b32_e32 v7, 15, v0
	s_waitcnt vmcnt(0)
	v_subrev_u32_e32 v0, s12, v8
	v_subrev_u32_e32 v18, s12, v9
	v_add_u32_e32 v0, v0, v7
	v_cmp_lt_i32_e64 s[2:3], v0, v18
	s_cbranch_scc0 .LBB169_18
; %bb.11:
	v_mov_b32_e32 v11, 0
	v_mov_b32_e32 v10, v11
	;; [unrolled: 1-line block ×4, first 2 shown]
	s_and_saveexec_b64 s[4:5], s[2:3]
	s_cbranch_execz .LBB169_15
; %bb.12:
	v_mad_u64_u32 v[12:13], s[14:15], v0, 10, 8
	v_mov_b32_e32 v15, 0
	s_mov_b64 s[14:15], 0
	v_mov_b32_e32 v16, v0
	v_mov_b32_e32 v8, v15
	;; [unrolled: 1-line block ×5, first 2 shown]
.LBB169_13:                             ; =>This Inner Loop Header: Depth=1
	v_ashrrev_i32_e32 v17, 31, v16
	v_lshl_add_u64 v[20:21], v[16:17], 2, s[6:7]
	global_load_dword v1, v[20:21], off
	v_add_u32_e32 v14, -8, v12
	v_mov_b32_e32 v41, v15
	v_mov_b32_e32 v13, v15
	v_lshl_add_u64 v[28:29], v[14:15], 3, s[8:9]
	v_add_u32_e32 v14, -6, v12
	v_lshl_add_u64 v[30:31], v[12:13], 3, s[8:9]
	global_load_dwordx4 v[20:23], v[28:29], off
	global_load_dwordx4 v[24:27], v[30:31], off
	v_lshl_add_u64 v[28:29], v[14:15], 3, s[8:9]
	global_load_dwordx4 v[28:31], v[28:29], off
	v_add_u32_e32 v16, 16, v16
	v_cmp_ge_i32_e32 vcc, v16, v18
	s_or_b64 s[14:15], vcc, s[14:15]
	s_waitcnt vmcnt(3)
	v_subrev_u32_e32 v1, s12, v1
	v_lshl_add_u32 v40, v1, 2, v1
	v_lshl_add_u64 v[32:33], v[40:41], 3, s[10:11]
	v_add_u32_e32 v14, 1, v40
	global_load_dwordx2 v[42:43], v[32:33], off
	v_lshl_add_u64 v[32:33], v[14:15], 3, s[10:11]
	v_add_u32_e32 v14, -4, v12
	global_load_dwordx2 v[44:45], v[32:33], off
	v_lshl_add_u64 v[32:33], v[14:15], 3, s[8:9]
	v_add_u32_e32 v14, 2, v40
	global_load_dwordx4 v[32:35], v[32:33], off
	v_lshl_add_u64 v[36:37], v[14:15], 3, s[10:11]
	v_add_u32_e32 v14, -2, v12
	global_load_dwordx2 v[46:47], v[36:37], off
	v_lshl_add_u64 v[36:37], v[14:15], 3, s[8:9]
	v_add_u32_e32 v14, 3, v40
	global_load_dwordx4 v[36:39], v[36:37], off
	v_lshl_add_u64 v[48:49], v[14:15], 3, s[10:11]
	v_add_u32_e32 v14, 4, v40
	global_load_dwordx2 v[40:41], v[48:49], off
	v_lshl_add_u64 v[48:49], v[14:15], 3, s[10:11]
	global_load_dwordx2 v[48:49], v[48:49], off
	s_waitcnt vmcnt(9)
	v_mov_b32_e32 v50, v23
	v_mov_b32_e32 v51, v22
	v_xor_b32_e32 v23, 0x80000000, v23
	s_waitcnt vmcnt(7)
	v_mov_b32_e32 v54, v31
	v_mov_b32_e32 v55, v30
	v_xor_b32_e32 v31, 0x80000000, v31
	v_mov_b32_e32 v52, v27
	v_mov_b32_e32 v53, v26
	v_xor_b32_e32 v27, 0x80000000, v27
	v_add_u32_e32 v12, 0xa0, v12
	s_waitcnt vmcnt(6)
	v_pk_fma_f32 v[10:11], v[20:21], v[42:43], v[10:11] op_sel_hi:[1,0,1]
	v_pk_fma_f32 v[8:9], v[50:51], v[42:43], v[8:9] op_sel_hi:[1,0,1]
	v_pk_fma_f32 v[10:11], v[20:21], v[42:43], v[10:11] op_sel:[1,1,0] op_sel_hi:[0,1,1] neg_lo:[1,0,0]
	v_pk_fma_f32 v[8:9], v[22:23], v[42:43], v[8:9] op_sel:[0,1,0]
	s_waitcnt vmcnt(5)
	v_pk_fma_f32 v[10:11], v[28:29], v[44:45], v[10:11] op_sel_hi:[1,0,1]
	v_pk_fma_f32 v[8:9], v[54:55], v[44:45], v[8:9] op_sel_hi:[1,0,1]
	s_waitcnt vmcnt(4)
	v_mov_b32_e32 v20, v35
	v_mov_b32_e32 v21, v34
	v_pk_fma_f32 v[10:11], v[28:29], v[44:45], v[10:11] op_sel:[1,1,0] op_sel_hi:[0,1,1] neg_lo:[1,0,0]
	v_pk_fma_f32 v[8:9], v[30:31], v[44:45], v[8:9] op_sel:[0,1,0]
	v_xor_b32_e32 v35, 0x80000000, v35
	s_waitcnt vmcnt(3)
	v_pk_fma_f32 v[10:11], v[32:33], v[46:47], v[10:11] op_sel_hi:[1,0,1]
	v_pk_fma_f32 v[8:9], v[20:21], v[46:47], v[8:9] op_sel_hi:[1,0,1]
	s_waitcnt vmcnt(2)
	v_mov_b32_e32 v20, v39
	v_mov_b32_e32 v21, v38
	v_pk_fma_f32 v[10:11], v[32:33], v[46:47], v[10:11] op_sel:[1,1,0] op_sel_hi:[0,1,1] neg_lo:[1,0,0]
	v_pk_fma_f32 v[8:9], v[34:35], v[46:47], v[8:9] op_sel:[0,1,0]
	v_xor_b32_e32 v39, 0x80000000, v39
	s_waitcnt vmcnt(1)
	v_pk_fma_f32 v[10:11], v[36:37], v[40:41], v[10:11] op_sel_hi:[1,0,1]
	v_pk_fma_f32 v[8:9], v[20:21], v[40:41], v[8:9] op_sel_hi:[1,0,1]
	v_pk_fma_f32 v[10:11], v[36:37], v[40:41], v[10:11] op_sel:[1,1,0] op_sel_hi:[0,1,1] neg_lo:[1,0,0]
	v_pk_fma_f32 v[8:9], v[38:39], v[40:41], v[8:9] op_sel:[0,1,0]
	s_waitcnt vmcnt(0)
	v_pk_fma_f32 v[10:11], v[24:25], v[48:49], v[10:11] op_sel_hi:[1,0,1]
	v_pk_fma_f32 v[8:9], v[52:53], v[48:49], v[8:9] op_sel_hi:[1,0,1]
	v_pk_fma_f32 v[10:11], v[24:25], v[48:49], v[10:11] op_sel:[1,1,0] op_sel_hi:[0,1,1] neg_lo:[1,0,0]
	v_pk_fma_f32 v[8:9], v[26:27], v[48:49], v[8:9] op_sel:[0,1,0]
	s_andn2_b64 exec, exec, s[14:15]
	s_cbranch_execnz .LBB169_13
; %bb.14:
	s_or_b64 exec, exec, s[14:15]
.LBB169_15:
	s_or_b64 exec, exec, s[4:5]
	s_cbranch_execz .LBB169_19
	s_branch .LBB169_24
.LBB169_16:
	v_mov_b64_e32 v[4:5], s[8:9]
	flat_load_dword v3, v[4:5] offset:4
	s_and_b64 vcc, exec, s[4:5]
	v_mov_b32_e32 v4, s6
	s_cbranch_vccnz .LBB169_4
.LBB169_17:
	v_mov_b64_e32 v[4:5], s[6:7]
	flat_load_dword v4, v[4:5]
	s_and_b64 vcc, exec, s[4:5]
	v_mov_b32_e32 v5, s7
	s_cbranch_vccz .LBB169_5
	s_branch .LBB169_6
.LBB169_18:
                                        ; implicit-def: $vgpr11
                                        ; implicit-def: $vgpr9
.LBB169_19:
	v_mov_b32_e32 v11, 0
	v_mov_b32_e32 v10, v11
	;; [unrolled: 1-line block ×4, first 2 shown]
	s_and_saveexec_b64 s[4:5], s[2:3]
	s_cbranch_execz .LBB169_23
; %bb.20:
	v_mad_u64_u32 v[12:13], s[2:3], v0, 10, 9
	v_mov_b32_e32 v15, 0
	s_mov_b64 s[2:3], 0
	v_mov_b32_e32 v8, v15
	v_mov_b32_e32 v9, v15
	;; [unrolled: 1-line block ×4, first 2 shown]
.LBB169_21:                             ; =>This Inner Loop Header: Depth=1
	v_ashrrev_i32_e32 v1, 31, v0
	v_lshl_add_u64 v[16:17], v[0:1], 2, s[6:7]
	global_load_dword v1, v[16:17], off
	v_add_u32_e32 v14, -9, v12
	v_add_u32_e32 v16, -4, v12
	v_mov_b32_e32 v17, v15
	v_mov_b32_e32 v13, v15
	v_lshl_add_u64 v[26:27], v[14:15], 3, s[8:9]
	v_lshl_add_u64 v[16:17], v[16:17], 3, s[8:9]
	;; [unrolled: 1-line block ×3, first 2 shown]
	global_load_dwordx4 v[20:23], v[26:27], off
	global_load_dwordx2 v[30:31], v[16:17], off
	global_load_dwordx2 v[32:33], v[28:29], off
	v_mov_b32_e32 v25, v15
	v_add_u32_e32 v0, 16, v0
	v_cmp_ge_i32_e32 vcc, v0, v18
	s_or_b64 s[2:3], vcc, s[2:3]
	s_waitcnt vmcnt(3)
	v_subrev_u32_e32 v1, s12, v1
	v_lshl_add_u32 v24, v1, 2, v1
	v_add_u32_e32 v14, 1, v24
	v_lshl_add_u64 v[26:27], v[14:15], 3, s[10:11]
	v_add_u32_e32 v14, -3, v12
	v_lshl_add_u64 v[28:29], v[14:15], 3, s[8:9]
	v_add_u32_e32 v14, -7, v12
	v_lshl_add_u64 v[34:35], v[14:15], 3, s[8:9]
	v_add_u32_e32 v14, 2, v24
	v_lshl_add_u64 v[16:17], v[24:25], 3, s[10:11]
	v_lshl_add_u64 v[36:37], v[14:15], 3, s[10:11]
	v_add_u32_e32 v14, -2, v12
	global_load_dwordx2 v[16:17], v[16:17], off
	s_waitcnt vmcnt(2)
	v_xor_b32_e32 v1, 0x80000000, v31
	global_load_dwordx2 v[26:27], v[26:27], off
	s_nop 0
	global_load_dwordx2 v[38:39], v[34:35], off
	global_load_dwordx2 v[40:41], v[28:29], off
	;; [unrolled: 1-line block ×3, first 2 shown]
	v_lshl_add_u64 v[28:29], v[14:15], 3, s[8:9]
	v_add_u32_e32 v14, -6, v12
	v_lshl_add_u64 v[34:35], v[14:15], 3, s[8:9]
	v_add_u32_e32 v14, 3, v24
	v_lshl_add_u64 v[36:37], v[14:15], 3, s[10:11]
	v_add_u32_e32 v14, -1, v12
	global_load_dwordx2 v[44:45], v[34:35], off
	global_load_dwordx2 v[46:47], v[28:29], off
	global_load_dwordx2 v[48:49], v[36:37], off
	v_lshl_add_u64 v[28:29], v[14:15], 3, s[8:9]
	v_add_u32_e32 v14, -5, v12
	v_lshl_add_u64 v[34:35], v[14:15], 3, s[8:9]
	v_add_u32_e32 v14, 4, v24
	global_load_dwordx2 v[24:25], v[34:35], off
	global_load_dwordx2 v[36:37], v[28:29], off
	v_lshl_add_u64 v[28:29], v[14:15], 3, s[10:11]
	global_load_dwordx2 v[28:29], v[28:29], off
	v_xor_b32_e32 v34, 0x80000000, v23
	v_mov_b32_e32 v35, v22
	s_waitcnt vmcnt(11)
	v_xor_b32_e32 v13, 0x80000000, v33
	v_add_u32_e32 v12, 0xa0, v12
	s_waitcnt vmcnt(10)
	v_pk_fma_f32 v[10:11], v[20:21], v[16:17], v[10:11] op_sel_hi:[1,0,1]
	v_pk_fma_f32 v[8:9], v[30:31], v[16:17], v[8:9] op_sel:[1,0,0] op_sel_hi:[0,0,1]
	v_mov_b32_e32 v31, v1
	v_pk_fma_f32 v[10:11], v[20:21], v[16:17], v[10:11] op_sel:[1,1,0] op_sel_hi:[0,1,1] neg_lo:[1,0,0]
	v_pk_fma_f32 v[8:9], v[30:31], v[16:17], v[8:9] op_sel:[0,1,0]
	s_waitcnt vmcnt(7)
	v_xor_b32_e32 v1, 0x80000000, v41
	v_pk_fma_f32 v[10:11], v[22:23], v[26:27], v[10:11] op_sel_hi:[1,0,1]
	v_pk_fma_f32 v[8:9], v[40:41], v[26:27], v[8:9] op_sel:[1,0,0] op_sel_hi:[0,0,1]
	v_mov_b32_e32 v41, v1
	v_pk_fma_f32 v[10:11], v[34:35], v[26:27], v[10:11] op_sel:[0,1,0]
	v_pk_fma_f32 v[8:9], v[40:41], v[26:27], v[8:9] op_sel:[0,1,0]
	s_waitcnt vmcnt(4)
	v_xor_b32_e32 v1, 0x80000000, v47
	v_pk_fma_f32 v[10:11], v[38:39], v[42:43], v[10:11] op_sel_hi:[1,0,1]
	v_pk_fma_f32 v[8:9], v[46:47], v[42:43], v[8:9] op_sel:[1,0,0] op_sel_hi:[0,0,1]
	v_mov_b32_e32 v47, v1
	v_pk_fma_f32 v[10:11], v[38:39], v[42:43], v[10:11] op_sel:[1,1,0] op_sel_hi:[0,1,1] neg_lo:[1,0,0]
	v_pk_fma_f32 v[8:9], v[46:47], v[42:43], v[8:9] op_sel:[0,1,0]
	s_waitcnt vmcnt(1)
	v_xor_b32_e32 v1, 0x80000000, v37
	v_pk_fma_f32 v[10:11], v[44:45], v[48:49], v[10:11] op_sel_hi:[1,0,1]
	v_pk_fma_f32 v[8:9], v[36:37], v[48:49], v[8:9] op_sel:[1,0,0] op_sel_hi:[0,0,1]
	v_mov_b32_e32 v37, v1
	v_pk_fma_f32 v[10:11], v[44:45], v[48:49], v[10:11] op_sel:[1,1,0] op_sel_hi:[0,1,1] neg_lo:[1,0,0]
	v_pk_fma_f32 v[8:9], v[36:37], v[48:49], v[8:9] op_sel:[0,1,0]
	s_waitcnt vmcnt(0)
	v_pk_fma_f32 v[10:11], v[24:25], v[28:29], v[10:11] op_sel_hi:[1,0,1]
	v_pk_fma_f32 v[8:9], v[32:33], v[28:29], v[8:9] op_sel:[1,0,0] op_sel_hi:[0,0,1]
	v_mov_b32_e32 v33, v13
	v_pk_fma_f32 v[10:11], v[24:25], v[28:29], v[10:11] op_sel:[1,1,0] op_sel_hi:[0,1,1] neg_lo:[1,0,0]
	v_pk_fma_f32 v[8:9], v[32:33], v[28:29], v[8:9] op_sel:[0,1,0]
	s_andn2_b64 exec, exec, s[2:3]
	s_cbranch_execnz .LBB169_21
; %bb.22:
	s_or_b64 exec, exec, s[2:3]
.LBB169_23:
	s_or_b64 exec, exec, s[4:5]
.LBB169_24:
	v_mov_b32_dpp v12, v9 row_shr:1 row_mask:0xf bank_mask:0xf
	v_add_f32_e32 v9, v9, v12
	v_mov_b32_dpp v0, v10 row_shr:1 row_mask:0xf bank_mask:0xf
	v_add_f32_e32 v0, v10, v0
	;; [unrolled: 2-line block ×5, first 2 shown]
	v_mov_b32_dpp v1, v0 row_shr:2 row_mask:0xf bank_mask:0xf
	v_mov_b32_dpp v12, v8 row_shr:1 row_mask:0xf bank_mask:0xf
	v_add_f32_e32 v8, v8, v12
	v_mov_b32_dpp v11, v10 row_shr:2 row_mask:0xf bank_mask:0xf
	v_add_f32_e32 v0, v0, v1
	;; [unrolled: 2-line block ×3, first 2 shown]
	v_add_f32_e32 v8, v8, v12
	v_mov_b32_dpp v1, v0 row_shr:4 row_mask:0xf bank_mask:0xe
	v_mov_b32_dpp v11, v10 row_shr:4 row_mask:0xf bank_mask:0xe
	;; [unrolled: 1-line block ×3, first 2 shown]
	v_add_f32_e32 v0, v0, v1
	v_add_f32_e32 v10, v10, v11
	;; [unrolled: 1-line block ×3, first 2 shown]
	v_mov_b32_dpp v1, v0 row_shr:8 row_mask:0xf bank_mask:0xc
	v_mov_b32_dpp v11, v10 row_shr:8 row_mask:0xf bank_mask:0xc
	v_mov_b32_dpp v13, v9 row_shr:8 row_mask:0xf bank_mask:0xc
	v_mov_b32_dpp v15, v14 row_shr:8 row_mask:0xf bank_mask:0xc
	v_cmp_eq_u32_e32 vcc, 15, v7
	s_and_b64 exec, exec, vcc
	s_cbranch_execz .LBB169_29
; %bb.25:
	s_load_dwordx2 s[2:3], s[0:1], 0x38
	v_add_f32_e32 v8, v0, v1
	v_and_b32_e32 v1, 0x7fffffff, v4
	v_cmp_eq_u32_e32 vcc, 0, v1
	v_cmp_eq_f32_e64 s[0:1], 0, v5
	v_add_f32_e32 v12, v10, v11
	v_add_f32_e32 v0, v9, v13
	;; [unrolled: 1-line block ×3, first 2 shown]
	s_and_b64 s[0:1], vcc, s[0:1]
	s_and_saveexec_b64 s[4:5], s[0:1]
	s_xor_b64 s[0:1], exec, s[4:5]
	s_cbranch_execz .LBB169_27
; %bb.26:
	v_lshlrev_b32_e32 v4, 1, v6
	v_xor_b32_e32 v14, 0x80000000, v3
	v_ashrrev_i32_e32 v5, 31, v4
	v_mov_b32_e32 v15, v2
	s_waitcnt lgkmcnt(0)
	v_lshl_add_u64 v[16:17], v[4:5], 3, s[2:3]
	v_pk_mul_f32 v[4:5], v[12:13], v[14:15] op_sel_hi:[0,1]
	v_pk_mul_f32 v[6:7], v[10:11], v[14:15] op_sel_hi:[0,1]
	v_pk_fma_f32 v[4:5], v[2:3], v[8:9], v[4:5] op_sel_hi:[1,0,1]
	v_pk_fma_f32 v[6:7], v[2:3], v[0:1], v[6:7] op_sel_hi:[1,0,1]
	global_store_dwordx4 v[16:17], v[4:7], off
                                        ; implicit-def: $vgpr3
                                        ; implicit-def: $vgpr4
                                        ; implicit-def: $vgpr6
                                        ; implicit-def: $vgpr8
                                        ; implicit-def: $vgpr12
                                        ; implicit-def: $vgpr0
                                        ; implicit-def: $vgpr10
.LBB169_27:
	s_andn2_saveexec_b64 s[0:1], s[0:1]
	s_cbranch_execz .LBB169_29
; %bb.28:
	v_lshlrev_b32_e32 v6, 1, v6
	v_ashrrev_i32_e32 v7, 31, v6
	s_waitcnt lgkmcnt(0)
	v_lshl_add_u64 v[6:7], v[6:7], 3, s[2:3]
	global_load_dwordx4 v[14:17], v[6:7], off
	v_xor_b32_e32 v18, 0x80000000, v3
	v_mov_b32_e32 v19, v2
	v_pk_mul_f32 v[12:13], v[12:13], v[18:19] op_sel_hi:[0,1]
	v_pk_mul_f32 v[10:11], v[10:11], v[18:19] op_sel_hi:[0,1]
	v_pk_fma_f32 v[8:9], v[2:3], v[8:9], v[12:13] op_sel_hi:[1,0,1]
	v_pk_fma_f32 v[0:1], v[2:3], v[0:1], v[10:11] op_sel_hi:[1,0,1]
	v_xor_b32_e32 v20, 0x80000000, v5
	v_mov_b32_e32 v21, v4
	s_waitcnt vmcnt(0)
	v_pk_fma_f32 v[2:3], v[4:5], v[14:15], v[8:9] op_sel_hi:[1,0,1]
	v_pk_fma_f32 v[4:5], v[4:5], v[16:17], v[0:1] op_sel_hi:[1,0,1]
	v_mov_b32_e32 v8, v17
	v_pk_fma_f32 v[0:1], v[20:21], v[14:15], v[2:3] op_sel:[0,1,0]
	v_pk_fma_f32 v[2:3], v[20:21], v[8:9], v[4:5] op_sel_hi:[1,0,1]
	global_store_dwordx4 v[6:7], v[0:3], off
.LBB169_29:
	s_endpgm
	.section	.rodata,"a",@progbits
	.p2align	6, 0x0
	.amdhsa_kernel _ZN9rocsparseL19gebsrmvn_2xn_kernelILj128ELj5ELj16E21rocsparse_complex_numIfEEEvi20rocsparse_direction_NS_24const_host_device_scalarIT2_EEPKiS8_PKS5_SA_S6_PS5_21rocsparse_index_base_b
		.amdhsa_group_segment_fixed_size 0
		.amdhsa_private_segment_fixed_size 0
		.amdhsa_kernarg_size 72
		.amdhsa_user_sgpr_count 2
		.amdhsa_user_sgpr_dispatch_ptr 0
		.amdhsa_user_sgpr_queue_ptr 0
		.amdhsa_user_sgpr_kernarg_segment_ptr 1
		.amdhsa_user_sgpr_dispatch_id 0
		.amdhsa_user_sgpr_kernarg_preload_length 0
		.amdhsa_user_sgpr_kernarg_preload_offset 0
		.amdhsa_user_sgpr_private_segment_size 0
		.amdhsa_uses_dynamic_stack 0
		.amdhsa_enable_private_segment 0
		.amdhsa_system_sgpr_workgroup_id_x 1
		.amdhsa_system_sgpr_workgroup_id_y 0
		.amdhsa_system_sgpr_workgroup_id_z 0
		.amdhsa_system_sgpr_workgroup_info 0
		.amdhsa_system_vgpr_workitem_id 0
		.amdhsa_next_free_vgpr 56
		.amdhsa_next_free_sgpr 16
		.amdhsa_accum_offset 56
		.amdhsa_reserve_vcc 1
		.amdhsa_float_round_mode_32 0
		.amdhsa_float_round_mode_16_64 0
		.amdhsa_float_denorm_mode_32 3
		.amdhsa_float_denorm_mode_16_64 3
		.amdhsa_dx10_clamp 1
		.amdhsa_ieee_mode 1
		.amdhsa_fp16_overflow 0
		.amdhsa_tg_split 0
		.amdhsa_exception_fp_ieee_invalid_op 0
		.amdhsa_exception_fp_denorm_src 0
		.amdhsa_exception_fp_ieee_div_zero 0
		.amdhsa_exception_fp_ieee_overflow 0
		.amdhsa_exception_fp_ieee_underflow 0
		.amdhsa_exception_fp_ieee_inexact 0
		.amdhsa_exception_int_div_zero 0
	.end_amdhsa_kernel
	.section	.text._ZN9rocsparseL19gebsrmvn_2xn_kernelILj128ELj5ELj16E21rocsparse_complex_numIfEEEvi20rocsparse_direction_NS_24const_host_device_scalarIT2_EEPKiS8_PKS5_SA_S6_PS5_21rocsparse_index_base_b,"axG",@progbits,_ZN9rocsparseL19gebsrmvn_2xn_kernelILj128ELj5ELj16E21rocsparse_complex_numIfEEEvi20rocsparse_direction_NS_24const_host_device_scalarIT2_EEPKiS8_PKS5_SA_S6_PS5_21rocsparse_index_base_b,comdat
.Lfunc_end169:
	.size	_ZN9rocsparseL19gebsrmvn_2xn_kernelILj128ELj5ELj16E21rocsparse_complex_numIfEEEvi20rocsparse_direction_NS_24const_host_device_scalarIT2_EEPKiS8_PKS5_SA_S6_PS5_21rocsparse_index_base_b, .Lfunc_end169-_ZN9rocsparseL19gebsrmvn_2xn_kernelILj128ELj5ELj16E21rocsparse_complex_numIfEEEvi20rocsparse_direction_NS_24const_host_device_scalarIT2_EEPKiS8_PKS5_SA_S6_PS5_21rocsparse_index_base_b
                                        ; -- End function
	.section	.AMDGPU.csdata,"",@progbits
; Kernel info:
; codeLenInByte = 2116
; NumSgprs: 22
; NumVgprs: 56
; NumAgprs: 0
; TotalNumVgprs: 56
; ScratchSize: 0
; MemoryBound: 0
; FloatMode: 240
; IeeeMode: 1
; LDSByteSize: 0 bytes/workgroup (compile time only)
; SGPRBlocks: 2
; VGPRBlocks: 6
; NumSGPRsForWavesPerEU: 22
; NumVGPRsForWavesPerEU: 56
; AccumOffset: 56
; Occupancy: 8
; WaveLimiterHint : 1
; COMPUTE_PGM_RSRC2:SCRATCH_EN: 0
; COMPUTE_PGM_RSRC2:USER_SGPR: 2
; COMPUTE_PGM_RSRC2:TRAP_HANDLER: 0
; COMPUTE_PGM_RSRC2:TGID_X_EN: 1
; COMPUTE_PGM_RSRC2:TGID_Y_EN: 0
; COMPUTE_PGM_RSRC2:TGID_Z_EN: 0
; COMPUTE_PGM_RSRC2:TIDIG_COMP_CNT: 0
; COMPUTE_PGM_RSRC3_GFX90A:ACCUM_OFFSET: 13
; COMPUTE_PGM_RSRC3_GFX90A:TG_SPLIT: 0
	.section	.text._ZN9rocsparseL19gebsrmvn_2xn_kernelILj128ELj5ELj32E21rocsparse_complex_numIfEEEvi20rocsparse_direction_NS_24const_host_device_scalarIT2_EEPKiS8_PKS5_SA_S6_PS5_21rocsparse_index_base_b,"axG",@progbits,_ZN9rocsparseL19gebsrmvn_2xn_kernelILj128ELj5ELj32E21rocsparse_complex_numIfEEEvi20rocsparse_direction_NS_24const_host_device_scalarIT2_EEPKiS8_PKS5_SA_S6_PS5_21rocsparse_index_base_b,comdat
	.globl	_ZN9rocsparseL19gebsrmvn_2xn_kernelILj128ELj5ELj32E21rocsparse_complex_numIfEEEvi20rocsparse_direction_NS_24const_host_device_scalarIT2_EEPKiS8_PKS5_SA_S6_PS5_21rocsparse_index_base_b ; -- Begin function _ZN9rocsparseL19gebsrmvn_2xn_kernelILj128ELj5ELj32E21rocsparse_complex_numIfEEEvi20rocsparse_direction_NS_24const_host_device_scalarIT2_EEPKiS8_PKS5_SA_S6_PS5_21rocsparse_index_base_b
	.p2align	8
	.type	_ZN9rocsparseL19gebsrmvn_2xn_kernelILj128ELj5ELj32E21rocsparse_complex_numIfEEEvi20rocsparse_direction_NS_24const_host_device_scalarIT2_EEPKiS8_PKS5_SA_S6_PS5_21rocsparse_index_base_b,@function
_ZN9rocsparseL19gebsrmvn_2xn_kernelILj128ELj5ELj32E21rocsparse_complex_numIfEEEvi20rocsparse_direction_NS_24const_host_device_scalarIT2_EEPKiS8_PKS5_SA_S6_PS5_21rocsparse_index_base_b: ; @_ZN9rocsparseL19gebsrmvn_2xn_kernelILj128ELj5ELj32E21rocsparse_complex_numIfEEEvi20rocsparse_direction_NS_24const_host_device_scalarIT2_EEPKiS8_PKS5_SA_S6_PS5_21rocsparse_index_base_b
; %bb.0:
	s_load_dwordx2 s[12:13], s[0:1], 0x40
	s_load_dwordx2 s[8:9], s[0:1], 0x8
	;; [unrolled: 1-line block ×3, first 2 shown]
	s_waitcnt lgkmcnt(0)
	s_bitcmp1_b32 s13, 0
	s_cselect_b64 s[4:5], -1, 0
	s_xor_b64 s[10:11], s[4:5], -1
	s_and_b64 vcc, exec, s[4:5]
	v_mov_b32_e32 v2, s8
	s_cbranch_vccnz .LBB170_2
; %bb.1:
	v_mov_b64_e32 v[2:3], s[8:9]
	flat_load_dword v2, v[2:3]
.LBB170_2:
	v_cndmask_b32_e64 v1, 0, 1, s[10:11]
	v_cmp_ne_u32_e64 s[4:5], 1, v1
	s_andn2_b64 vcc, exec, s[10:11]
	v_mov_b32_e32 v3, s9
	s_cbranch_vccz .LBB170_16
; %bb.3:
	s_and_b64 vcc, exec, s[4:5]
	v_mov_b32_e32 v4, s6
	s_cbranch_vccz .LBB170_17
.LBB170_4:
	s_and_b64 vcc, exec, s[4:5]
	v_mov_b32_e32 v5, s7
	s_cbranch_vccnz .LBB170_6
.LBB170_5:
	v_mov_b64_e32 v[6:7], s[6:7]
	flat_load_dword v5, v[6:7] offset:4
.LBB170_6:
	s_waitcnt vmcnt(0) lgkmcnt(0)
	v_and_b32_e32 v1, 0x7fffffff, v2
	v_cmp_eq_u32_e32 vcc, 0, v1
	v_cmp_eq_f32_e64 s[4:5], 0, v3
	s_and_b64 s[8:9], vcc, s[4:5]
	s_mov_b64 s[4:5], -1
	s_and_saveexec_b64 s[6:7], s[8:9]
; %bb.7:
	v_and_b32_e32 v1, 0x7fffffff, v5
	v_cmp_neq_f32_e32 vcc, 1.0, v4
	v_cmp_ne_u32_e64 s[4:5], 0, v1
	s_or_b64 s[4:5], vcc, s[4:5]
	s_orn2_b64 s[4:5], s[4:5], exec
; %bb.8:
	s_or_b64 exec, exec, s[6:7]
	s_and_saveexec_b64 s[6:7], s[4:5]
	s_cbranch_execz .LBB170_29
; %bb.9:
	s_load_dwordx2 s[14:15], s[0:1], 0x0
	v_lshrrev_b32_e32 v1, 5, v0
	v_lshl_or_b32 v6, s2, 2, v1
	s_waitcnt lgkmcnt(0)
	v_cmp_gt_i32_e32 vcc, s14, v6
	s_and_b64 exec, exec, vcc
	s_cbranch_execz .LBB170_29
; %bb.10:
	s_load_dwordx8 s[4:11], s[0:1], 0x10
	v_ashrrev_i32_e32 v7, 31, v6
	s_cmp_lg_u32 s15, 0
	s_waitcnt lgkmcnt(0)
	v_lshl_add_u64 v[8:9], v[6:7], 2, s[4:5]
	global_load_dwordx2 v[8:9], v[8:9], off
	v_and_b32_e32 v7, 31, v0
	s_waitcnt vmcnt(0)
	v_subrev_u32_e32 v0, s12, v8
	v_subrev_u32_e32 v18, s12, v9
	v_add_u32_e32 v0, v0, v7
	v_cmp_lt_i32_e64 s[2:3], v0, v18
	s_cbranch_scc0 .LBB170_18
; %bb.11:
	v_mov_b32_e32 v11, 0
	v_mov_b32_e32 v10, v11
	;; [unrolled: 1-line block ×4, first 2 shown]
	s_and_saveexec_b64 s[4:5], s[2:3]
	s_cbranch_execz .LBB170_15
; %bb.12:
	v_mad_u64_u32 v[12:13], s[14:15], v0, 10, 8
	v_mov_b32_e32 v15, 0
	s_mov_b64 s[14:15], 0
	v_mov_b32_e32 v16, v0
	v_mov_b32_e32 v8, v15
	;; [unrolled: 1-line block ×5, first 2 shown]
.LBB170_13:                             ; =>This Inner Loop Header: Depth=1
	v_ashrrev_i32_e32 v17, 31, v16
	v_lshl_add_u64 v[20:21], v[16:17], 2, s[6:7]
	global_load_dword v1, v[20:21], off
	v_add_u32_e32 v14, -8, v12
	v_mov_b32_e32 v41, v15
	v_mov_b32_e32 v13, v15
	v_lshl_add_u64 v[28:29], v[14:15], 3, s[8:9]
	v_add_u32_e32 v14, -6, v12
	v_lshl_add_u64 v[30:31], v[12:13], 3, s[8:9]
	global_load_dwordx4 v[20:23], v[28:29], off
	global_load_dwordx4 v[24:27], v[30:31], off
	v_lshl_add_u64 v[28:29], v[14:15], 3, s[8:9]
	global_load_dwordx4 v[28:31], v[28:29], off
	v_add_u32_e32 v16, 32, v16
	v_cmp_ge_i32_e32 vcc, v16, v18
	s_or_b64 s[14:15], vcc, s[14:15]
	s_waitcnt vmcnt(3)
	v_subrev_u32_e32 v1, s12, v1
	v_lshl_add_u32 v40, v1, 2, v1
	v_lshl_add_u64 v[32:33], v[40:41], 3, s[10:11]
	v_add_u32_e32 v14, 1, v40
	global_load_dwordx2 v[42:43], v[32:33], off
	v_lshl_add_u64 v[32:33], v[14:15], 3, s[10:11]
	v_add_u32_e32 v14, -4, v12
	global_load_dwordx2 v[44:45], v[32:33], off
	v_lshl_add_u64 v[32:33], v[14:15], 3, s[8:9]
	v_add_u32_e32 v14, 2, v40
	global_load_dwordx4 v[32:35], v[32:33], off
	v_lshl_add_u64 v[36:37], v[14:15], 3, s[10:11]
	v_add_u32_e32 v14, -2, v12
	global_load_dwordx2 v[46:47], v[36:37], off
	v_lshl_add_u64 v[36:37], v[14:15], 3, s[8:9]
	v_add_u32_e32 v14, 3, v40
	global_load_dwordx4 v[36:39], v[36:37], off
	v_lshl_add_u64 v[48:49], v[14:15], 3, s[10:11]
	v_add_u32_e32 v14, 4, v40
	global_load_dwordx2 v[40:41], v[48:49], off
	v_lshl_add_u64 v[48:49], v[14:15], 3, s[10:11]
	global_load_dwordx2 v[48:49], v[48:49], off
	s_waitcnt vmcnt(9)
	v_mov_b32_e32 v50, v23
	v_mov_b32_e32 v51, v22
	v_xor_b32_e32 v23, 0x80000000, v23
	s_waitcnt vmcnt(7)
	v_mov_b32_e32 v54, v31
	v_mov_b32_e32 v55, v30
	v_xor_b32_e32 v31, 0x80000000, v31
	v_mov_b32_e32 v52, v27
	v_mov_b32_e32 v53, v26
	v_xor_b32_e32 v27, 0x80000000, v27
	v_add_u32_e32 v12, 0x140, v12
	s_waitcnt vmcnt(6)
	v_pk_fma_f32 v[10:11], v[20:21], v[42:43], v[10:11] op_sel_hi:[1,0,1]
	v_pk_fma_f32 v[8:9], v[50:51], v[42:43], v[8:9] op_sel_hi:[1,0,1]
	v_pk_fma_f32 v[10:11], v[20:21], v[42:43], v[10:11] op_sel:[1,1,0] op_sel_hi:[0,1,1] neg_lo:[1,0,0]
	v_pk_fma_f32 v[8:9], v[22:23], v[42:43], v[8:9] op_sel:[0,1,0]
	s_waitcnt vmcnt(5)
	v_pk_fma_f32 v[10:11], v[28:29], v[44:45], v[10:11] op_sel_hi:[1,0,1]
	v_pk_fma_f32 v[8:9], v[54:55], v[44:45], v[8:9] op_sel_hi:[1,0,1]
	s_waitcnt vmcnt(4)
	v_mov_b32_e32 v20, v35
	v_mov_b32_e32 v21, v34
	v_pk_fma_f32 v[10:11], v[28:29], v[44:45], v[10:11] op_sel:[1,1,0] op_sel_hi:[0,1,1] neg_lo:[1,0,0]
	v_pk_fma_f32 v[8:9], v[30:31], v[44:45], v[8:9] op_sel:[0,1,0]
	v_xor_b32_e32 v35, 0x80000000, v35
	s_waitcnt vmcnt(3)
	v_pk_fma_f32 v[10:11], v[32:33], v[46:47], v[10:11] op_sel_hi:[1,0,1]
	v_pk_fma_f32 v[8:9], v[20:21], v[46:47], v[8:9] op_sel_hi:[1,0,1]
	s_waitcnt vmcnt(2)
	v_mov_b32_e32 v20, v39
	v_mov_b32_e32 v21, v38
	v_pk_fma_f32 v[10:11], v[32:33], v[46:47], v[10:11] op_sel:[1,1,0] op_sel_hi:[0,1,1] neg_lo:[1,0,0]
	v_pk_fma_f32 v[8:9], v[34:35], v[46:47], v[8:9] op_sel:[0,1,0]
	v_xor_b32_e32 v39, 0x80000000, v39
	s_waitcnt vmcnt(1)
	v_pk_fma_f32 v[10:11], v[36:37], v[40:41], v[10:11] op_sel_hi:[1,0,1]
	v_pk_fma_f32 v[8:9], v[20:21], v[40:41], v[8:9] op_sel_hi:[1,0,1]
	v_pk_fma_f32 v[10:11], v[36:37], v[40:41], v[10:11] op_sel:[1,1,0] op_sel_hi:[0,1,1] neg_lo:[1,0,0]
	v_pk_fma_f32 v[8:9], v[38:39], v[40:41], v[8:9] op_sel:[0,1,0]
	s_waitcnt vmcnt(0)
	v_pk_fma_f32 v[10:11], v[24:25], v[48:49], v[10:11] op_sel_hi:[1,0,1]
	v_pk_fma_f32 v[8:9], v[52:53], v[48:49], v[8:9] op_sel_hi:[1,0,1]
	v_pk_fma_f32 v[10:11], v[24:25], v[48:49], v[10:11] op_sel:[1,1,0] op_sel_hi:[0,1,1] neg_lo:[1,0,0]
	v_pk_fma_f32 v[8:9], v[26:27], v[48:49], v[8:9] op_sel:[0,1,0]
	s_andn2_b64 exec, exec, s[14:15]
	s_cbranch_execnz .LBB170_13
; %bb.14:
	s_or_b64 exec, exec, s[14:15]
.LBB170_15:
	s_or_b64 exec, exec, s[4:5]
	s_cbranch_execz .LBB170_19
	s_branch .LBB170_24
.LBB170_16:
	v_mov_b64_e32 v[4:5], s[8:9]
	flat_load_dword v3, v[4:5] offset:4
	s_and_b64 vcc, exec, s[4:5]
	v_mov_b32_e32 v4, s6
	s_cbranch_vccnz .LBB170_4
.LBB170_17:
	v_mov_b64_e32 v[4:5], s[6:7]
	flat_load_dword v4, v[4:5]
	s_and_b64 vcc, exec, s[4:5]
	v_mov_b32_e32 v5, s7
	s_cbranch_vccz .LBB170_5
	s_branch .LBB170_6
.LBB170_18:
                                        ; implicit-def: $vgpr11
                                        ; implicit-def: $vgpr9
.LBB170_19:
	v_mov_b32_e32 v11, 0
	v_mov_b32_e32 v10, v11
	;; [unrolled: 1-line block ×4, first 2 shown]
	s_and_saveexec_b64 s[4:5], s[2:3]
	s_cbranch_execz .LBB170_23
; %bb.20:
	v_mad_u64_u32 v[12:13], s[2:3], v0, 10, 9
	v_mov_b32_e32 v15, 0
	s_mov_b64 s[2:3], 0
	v_mov_b32_e32 v8, v15
	v_mov_b32_e32 v9, v15
	;; [unrolled: 1-line block ×4, first 2 shown]
.LBB170_21:                             ; =>This Inner Loop Header: Depth=1
	v_ashrrev_i32_e32 v1, 31, v0
	v_lshl_add_u64 v[16:17], v[0:1], 2, s[6:7]
	global_load_dword v1, v[16:17], off
	v_add_u32_e32 v14, -9, v12
	v_add_u32_e32 v16, -4, v12
	v_mov_b32_e32 v17, v15
	v_mov_b32_e32 v13, v15
	v_lshl_add_u64 v[26:27], v[14:15], 3, s[8:9]
	v_lshl_add_u64 v[16:17], v[16:17], 3, s[8:9]
	;; [unrolled: 1-line block ×3, first 2 shown]
	global_load_dwordx4 v[20:23], v[26:27], off
	global_load_dwordx2 v[30:31], v[16:17], off
	global_load_dwordx2 v[32:33], v[28:29], off
	v_mov_b32_e32 v25, v15
	v_add_u32_e32 v0, 32, v0
	v_cmp_ge_i32_e32 vcc, v0, v18
	s_or_b64 s[2:3], vcc, s[2:3]
	s_waitcnt vmcnt(3)
	v_subrev_u32_e32 v1, s12, v1
	v_lshl_add_u32 v24, v1, 2, v1
	v_add_u32_e32 v14, 1, v24
	v_lshl_add_u64 v[26:27], v[14:15], 3, s[10:11]
	v_add_u32_e32 v14, -3, v12
	v_lshl_add_u64 v[28:29], v[14:15], 3, s[8:9]
	v_add_u32_e32 v14, -7, v12
	v_lshl_add_u64 v[34:35], v[14:15], 3, s[8:9]
	v_add_u32_e32 v14, 2, v24
	v_lshl_add_u64 v[16:17], v[24:25], 3, s[10:11]
	v_lshl_add_u64 v[36:37], v[14:15], 3, s[10:11]
	v_add_u32_e32 v14, -2, v12
	global_load_dwordx2 v[16:17], v[16:17], off
	s_waitcnt vmcnt(2)
	v_xor_b32_e32 v1, 0x80000000, v31
	global_load_dwordx2 v[26:27], v[26:27], off
	s_nop 0
	global_load_dwordx2 v[38:39], v[34:35], off
	global_load_dwordx2 v[40:41], v[28:29], off
	global_load_dwordx2 v[42:43], v[36:37], off
	v_lshl_add_u64 v[28:29], v[14:15], 3, s[8:9]
	v_add_u32_e32 v14, -6, v12
	v_lshl_add_u64 v[34:35], v[14:15], 3, s[8:9]
	v_add_u32_e32 v14, 3, v24
	v_lshl_add_u64 v[36:37], v[14:15], 3, s[10:11]
	v_add_u32_e32 v14, -1, v12
	global_load_dwordx2 v[44:45], v[34:35], off
	global_load_dwordx2 v[46:47], v[28:29], off
	;; [unrolled: 1-line block ×3, first 2 shown]
	v_lshl_add_u64 v[28:29], v[14:15], 3, s[8:9]
	v_add_u32_e32 v14, -5, v12
	v_lshl_add_u64 v[34:35], v[14:15], 3, s[8:9]
	v_add_u32_e32 v14, 4, v24
	global_load_dwordx2 v[24:25], v[34:35], off
	global_load_dwordx2 v[36:37], v[28:29], off
	v_lshl_add_u64 v[28:29], v[14:15], 3, s[10:11]
	global_load_dwordx2 v[28:29], v[28:29], off
	v_xor_b32_e32 v34, 0x80000000, v23
	v_mov_b32_e32 v35, v22
	s_waitcnt vmcnt(11)
	v_xor_b32_e32 v13, 0x80000000, v33
	v_add_u32_e32 v12, 0x140, v12
	s_waitcnt vmcnt(10)
	v_pk_fma_f32 v[10:11], v[20:21], v[16:17], v[10:11] op_sel_hi:[1,0,1]
	v_pk_fma_f32 v[8:9], v[30:31], v[16:17], v[8:9] op_sel:[1,0,0] op_sel_hi:[0,0,1]
	v_mov_b32_e32 v31, v1
	v_pk_fma_f32 v[10:11], v[20:21], v[16:17], v[10:11] op_sel:[1,1,0] op_sel_hi:[0,1,1] neg_lo:[1,0,0]
	v_pk_fma_f32 v[8:9], v[30:31], v[16:17], v[8:9] op_sel:[0,1,0]
	s_waitcnt vmcnt(7)
	v_xor_b32_e32 v1, 0x80000000, v41
	v_pk_fma_f32 v[10:11], v[22:23], v[26:27], v[10:11] op_sel_hi:[1,0,1]
	v_pk_fma_f32 v[8:9], v[40:41], v[26:27], v[8:9] op_sel:[1,0,0] op_sel_hi:[0,0,1]
	v_mov_b32_e32 v41, v1
	v_pk_fma_f32 v[10:11], v[34:35], v[26:27], v[10:11] op_sel:[0,1,0]
	v_pk_fma_f32 v[8:9], v[40:41], v[26:27], v[8:9] op_sel:[0,1,0]
	s_waitcnt vmcnt(4)
	v_xor_b32_e32 v1, 0x80000000, v47
	v_pk_fma_f32 v[10:11], v[38:39], v[42:43], v[10:11] op_sel_hi:[1,0,1]
	v_pk_fma_f32 v[8:9], v[46:47], v[42:43], v[8:9] op_sel:[1,0,0] op_sel_hi:[0,0,1]
	v_mov_b32_e32 v47, v1
	v_pk_fma_f32 v[10:11], v[38:39], v[42:43], v[10:11] op_sel:[1,1,0] op_sel_hi:[0,1,1] neg_lo:[1,0,0]
	v_pk_fma_f32 v[8:9], v[46:47], v[42:43], v[8:9] op_sel:[0,1,0]
	s_waitcnt vmcnt(1)
	v_xor_b32_e32 v1, 0x80000000, v37
	v_pk_fma_f32 v[10:11], v[44:45], v[48:49], v[10:11] op_sel_hi:[1,0,1]
	v_pk_fma_f32 v[8:9], v[36:37], v[48:49], v[8:9] op_sel:[1,0,0] op_sel_hi:[0,0,1]
	v_mov_b32_e32 v37, v1
	v_pk_fma_f32 v[10:11], v[44:45], v[48:49], v[10:11] op_sel:[1,1,0] op_sel_hi:[0,1,1] neg_lo:[1,0,0]
	v_pk_fma_f32 v[8:9], v[36:37], v[48:49], v[8:9] op_sel:[0,1,0]
	s_waitcnt vmcnt(0)
	v_pk_fma_f32 v[10:11], v[24:25], v[28:29], v[10:11] op_sel_hi:[1,0,1]
	v_pk_fma_f32 v[8:9], v[32:33], v[28:29], v[8:9] op_sel:[1,0,0] op_sel_hi:[0,0,1]
	v_mov_b32_e32 v33, v13
	v_pk_fma_f32 v[10:11], v[24:25], v[28:29], v[10:11] op_sel:[1,1,0] op_sel_hi:[0,1,1] neg_lo:[1,0,0]
	v_pk_fma_f32 v[8:9], v[32:33], v[28:29], v[8:9] op_sel:[0,1,0]
	s_andn2_b64 exec, exec, s[2:3]
	s_cbranch_execnz .LBB170_21
; %bb.22:
	s_or_b64 exec, exec, s[2:3]
.LBB170_23:
	s_or_b64 exec, exec, s[4:5]
.LBB170_24:
	v_mov_b32_dpp v12, v9 row_shr:1 row_mask:0xf bank_mask:0xf
	v_add_f32_e32 v9, v9, v12
	v_mov_b32_dpp v0, v10 row_shr:1 row_mask:0xf bank_mask:0xf
	v_add_f32_e32 v0, v10, v0
	;; [unrolled: 2-line block ×5, first 2 shown]
	v_mov_b32_dpp v1, v0 row_shr:2 row_mask:0xf bank_mask:0xf
	v_mov_b32_dpp v11, v10 row_shr:2 row_mask:0xf bank_mask:0xf
	;; [unrolled: 1-line block ×3, first 2 shown]
	v_add_f32_e32 v9, v9, v12
	v_add_f32_e32 v0, v0, v1
	v_mov_b32_dpp v12, v8 row_shr:1 row_mask:0xf bank_mask:0xf
	v_add_f32_e32 v8, v8, v12
	v_add_f32_e32 v10, v10, v11
	v_mov_b32_dpp v1, v0 row_shr:4 row_mask:0xf bank_mask:0xe
	v_mov_b32_dpp v12, v8 row_shr:2 row_mask:0xf bank_mask:0xf
	v_add_f32_e32 v8, v8, v12
	v_mov_b32_dpp v11, v10 row_shr:4 row_mask:0xf bank_mask:0xe
	v_add_f32_e32 v0, v0, v1
	v_mov_b32_dpp v12, v8 row_shr:4 row_mask:0xf bank_mask:0xe
	v_add_f32_e32 v10, v10, v11
	v_add_f32_e32 v8, v8, v12
	v_mov_b32_dpp v1, v0 row_shr:8 row_mask:0xf bank_mask:0xc
	v_mov_b32_dpp v11, v10 row_shr:8 row_mask:0xf bank_mask:0xc
	;; [unrolled: 1-line block ×3, first 2 shown]
	v_add_f32_e32 v0, v0, v1
	v_add_f32_e32 v10, v10, v11
	;; [unrolled: 1-line block ×3, first 2 shown]
	v_mov_b32_dpp v1, v0 row_bcast:15 row_mask:0xa bank_mask:0xf
	v_mov_b32_dpp v11, v10 row_bcast:15 row_mask:0xa bank_mask:0xf
	;; [unrolled: 1-line block ×4, first 2 shown]
	v_cmp_eq_u32_e32 vcc, 31, v7
	s_and_b64 exec, exec, vcc
	s_cbranch_execz .LBB170_29
; %bb.25:
	s_load_dwordx2 s[2:3], s[0:1], 0x38
	v_add_f32_e32 v8, v0, v1
	v_and_b32_e32 v1, 0x7fffffff, v4
	v_cmp_eq_u32_e32 vcc, 0, v1
	v_cmp_eq_f32_e64 s[0:1], 0, v5
	v_add_f32_e32 v12, v10, v11
	v_add_f32_e32 v0, v9, v13
	;; [unrolled: 1-line block ×3, first 2 shown]
	s_and_b64 s[0:1], vcc, s[0:1]
	s_and_saveexec_b64 s[4:5], s[0:1]
	s_xor_b64 s[0:1], exec, s[4:5]
	s_cbranch_execz .LBB170_27
; %bb.26:
	v_lshlrev_b32_e32 v4, 1, v6
	v_xor_b32_e32 v14, 0x80000000, v3
	v_ashrrev_i32_e32 v5, 31, v4
	v_mov_b32_e32 v15, v2
	s_waitcnt lgkmcnt(0)
	v_lshl_add_u64 v[16:17], v[4:5], 3, s[2:3]
	v_pk_mul_f32 v[4:5], v[12:13], v[14:15] op_sel_hi:[0,1]
	v_pk_mul_f32 v[6:7], v[10:11], v[14:15] op_sel_hi:[0,1]
	v_pk_fma_f32 v[4:5], v[2:3], v[8:9], v[4:5] op_sel_hi:[1,0,1]
	v_pk_fma_f32 v[6:7], v[2:3], v[0:1], v[6:7] op_sel_hi:[1,0,1]
	global_store_dwordx4 v[16:17], v[4:7], off
                                        ; implicit-def: $vgpr3
                                        ; implicit-def: $vgpr4
                                        ; implicit-def: $vgpr6
                                        ; implicit-def: $vgpr8
                                        ; implicit-def: $vgpr12
                                        ; implicit-def: $vgpr0
                                        ; implicit-def: $vgpr10
.LBB170_27:
	s_andn2_saveexec_b64 s[0:1], s[0:1]
	s_cbranch_execz .LBB170_29
; %bb.28:
	v_lshlrev_b32_e32 v6, 1, v6
	v_ashrrev_i32_e32 v7, 31, v6
	s_waitcnt lgkmcnt(0)
	v_lshl_add_u64 v[6:7], v[6:7], 3, s[2:3]
	global_load_dwordx4 v[14:17], v[6:7], off
	v_xor_b32_e32 v18, 0x80000000, v3
	v_mov_b32_e32 v19, v2
	v_pk_mul_f32 v[12:13], v[12:13], v[18:19] op_sel_hi:[0,1]
	v_pk_mul_f32 v[10:11], v[10:11], v[18:19] op_sel_hi:[0,1]
	v_pk_fma_f32 v[8:9], v[2:3], v[8:9], v[12:13] op_sel_hi:[1,0,1]
	v_pk_fma_f32 v[0:1], v[2:3], v[0:1], v[10:11] op_sel_hi:[1,0,1]
	v_xor_b32_e32 v20, 0x80000000, v5
	v_mov_b32_e32 v21, v4
	s_waitcnt vmcnt(0)
	v_pk_fma_f32 v[2:3], v[4:5], v[14:15], v[8:9] op_sel_hi:[1,0,1]
	v_pk_fma_f32 v[4:5], v[4:5], v[16:17], v[0:1] op_sel_hi:[1,0,1]
	v_mov_b32_e32 v8, v17
	v_pk_fma_f32 v[0:1], v[20:21], v[14:15], v[2:3] op_sel:[0,1,0]
	v_pk_fma_f32 v[2:3], v[20:21], v[8:9], v[4:5] op_sel_hi:[1,0,1]
	global_store_dwordx4 v[6:7], v[0:3], off
.LBB170_29:
	s_endpgm
	.section	.rodata,"a",@progbits
	.p2align	6, 0x0
	.amdhsa_kernel _ZN9rocsparseL19gebsrmvn_2xn_kernelILj128ELj5ELj32E21rocsparse_complex_numIfEEEvi20rocsparse_direction_NS_24const_host_device_scalarIT2_EEPKiS8_PKS5_SA_S6_PS5_21rocsparse_index_base_b
		.amdhsa_group_segment_fixed_size 0
		.amdhsa_private_segment_fixed_size 0
		.amdhsa_kernarg_size 72
		.amdhsa_user_sgpr_count 2
		.amdhsa_user_sgpr_dispatch_ptr 0
		.amdhsa_user_sgpr_queue_ptr 0
		.amdhsa_user_sgpr_kernarg_segment_ptr 1
		.amdhsa_user_sgpr_dispatch_id 0
		.amdhsa_user_sgpr_kernarg_preload_length 0
		.amdhsa_user_sgpr_kernarg_preload_offset 0
		.amdhsa_user_sgpr_private_segment_size 0
		.amdhsa_uses_dynamic_stack 0
		.amdhsa_enable_private_segment 0
		.amdhsa_system_sgpr_workgroup_id_x 1
		.amdhsa_system_sgpr_workgroup_id_y 0
		.amdhsa_system_sgpr_workgroup_id_z 0
		.amdhsa_system_sgpr_workgroup_info 0
		.amdhsa_system_vgpr_workitem_id 0
		.amdhsa_next_free_vgpr 56
		.amdhsa_next_free_sgpr 16
		.amdhsa_accum_offset 56
		.amdhsa_reserve_vcc 1
		.amdhsa_float_round_mode_32 0
		.amdhsa_float_round_mode_16_64 0
		.amdhsa_float_denorm_mode_32 3
		.amdhsa_float_denorm_mode_16_64 3
		.amdhsa_dx10_clamp 1
		.amdhsa_ieee_mode 1
		.amdhsa_fp16_overflow 0
		.amdhsa_tg_split 0
		.amdhsa_exception_fp_ieee_invalid_op 0
		.amdhsa_exception_fp_denorm_src 0
		.amdhsa_exception_fp_ieee_div_zero 0
		.amdhsa_exception_fp_ieee_overflow 0
		.amdhsa_exception_fp_ieee_underflow 0
		.amdhsa_exception_fp_ieee_inexact 0
		.amdhsa_exception_int_div_zero 0
	.end_amdhsa_kernel
	.section	.text._ZN9rocsparseL19gebsrmvn_2xn_kernelILj128ELj5ELj32E21rocsparse_complex_numIfEEEvi20rocsparse_direction_NS_24const_host_device_scalarIT2_EEPKiS8_PKS5_SA_S6_PS5_21rocsparse_index_base_b,"axG",@progbits,_ZN9rocsparseL19gebsrmvn_2xn_kernelILj128ELj5ELj32E21rocsparse_complex_numIfEEEvi20rocsparse_direction_NS_24const_host_device_scalarIT2_EEPKiS8_PKS5_SA_S6_PS5_21rocsparse_index_base_b,comdat
.Lfunc_end170:
	.size	_ZN9rocsparseL19gebsrmvn_2xn_kernelILj128ELj5ELj32E21rocsparse_complex_numIfEEEvi20rocsparse_direction_NS_24const_host_device_scalarIT2_EEPKiS8_PKS5_SA_S6_PS5_21rocsparse_index_base_b, .Lfunc_end170-_ZN9rocsparseL19gebsrmvn_2xn_kernelILj128ELj5ELj32E21rocsparse_complex_numIfEEEvi20rocsparse_direction_NS_24const_host_device_scalarIT2_EEPKiS8_PKS5_SA_S6_PS5_21rocsparse_index_base_b
                                        ; -- End function
	.section	.AMDGPU.csdata,"",@progbits
; Kernel info:
; codeLenInByte = 2164
; NumSgprs: 22
; NumVgprs: 56
; NumAgprs: 0
; TotalNumVgprs: 56
; ScratchSize: 0
; MemoryBound: 0
; FloatMode: 240
; IeeeMode: 1
; LDSByteSize: 0 bytes/workgroup (compile time only)
; SGPRBlocks: 2
; VGPRBlocks: 6
; NumSGPRsForWavesPerEU: 22
; NumVGPRsForWavesPerEU: 56
; AccumOffset: 56
; Occupancy: 8
; WaveLimiterHint : 1
; COMPUTE_PGM_RSRC2:SCRATCH_EN: 0
; COMPUTE_PGM_RSRC2:USER_SGPR: 2
; COMPUTE_PGM_RSRC2:TRAP_HANDLER: 0
; COMPUTE_PGM_RSRC2:TGID_X_EN: 1
; COMPUTE_PGM_RSRC2:TGID_Y_EN: 0
; COMPUTE_PGM_RSRC2:TGID_Z_EN: 0
; COMPUTE_PGM_RSRC2:TIDIG_COMP_CNT: 0
; COMPUTE_PGM_RSRC3_GFX90A:ACCUM_OFFSET: 13
; COMPUTE_PGM_RSRC3_GFX90A:TG_SPLIT: 0
	.section	.text._ZN9rocsparseL19gebsrmvn_2xn_kernelILj128ELj5ELj64E21rocsparse_complex_numIfEEEvi20rocsparse_direction_NS_24const_host_device_scalarIT2_EEPKiS8_PKS5_SA_S6_PS5_21rocsparse_index_base_b,"axG",@progbits,_ZN9rocsparseL19gebsrmvn_2xn_kernelILj128ELj5ELj64E21rocsparse_complex_numIfEEEvi20rocsparse_direction_NS_24const_host_device_scalarIT2_EEPKiS8_PKS5_SA_S6_PS5_21rocsparse_index_base_b,comdat
	.globl	_ZN9rocsparseL19gebsrmvn_2xn_kernelILj128ELj5ELj64E21rocsparse_complex_numIfEEEvi20rocsparse_direction_NS_24const_host_device_scalarIT2_EEPKiS8_PKS5_SA_S6_PS5_21rocsparse_index_base_b ; -- Begin function _ZN9rocsparseL19gebsrmvn_2xn_kernelILj128ELj5ELj64E21rocsparse_complex_numIfEEEvi20rocsparse_direction_NS_24const_host_device_scalarIT2_EEPKiS8_PKS5_SA_S6_PS5_21rocsparse_index_base_b
	.p2align	8
	.type	_ZN9rocsparseL19gebsrmvn_2xn_kernelILj128ELj5ELj64E21rocsparse_complex_numIfEEEvi20rocsparse_direction_NS_24const_host_device_scalarIT2_EEPKiS8_PKS5_SA_S6_PS5_21rocsparse_index_base_b,@function
_ZN9rocsparseL19gebsrmvn_2xn_kernelILj128ELj5ELj64E21rocsparse_complex_numIfEEEvi20rocsparse_direction_NS_24const_host_device_scalarIT2_EEPKiS8_PKS5_SA_S6_PS5_21rocsparse_index_base_b: ; @_ZN9rocsparseL19gebsrmvn_2xn_kernelILj128ELj5ELj64E21rocsparse_complex_numIfEEEvi20rocsparse_direction_NS_24const_host_device_scalarIT2_EEPKiS8_PKS5_SA_S6_PS5_21rocsparse_index_base_b
; %bb.0:
	s_load_dwordx2 s[12:13], s[0:1], 0x40
	s_load_dwordx2 s[8:9], s[0:1], 0x8
	;; [unrolled: 1-line block ×3, first 2 shown]
	s_waitcnt lgkmcnt(0)
	s_bitcmp1_b32 s13, 0
	s_cselect_b64 s[4:5], -1, 0
	s_xor_b64 s[10:11], s[4:5], -1
	s_and_b64 vcc, exec, s[4:5]
	v_mov_b32_e32 v2, s8
	s_cbranch_vccnz .LBB171_2
; %bb.1:
	v_mov_b64_e32 v[2:3], s[8:9]
	flat_load_dword v2, v[2:3]
.LBB171_2:
	v_cndmask_b32_e64 v1, 0, 1, s[10:11]
	v_cmp_ne_u32_e64 s[4:5], 1, v1
	s_andn2_b64 vcc, exec, s[10:11]
	v_mov_b32_e32 v3, s9
	s_cbranch_vccz .LBB171_16
; %bb.3:
	s_and_b64 vcc, exec, s[4:5]
	v_mov_b32_e32 v4, s6
	s_cbranch_vccz .LBB171_17
.LBB171_4:
	s_and_b64 vcc, exec, s[4:5]
	v_mov_b32_e32 v5, s7
	s_cbranch_vccnz .LBB171_6
.LBB171_5:
	v_mov_b64_e32 v[6:7], s[6:7]
	flat_load_dword v5, v[6:7] offset:4
.LBB171_6:
	s_waitcnt vmcnt(0) lgkmcnt(0)
	v_and_b32_e32 v1, 0x7fffffff, v2
	v_cmp_eq_u32_e32 vcc, 0, v1
	v_cmp_eq_f32_e64 s[4:5], 0, v3
	s_and_b64 s[8:9], vcc, s[4:5]
	s_mov_b64 s[4:5], -1
	s_and_saveexec_b64 s[6:7], s[8:9]
; %bb.7:
	v_and_b32_e32 v1, 0x7fffffff, v5
	v_cmp_neq_f32_e32 vcc, 1.0, v4
	v_cmp_ne_u32_e64 s[4:5], 0, v1
	s_or_b64 s[4:5], vcc, s[4:5]
	s_orn2_b64 s[4:5], s[4:5], exec
; %bb.8:
	s_or_b64 exec, exec, s[6:7]
	s_and_saveexec_b64 s[6:7], s[4:5]
	s_cbranch_execz .LBB171_29
; %bb.9:
	s_load_dwordx2 s[14:15], s[0:1], 0x0
	v_lshrrev_b32_e32 v1, 6, v0
	v_lshl_or_b32 v6, s2, 1, v1
	s_waitcnt lgkmcnt(0)
	v_cmp_gt_i32_e32 vcc, s14, v6
	s_and_b64 exec, exec, vcc
	s_cbranch_execz .LBB171_29
; %bb.10:
	s_load_dwordx8 s[4:11], s[0:1], 0x10
	v_ashrrev_i32_e32 v7, 31, v6
	s_cmp_lg_u32 s15, 0
	s_waitcnt lgkmcnt(0)
	v_lshl_add_u64 v[8:9], v[6:7], 2, s[4:5]
	global_load_dwordx2 v[8:9], v[8:9], off
	v_and_b32_e32 v7, 63, v0
	s_waitcnt vmcnt(0)
	v_subrev_u32_e32 v0, s12, v8
	v_subrev_u32_e32 v18, s12, v9
	v_add_u32_e32 v0, v0, v7
	v_cmp_lt_i32_e64 s[2:3], v0, v18
	s_cbranch_scc0 .LBB171_18
; %bb.11:
	v_mov_b32_e32 v11, 0
	v_mov_b32_e32 v10, v11
	v_mov_b32_e32 v9, v11
	v_mov_b32_e32 v8, v11
	s_and_saveexec_b64 s[4:5], s[2:3]
	s_cbranch_execz .LBB171_15
; %bb.12:
	v_mad_u64_u32 v[12:13], s[14:15], v0, 10, 8
	v_mov_b32_e32 v15, 0
	s_mov_b64 s[14:15], 0
	v_mov_b32_e32 v16, v0
	v_mov_b32_e32 v8, v15
	;; [unrolled: 1-line block ×5, first 2 shown]
.LBB171_13:                             ; =>This Inner Loop Header: Depth=1
	v_ashrrev_i32_e32 v17, 31, v16
	v_lshl_add_u64 v[20:21], v[16:17], 2, s[6:7]
	global_load_dword v1, v[20:21], off
	v_add_u32_e32 v14, -8, v12
	v_mov_b32_e32 v41, v15
	v_mov_b32_e32 v13, v15
	v_lshl_add_u64 v[28:29], v[14:15], 3, s[8:9]
	v_add_u32_e32 v14, -6, v12
	v_lshl_add_u64 v[30:31], v[12:13], 3, s[8:9]
	global_load_dwordx4 v[20:23], v[28:29], off
	global_load_dwordx4 v[24:27], v[30:31], off
	v_lshl_add_u64 v[28:29], v[14:15], 3, s[8:9]
	global_load_dwordx4 v[28:31], v[28:29], off
	v_add_u32_e32 v16, 64, v16
	v_cmp_ge_i32_e32 vcc, v16, v18
	s_or_b64 s[14:15], vcc, s[14:15]
	s_waitcnt vmcnt(3)
	v_subrev_u32_e32 v1, s12, v1
	v_lshl_add_u32 v40, v1, 2, v1
	v_lshl_add_u64 v[32:33], v[40:41], 3, s[10:11]
	v_add_u32_e32 v14, 1, v40
	global_load_dwordx2 v[42:43], v[32:33], off
	v_lshl_add_u64 v[32:33], v[14:15], 3, s[10:11]
	v_add_u32_e32 v14, -4, v12
	global_load_dwordx2 v[44:45], v[32:33], off
	v_lshl_add_u64 v[32:33], v[14:15], 3, s[8:9]
	v_add_u32_e32 v14, 2, v40
	global_load_dwordx4 v[32:35], v[32:33], off
	v_lshl_add_u64 v[36:37], v[14:15], 3, s[10:11]
	v_add_u32_e32 v14, -2, v12
	global_load_dwordx2 v[46:47], v[36:37], off
	v_lshl_add_u64 v[36:37], v[14:15], 3, s[8:9]
	v_add_u32_e32 v14, 3, v40
	global_load_dwordx4 v[36:39], v[36:37], off
	v_lshl_add_u64 v[48:49], v[14:15], 3, s[10:11]
	v_add_u32_e32 v14, 4, v40
	global_load_dwordx2 v[40:41], v[48:49], off
	v_lshl_add_u64 v[48:49], v[14:15], 3, s[10:11]
	global_load_dwordx2 v[48:49], v[48:49], off
	s_waitcnt vmcnt(9)
	v_mov_b32_e32 v50, v23
	v_mov_b32_e32 v51, v22
	v_xor_b32_e32 v23, 0x80000000, v23
	s_waitcnt vmcnt(7)
	v_mov_b32_e32 v54, v31
	v_mov_b32_e32 v55, v30
	v_xor_b32_e32 v31, 0x80000000, v31
	v_mov_b32_e32 v52, v27
	v_mov_b32_e32 v53, v26
	v_xor_b32_e32 v27, 0x80000000, v27
	v_add_u32_e32 v12, 0x280, v12
	s_waitcnt vmcnt(6)
	v_pk_fma_f32 v[10:11], v[20:21], v[42:43], v[10:11] op_sel_hi:[1,0,1]
	v_pk_fma_f32 v[8:9], v[50:51], v[42:43], v[8:9] op_sel_hi:[1,0,1]
	v_pk_fma_f32 v[10:11], v[20:21], v[42:43], v[10:11] op_sel:[1,1,0] op_sel_hi:[0,1,1] neg_lo:[1,0,0]
	v_pk_fma_f32 v[8:9], v[22:23], v[42:43], v[8:9] op_sel:[0,1,0]
	s_waitcnt vmcnt(5)
	v_pk_fma_f32 v[10:11], v[28:29], v[44:45], v[10:11] op_sel_hi:[1,0,1]
	v_pk_fma_f32 v[8:9], v[54:55], v[44:45], v[8:9] op_sel_hi:[1,0,1]
	s_waitcnt vmcnt(4)
	v_mov_b32_e32 v20, v35
	v_mov_b32_e32 v21, v34
	v_pk_fma_f32 v[10:11], v[28:29], v[44:45], v[10:11] op_sel:[1,1,0] op_sel_hi:[0,1,1] neg_lo:[1,0,0]
	v_pk_fma_f32 v[8:9], v[30:31], v[44:45], v[8:9] op_sel:[0,1,0]
	v_xor_b32_e32 v35, 0x80000000, v35
	s_waitcnt vmcnt(3)
	v_pk_fma_f32 v[10:11], v[32:33], v[46:47], v[10:11] op_sel_hi:[1,0,1]
	v_pk_fma_f32 v[8:9], v[20:21], v[46:47], v[8:9] op_sel_hi:[1,0,1]
	s_waitcnt vmcnt(2)
	v_mov_b32_e32 v20, v39
	v_mov_b32_e32 v21, v38
	v_pk_fma_f32 v[10:11], v[32:33], v[46:47], v[10:11] op_sel:[1,1,0] op_sel_hi:[0,1,1] neg_lo:[1,0,0]
	v_pk_fma_f32 v[8:9], v[34:35], v[46:47], v[8:9] op_sel:[0,1,0]
	v_xor_b32_e32 v39, 0x80000000, v39
	s_waitcnt vmcnt(1)
	v_pk_fma_f32 v[10:11], v[36:37], v[40:41], v[10:11] op_sel_hi:[1,0,1]
	v_pk_fma_f32 v[8:9], v[20:21], v[40:41], v[8:9] op_sel_hi:[1,0,1]
	v_pk_fma_f32 v[10:11], v[36:37], v[40:41], v[10:11] op_sel:[1,1,0] op_sel_hi:[0,1,1] neg_lo:[1,0,0]
	v_pk_fma_f32 v[8:9], v[38:39], v[40:41], v[8:9] op_sel:[0,1,0]
	s_waitcnt vmcnt(0)
	v_pk_fma_f32 v[10:11], v[24:25], v[48:49], v[10:11] op_sel_hi:[1,0,1]
	v_pk_fma_f32 v[8:9], v[52:53], v[48:49], v[8:9] op_sel_hi:[1,0,1]
	v_pk_fma_f32 v[10:11], v[24:25], v[48:49], v[10:11] op_sel:[1,1,0] op_sel_hi:[0,1,1] neg_lo:[1,0,0]
	v_pk_fma_f32 v[8:9], v[26:27], v[48:49], v[8:9] op_sel:[0,1,0]
	s_andn2_b64 exec, exec, s[14:15]
	s_cbranch_execnz .LBB171_13
; %bb.14:
	s_or_b64 exec, exec, s[14:15]
.LBB171_15:
	s_or_b64 exec, exec, s[4:5]
	s_cbranch_execz .LBB171_19
	s_branch .LBB171_24
.LBB171_16:
	v_mov_b64_e32 v[4:5], s[8:9]
	flat_load_dword v3, v[4:5] offset:4
	s_and_b64 vcc, exec, s[4:5]
	v_mov_b32_e32 v4, s6
	s_cbranch_vccnz .LBB171_4
.LBB171_17:
	v_mov_b64_e32 v[4:5], s[6:7]
	flat_load_dword v4, v[4:5]
	s_and_b64 vcc, exec, s[4:5]
	v_mov_b32_e32 v5, s7
	s_cbranch_vccz .LBB171_5
	s_branch .LBB171_6
.LBB171_18:
                                        ; implicit-def: $vgpr11
                                        ; implicit-def: $vgpr9
.LBB171_19:
	v_mov_b32_e32 v11, 0
	v_mov_b32_e32 v10, v11
	;; [unrolled: 1-line block ×4, first 2 shown]
	s_and_saveexec_b64 s[4:5], s[2:3]
	s_cbranch_execz .LBB171_23
; %bb.20:
	v_mad_u64_u32 v[12:13], s[2:3], v0, 10, 9
	v_mov_b32_e32 v15, 0
	s_mov_b64 s[2:3], 0
	v_mov_b32_e32 v8, v15
	v_mov_b32_e32 v9, v15
	;; [unrolled: 1-line block ×4, first 2 shown]
.LBB171_21:                             ; =>This Inner Loop Header: Depth=1
	v_ashrrev_i32_e32 v1, 31, v0
	v_lshl_add_u64 v[16:17], v[0:1], 2, s[6:7]
	global_load_dword v1, v[16:17], off
	v_add_u32_e32 v14, -9, v12
	v_add_u32_e32 v16, -4, v12
	v_mov_b32_e32 v17, v15
	v_mov_b32_e32 v13, v15
	v_lshl_add_u64 v[26:27], v[14:15], 3, s[8:9]
	v_lshl_add_u64 v[16:17], v[16:17], 3, s[8:9]
	v_lshl_add_u64 v[28:29], v[12:13], 3, s[8:9]
	global_load_dwordx4 v[20:23], v[26:27], off
	global_load_dwordx2 v[30:31], v[16:17], off
	global_load_dwordx2 v[32:33], v[28:29], off
	v_mov_b32_e32 v25, v15
	v_add_u32_e32 v0, 64, v0
	v_cmp_ge_i32_e32 vcc, v0, v18
	s_or_b64 s[2:3], vcc, s[2:3]
	s_waitcnt vmcnt(3)
	v_subrev_u32_e32 v1, s12, v1
	v_lshl_add_u32 v24, v1, 2, v1
	v_add_u32_e32 v14, 1, v24
	v_lshl_add_u64 v[26:27], v[14:15], 3, s[10:11]
	v_add_u32_e32 v14, -3, v12
	v_lshl_add_u64 v[28:29], v[14:15], 3, s[8:9]
	v_add_u32_e32 v14, -7, v12
	v_lshl_add_u64 v[34:35], v[14:15], 3, s[8:9]
	v_add_u32_e32 v14, 2, v24
	v_lshl_add_u64 v[16:17], v[24:25], 3, s[10:11]
	v_lshl_add_u64 v[36:37], v[14:15], 3, s[10:11]
	v_add_u32_e32 v14, -2, v12
	global_load_dwordx2 v[16:17], v[16:17], off
	s_waitcnt vmcnt(2)
	v_xor_b32_e32 v1, 0x80000000, v31
	global_load_dwordx2 v[26:27], v[26:27], off
	s_nop 0
	global_load_dwordx2 v[38:39], v[34:35], off
	global_load_dwordx2 v[40:41], v[28:29], off
	;; [unrolled: 1-line block ×3, first 2 shown]
	v_lshl_add_u64 v[28:29], v[14:15], 3, s[8:9]
	v_add_u32_e32 v14, -6, v12
	v_lshl_add_u64 v[34:35], v[14:15], 3, s[8:9]
	v_add_u32_e32 v14, 3, v24
	v_lshl_add_u64 v[36:37], v[14:15], 3, s[10:11]
	v_add_u32_e32 v14, -1, v12
	global_load_dwordx2 v[44:45], v[34:35], off
	global_load_dwordx2 v[46:47], v[28:29], off
	;; [unrolled: 1-line block ×3, first 2 shown]
	v_lshl_add_u64 v[28:29], v[14:15], 3, s[8:9]
	v_add_u32_e32 v14, -5, v12
	v_lshl_add_u64 v[34:35], v[14:15], 3, s[8:9]
	v_add_u32_e32 v14, 4, v24
	global_load_dwordx2 v[24:25], v[34:35], off
	global_load_dwordx2 v[36:37], v[28:29], off
	v_lshl_add_u64 v[28:29], v[14:15], 3, s[10:11]
	global_load_dwordx2 v[28:29], v[28:29], off
	v_xor_b32_e32 v34, 0x80000000, v23
	v_mov_b32_e32 v35, v22
	s_waitcnt vmcnt(11)
	v_xor_b32_e32 v13, 0x80000000, v33
	v_add_u32_e32 v12, 0x280, v12
	s_waitcnt vmcnt(10)
	v_pk_fma_f32 v[10:11], v[20:21], v[16:17], v[10:11] op_sel_hi:[1,0,1]
	v_pk_fma_f32 v[8:9], v[30:31], v[16:17], v[8:9] op_sel:[1,0,0] op_sel_hi:[0,0,1]
	v_mov_b32_e32 v31, v1
	v_pk_fma_f32 v[10:11], v[20:21], v[16:17], v[10:11] op_sel:[1,1,0] op_sel_hi:[0,1,1] neg_lo:[1,0,0]
	v_pk_fma_f32 v[8:9], v[30:31], v[16:17], v[8:9] op_sel:[0,1,0]
	s_waitcnt vmcnt(7)
	v_xor_b32_e32 v1, 0x80000000, v41
	v_pk_fma_f32 v[10:11], v[22:23], v[26:27], v[10:11] op_sel_hi:[1,0,1]
	v_pk_fma_f32 v[8:9], v[40:41], v[26:27], v[8:9] op_sel:[1,0,0] op_sel_hi:[0,0,1]
	v_mov_b32_e32 v41, v1
	v_pk_fma_f32 v[10:11], v[34:35], v[26:27], v[10:11] op_sel:[0,1,0]
	v_pk_fma_f32 v[8:9], v[40:41], v[26:27], v[8:9] op_sel:[0,1,0]
	s_waitcnt vmcnt(4)
	v_xor_b32_e32 v1, 0x80000000, v47
	v_pk_fma_f32 v[10:11], v[38:39], v[42:43], v[10:11] op_sel_hi:[1,0,1]
	v_pk_fma_f32 v[8:9], v[46:47], v[42:43], v[8:9] op_sel:[1,0,0] op_sel_hi:[0,0,1]
	v_mov_b32_e32 v47, v1
	v_pk_fma_f32 v[10:11], v[38:39], v[42:43], v[10:11] op_sel:[1,1,0] op_sel_hi:[0,1,1] neg_lo:[1,0,0]
	v_pk_fma_f32 v[8:9], v[46:47], v[42:43], v[8:9] op_sel:[0,1,0]
	s_waitcnt vmcnt(1)
	v_xor_b32_e32 v1, 0x80000000, v37
	v_pk_fma_f32 v[10:11], v[44:45], v[48:49], v[10:11] op_sel_hi:[1,0,1]
	v_pk_fma_f32 v[8:9], v[36:37], v[48:49], v[8:9] op_sel:[1,0,0] op_sel_hi:[0,0,1]
	v_mov_b32_e32 v37, v1
	v_pk_fma_f32 v[10:11], v[44:45], v[48:49], v[10:11] op_sel:[1,1,0] op_sel_hi:[0,1,1] neg_lo:[1,0,0]
	v_pk_fma_f32 v[8:9], v[36:37], v[48:49], v[8:9] op_sel:[0,1,0]
	s_waitcnt vmcnt(0)
	v_pk_fma_f32 v[10:11], v[24:25], v[28:29], v[10:11] op_sel_hi:[1,0,1]
	v_pk_fma_f32 v[8:9], v[32:33], v[28:29], v[8:9] op_sel:[1,0,0] op_sel_hi:[0,0,1]
	v_mov_b32_e32 v33, v13
	v_pk_fma_f32 v[10:11], v[24:25], v[28:29], v[10:11] op_sel:[1,1,0] op_sel_hi:[0,1,1] neg_lo:[1,0,0]
	v_pk_fma_f32 v[8:9], v[32:33], v[28:29], v[8:9] op_sel:[0,1,0]
	s_andn2_b64 exec, exec, s[2:3]
	s_cbranch_execnz .LBB171_21
; %bb.22:
	s_or_b64 exec, exec, s[2:3]
.LBB171_23:
	s_or_b64 exec, exec, s[4:5]
.LBB171_24:
	v_mov_b32_dpp v12, v9 row_shr:1 row_mask:0xf bank_mask:0xf
	v_add_f32_e32 v9, v9, v12
	v_mov_b32_dpp v0, v10 row_shr:1 row_mask:0xf bank_mask:0xf
	v_add_f32_e32 v0, v10, v0
	;; [unrolled: 2-line block ×5, first 2 shown]
	v_mov_b32_dpp v1, v0 row_shr:2 row_mask:0xf bank_mask:0xf
	v_mov_b32_dpp v11, v10 row_shr:2 row_mask:0xf bank_mask:0xf
	v_mov_b32_dpp v12, v9 row_shr:8 row_mask:0xf bank_mask:0xc
	v_add_f32_e32 v9, v9, v12
	v_add_f32_e32 v0, v0, v1
	;; [unrolled: 1-line block ×3, first 2 shown]
	v_mov_b32_dpp v12, v9 row_bcast:15 row_mask:0xa bank_mask:0xf
	v_add_f32_e32 v9, v9, v12
	v_mov_b32_dpp v1, v0 row_shr:4 row_mask:0xf bank_mask:0xe
	v_mov_b32_dpp v12, v8 row_shr:1 row_mask:0xf bank_mask:0xf
	v_add_f32_e32 v8, v8, v12
	v_mov_b32_dpp v11, v10 row_shr:4 row_mask:0xf bank_mask:0xe
	v_add_f32_e32 v0, v0, v1
	;; [unrolled: 2-line block ×3, first 2 shown]
	v_add_f32_e32 v10, v10, v11
	v_mov_b32_dpp v1, v0 row_shr:8 row_mask:0xf bank_mask:0xc
	v_mov_b32_dpp v12, v8 row_shr:4 row_mask:0xf bank_mask:0xe
	v_add_f32_e32 v8, v8, v12
	v_mov_b32_dpp v11, v10 row_shr:8 row_mask:0xf bank_mask:0xc
	v_add_f32_e32 v0, v0, v1
	;; [unrolled: 2-line block ×3, first 2 shown]
	v_add_f32_e32 v8, v8, v12
	v_mov_b32_dpp v1, v0 row_bcast:15 row_mask:0xa bank_mask:0xf
	v_mov_b32_dpp v11, v10 row_bcast:15 row_mask:0xa bank_mask:0xf
	;; [unrolled: 1-line block ×3, first 2 shown]
	v_add_f32_e32 v0, v0, v1
	v_add_f32_e32 v10, v10, v11
	;; [unrolled: 1-line block ×3, first 2 shown]
	v_mov_b32_dpp v1, v0 row_bcast:31 row_mask:0xc bank_mask:0xf
	v_mov_b32_dpp v11, v10 row_bcast:31 row_mask:0xc bank_mask:0xf
	;; [unrolled: 1-line block ×4, first 2 shown]
	v_cmp_eq_u32_e32 vcc, 63, v7
	s_and_b64 exec, exec, vcc
	s_cbranch_execz .LBB171_29
; %bb.25:
	s_load_dwordx2 s[2:3], s[0:1], 0x38
	v_add_f32_e32 v8, v0, v1
	v_and_b32_e32 v1, 0x7fffffff, v4
	v_cmp_eq_u32_e32 vcc, 0, v1
	v_cmp_eq_f32_e64 s[0:1], 0, v5
	v_add_f32_e32 v12, v10, v11
	v_add_f32_e32 v0, v9, v13
	;; [unrolled: 1-line block ×3, first 2 shown]
	s_and_b64 s[0:1], vcc, s[0:1]
	s_and_saveexec_b64 s[4:5], s[0:1]
	s_xor_b64 s[0:1], exec, s[4:5]
	s_cbranch_execz .LBB171_27
; %bb.26:
	v_lshlrev_b32_e32 v4, 1, v6
	v_xor_b32_e32 v14, 0x80000000, v3
	v_ashrrev_i32_e32 v5, 31, v4
	v_mov_b32_e32 v15, v2
	s_waitcnt lgkmcnt(0)
	v_lshl_add_u64 v[16:17], v[4:5], 3, s[2:3]
	v_pk_mul_f32 v[4:5], v[12:13], v[14:15] op_sel_hi:[0,1]
	v_pk_mul_f32 v[6:7], v[10:11], v[14:15] op_sel_hi:[0,1]
	v_pk_fma_f32 v[4:5], v[2:3], v[8:9], v[4:5] op_sel_hi:[1,0,1]
	v_pk_fma_f32 v[6:7], v[2:3], v[0:1], v[6:7] op_sel_hi:[1,0,1]
	global_store_dwordx4 v[16:17], v[4:7], off
                                        ; implicit-def: $vgpr3
                                        ; implicit-def: $vgpr4
                                        ; implicit-def: $vgpr6
                                        ; implicit-def: $vgpr8
                                        ; implicit-def: $vgpr12
                                        ; implicit-def: $vgpr0
                                        ; implicit-def: $vgpr10
.LBB171_27:
	s_andn2_saveexec_b64 s[0:1], s[0:1]
	s_cbranch_execz .LBB171_29
; %bb.28:
	v_lshlrev_b32_e32 v6, 1, v6
	v_ashrrev_i32_e32 v7, 31, v6
	s_waitcnt lgkmcnt(0)
	v_lshl_add_u64 v[6:7], v[6:7], 3, s[2:3]
	global_load_dwordx4 v[14:17], v[6:7], off
	v_xor_b32_e32 v18, 0x80000000, v3
	v_mov_b32_e32 v19, v2
	v_pk_mul_f32 v[12:13], v[12:13], v[18:19] op_sel_hi:[0,1]
	v_pk_mul_f32 v[10:11], v[10:11], v[18:19] op_sel_hi:[0,1]
	v_pk_fma_f32 v[8:9], v[2:3], v[8:9], v[12:13] op_sel_hi:[1,0,1]
	v_pk_fma_f32 v[0:1], v[2:3], v[0:1], v[10:11] op_sel_hi:[1,0,1]
	v_xor_b32_e32 v20, 0x80000000, v5
	v_mov_b32_e32 v21, v4
	s_waitcnt vmcnt(0)
	v_pk_fma_f32 v[2:3], v[4:5], v[14:15], v[8:9] op_sel_hi:[1,0,1]
	v_pk_fma_f32 v[4:5], v[4:5], v[16:17], v[0:1] op_sel_hi:[1,0,1]
	v_mov_b32_e32 v8, v17
	v_pk_fma_f32 v[0:1], v[20:21], v[14:15], v[2:3] op_sel:[0,1,0]
	v_pk_fma_f32 v[2:3], v[20:21], v[8:9], v[4:5] op_sel_hi:[1,0,1]
	global_store_dwordx4 v[6:7], v[0:3], off
.LBB171_29:
	s_endpgm
	.section	.rodata,"a",@progbits
	.p2align	6, 0x0
	.amdhsa_kernel _ZN9rocsparseL19gebsrmvn_2xn_kernelILj128ELj5ELj64E21rocsparse_complex_numIfEEEvi20rocsparse_direction_NS_24const_host_device_scalarIT2_EEPKiS8_PKS5_SA_S6_PS5_21rocsparse_index_base_b
		.amdhsa_group_segment_fixed_size 0
		.amdhsa_private_segment_fixed_size 0
		.amdhsa_kernarg_size 72
		.amdhsa_user_sgpr_count 2
		.amdhsa_user_sgpr_dispatch_ptr 0
		.amdhsa_user_sgpr_queue_ptr 0
		.amdhsa_user_sgpr_kernarg_segment_ptr 1
		.amdhsa_user_sgpr_dispatch_id 0
		.amdhsa_user_sgpr_kernarg_preload_length 0
		.amdhsa_user_sgpr_kernarg_preload_offset 0
		.amdhsa_user_sgpr_private_segment_size 0
		.amdhsa_uses_dynamic_stack 0
		.amdhsa_enable_private_segment 0
		.amdhsa_system_sgpr_workgroup_id_x 1
		.amdhsa_system_sgpr_workgroup_id_y 0
		.amdhsa_system_sgpr_workgroup_id_z 0
		.amdhsa_system_sgpr_workgroup_info 0
		.amdhsa_system_vgpr_workitem_id 0
		.amdhsa_next_free_vgpr 56
		.amdhsa_next_free_sgpr 16
		.amdhsa_accum_offset 56
		.amdhsa_reserve_vcc 1
		.amdhsa_float_round_mode_32 0
		.amdhsa_float_round_mode_16_64 0
		.amdhsa_float_denorm_mode_32 3
		.amdhsa_float_denorm_mode_16_64 3
		.amdhsa_dx10_clamp 1
		.amdhsa_ieee_mode 1
		.amdhsa_fp16_overflow 0
		.amdhsa_tg_split 0
		.amdhsa_exception_fp_ieee_invalid_op 0
		.amdhsa_exception_fp_denorm_src 0
		.amdhsa_exception_fp_ieee_div_zero 0
		.amdhsa_exception_fp_ieee_overflow 0
		.amdhsa_exception_fp_ieee_underflow 0
		.amdhsa_exception_fp_ieee_inexact 0
		.amdhsa_exception_int_div_zero 0
	.end_amdhsa_kernel
	.section	.text._ZN9rocsparseL19gebsrmvn_2xn_kernelILj128ELj5ELj64E21rocsparse_complex_numIfEEEvi20rocsparse_direction_NS_24const_host_device_scalarIT2_EEPKiS8_PKS5_SA_S6_PS5_21rocsparse_index_base_b,"axG",@progbits,_ZN9rocsparseL19gebsrmvn_2xn_kernelILj128ELj5ELj64E21rocsparse_complex_numIfEEEvi20rocsparse_direction_NS_24const_host_device_scalarIT2_EEPKiS8_PKS5_SA_S6_PS5_21rocsparse_index_base_b,comdat
.Lfunc_end171:
	.size	_ZN9rocsparseL19gebsrmvn_2xn_kernelILj128ELj5ELj64E21rocsparse_complex_numIfEEEvi20rocsparse_direction_NS_24const_host_device_scalarIT2_EEPKiS8_PKS5_SA_S6_PS5_21rocsparse_index_base_b, .Lfunc_end171-_ZN9rocsparseL19gebsrmvn_2xn_kernelILj128ELj5ELj64E21rocsparse_complex_numIfEEEvi20rocsparse_direction_NS_24const_host_device_scalarIT2_EEPKiS8_PKS5_SA_S6_PS5_21rocsparse_index_base_b
                                        ; -- End function
	.section	.AMDGPU.csdata,"",@progbits
; Kernel info:
; codeLenInByte = 2212
; NumSgprs: 22
; NumVgprs: 56
; NumAgprs: 0
; TotalNumVgprs: 56
; ScratchSize: 0
; MemoryBound: 0
; FloatMode: 240
; IeeeMode: 1
; LDSByteSize: 0 bytes/workgroup (compile time only)
; SGPRBlocks: 2
; VGPRBlocks: 6
; NumSGPRsForWavesPerEU: 22
; NumVGPRsForWavesPerEU: 56
; AccumOffset: 56
; Occupancy: 8
; WaveLimiterHint : 1
; COMPUTE_PGM_RSRC2:SCRATCH_EN: 0
; COMPUTE_PGM_RSRC2:USER_SGPR: 2
; COMPUTE_PGM_RSRC2:TRAP_HANDLER: 0
; COMPUTE_PGM_RSRC2:TGID_X_EN: 1
; COMPUTE_PGM_RSRC2:TGID_Y_EN: 0
; COMPUTE_PGM_RSRC2:TGID_Z_EN: 0
; COMPUTE_PGM_RSRC2:TIDIG_COMP_CNT: 0
; COMPUTE_PGM_RSRC3_GFX90A:ACCUM_OFFSET: 13
; COMPUTE_PGM_RSRC3_GFX90A:TG_SPLIT: 0
	.section	.text._ZN9rocsparseL19gebsrmvn_2xn_kernelILj128ELj6ELj4E21rocsparse_complex_numIfEEEvi20rocsparse_direction_NS_24const_host_device_scalarIT2_EEPKiS8_PKS5_SA_S6_PS5_21rocsparse_index_base_b,"axG",@progbits,_ZN9rocsparseL19gebsrmvn_2xn_kernelILj128ELj6ELj4E21rocsparse_complex_numIfEEEvi20rocsparse_direction_NS_24const_host_device_scalarIT2_EEPKiS8_PKS5_SA_S6_PS5_21rocsparse_index_base_b,comdat
	.globl	_ZN9rocsparseL19gebsrmvn_2xn_kernelILj128ELj6ELj4E21rocsparse_complex_numIfEEEvi20rocsparse_direction_NS_24const_host_device_scalarIT2_EEPKiS8_PKS5_SA_S6_PS5_21rocsparse_index_base_b ; -- Begin function _ZN9rocsparseL19gebsrmvn_2xn_kernelILj128ELj6ELj4E21rocsparse_complex_numIfEEEvi20rocsparse_direction_NS_24const_host_device_scalarIT2_EEPKiS8_PKS5_SA_S6_PS5_21rocsparse_index_base_b
	.p2align	8
	.type	_ZN9rocsparseL19gebsrmvn_2xn_kernelILj128ELj6ELj4E21rocsparse_complex_numIfEEEvi20rocsparse_direction_NS_24const_host_device_scalarIT2_EEPKiS8_PKS5_SA_S6_PS5_21rocsparse_index_base_b,@function
_ZN9rocsparseL19gebsrmvn_2xn_kernelILj128ELj6ELj4E21rocsparse_complex_numIfEEEvi20rocsparse_direction_NS_24const_host_device_scalarIT2_EEPKiS8_PKS5_SA_S6_PS5_21rocsparse_index_base_b: ; @_ZN9rocsparseL19gebsrmvn_2xn_kernelILj128ELj6ELj4E21rocsparse_complex_numIfEEEvi20rocsparse_direction_NS_24const_host_device_scalarIT2_EEPKiS8_PKS5_SA_S6_PS5_21rocsparse_index_base_b
; %bb.0:
	s_load_dwordx2 s[12:13], s[0:1], 0x40
	s_load_dwordx2 s[8:9], s[0:1], 0x8
	;; [unrolled: 1-line block ×3, first 2 shown]
	s_waitcnt lgkmcnt(0)
	s_bitcmp1_b32 s13, 0
	s_cselect_b64 s[4:5], -1, 0
	s_xor_b64 s[10:11], s[4:5], -1
	s_and_b64 vcc, exec, s[4:5]
	v_mov_b32_e32 v2, s8
	s_cbranch_vccnz .LBB172_2
; %bb.1:
	v_mov_b64_e32 v[2:3], s[8:9]
	flat_load_dword v2, v[2:3]
.LBB172_2:
	v_cndmask_b32_e64 v1, 0, 1, s[10:11]
	v_cmp_ne_u32_e64 s[4:5], 1, v1
	s_andn2_b64 vcc, exec, s[10:11]
	v_mov_b32_e32 v3, s9
	s_cbranch_vccz .LBB172_16
; %bb.3:
	s_and_b64 vcc, exec, s[4:5]
	v_mov_b32_e32 v4, s6
	s_cbranch_vccz .LBB172_17
.LBB172_4:
	s_and_b64 vcc, exec, s[4:5]
	v_mov_b32_e32 v5, s7
	s_cbranch_vccnz .LBB172_6
.LBB172_5:
	v_mov_b64_e32 v[6:7], s[6:7]
	flat_load_dword v5, v[6:7] offset:4
.LBB172_6:
	s_waitcnt vmcnt(0) lgkmcnt(0)
	v_and_b32_e32 v1, 0x7fffffff, v2
	v_cmp_eq_u32_e32 vcc, 0, v1
	v_cmp_eq_f32_e64 s[4:5], 0, v3
	s_and_b64 s[8:9], vcc, s[4:5]
	s_mov_b64 s[4:5], -1
	s_and_saveexec_b64 s[6:7], s[8:9]
; %bb.7:
	v_and_b32_e32 v1, 0x7fffffff, v5
	v_cmp_neq_f32_e32 vcc, 1.0, v4
	v_cmp_ne_u32_e64 s[4:5], 0, v1
	s_or_b64 s[4:5], vcc, s[4:5]
	s_orn2_b64 s[4:5], s[4:5], exec
; %bb.8:
	s_or_b64 exec, exec, s[6:7]
	s_and_saveexec_b64 s[6:7], s[4:5]
	s_cbranch_execz .LBB172_29
; %bb.9:
	s_load_dwordx2 s[14:15], s[0:1], 0x0
	v_lshrrev_b32_e32 v1, 2, v0
	v_lshl_or_b32 v6, s2, 5, v1
	s_waitcnt lgkmcnt(0)
	v_cmp_gt_i32_e32 vcc, s14, v6
	s_and_b64 exec, exec, vcc
	s_cbranch_execz .LBB172_29
; %bb.10:
	s_load_dwordx8 s[4:11], s[0:1], 0x10
	v_ashrrev_i32_e32 v7, 31, v6
	s_cmp_lg_u32 s15, 0
	s_waitcnt lgkmcnt(0)
	v_lshl_add_u64 v[8:9], v[6:7], 2, s[4:5]
	global_load_dwordx2 v[8:9], v[8:9], off
	v_and_b32_e32 v7, 3, v0
	s_waitcnt vmcnt(0)
	v_subrev_u32_e32 v0, s12, v8
	v_subrev_u32_e32 v18, s12, v9
	v_add_u32_e32 v0, v0, v7
	v_cmp_lt_i32_e64 s[2:3], v0, v18
	s_cbranch_scc0 .LBB172_18
; %bb.11:
	v_mov_b32_e32 v11, 0
	v_mov_b32_e32 v10, v11
	v_mov_b32_e32 v9, v11
	v_mov_b32_e32 v8, v11
	s_and_saveexec_b64 s[4:5], s[2:3]
	s_cbranch_execz .LBB172_15
; %bb.12:
	v_mad_u64_u32 v[12:13], s[14:15], v0, 12, 10
	v_mov_b32_e32 v15, 0
	s_mov_b64 s[14:15], 0
	v_mov_b32_e32 v16, v0
	v_mov_b32_e32 v8, v15
	;; [unrolled: 1-line block ×5, first 2 shown]
.LBB172_13:                             ; =>This Inner Loop Header: Depth=1
	v_ashrrev_i32_e32 v17, 31, v16
	v_lshl_add_u64 v[20:21], v[16:17], 2, s[6:7]
	global_load_dword v1, v[20:21], off
	v_add_u32_e32 v14, -10, v12
	v_mov_b32_e32 v41, v15
	v_lshl_add_u64 v[28:29], v[14:15], 3, s[8:9]
	global_load_dwordx4 v[20:23], v[28:29], off offset:16
	global_load_dwordx4 v[24:27], v[28:29], off
	v_add_u32_e32 v14, -6, v12
	v_lshl_add_u64 v[28:29], v[14:15], 3, s[8:9]
	global_load_dwordx4 v[28:31], v[28:29], off
	v_mov_b32_e32 v13, v15
	v_lshl_add_u64 v[56:57], v[12:13], 3, s[8:9]
	v_add_u32_e32 v16, 4, v16
	v_cmp_ge_i32_e32 vcc, v16, v18
	s_or_b64 s[14:15], vcc, s[14:15]
	s_waitcnt vmcnt(3)
	v_subrev_u32_e32 v1, s12, v1
	v_mul_lo_u32 v40, v1, 6
	v_lshl_add_u64 v[32:33], v[40:41], 3, s[10:11]
	global_load_dwordx4 v[32:35], v[32:33], off
	v_add_u32_e32 v14, 2, v40
	v_lshl_add_u64 v[36:37], v[14:15], 3, s[10:11]
	global_load_dwordx4 v[36:39], v[36:37], off
	v_add_u32_e32 v14, -4, v12
	v_lshl_add_u64 v[42:43], v[14:15], 3, s[8:9]
	v_add_u32_e32 v14, -2, v12
	v_lshl_add_u64 v[58:59], v[14:15], 3, s[8:9]
	v_add_u32_e32 v14, 4, v40
	global_load_dwordx4 v[40:43], v[42:43], off
	v_lshl_add_u64 v[60:61], v[14:15], 3, s[10:11]
	global_load_dwordx4 v[44:47], v[58:59], off
	global_load_dwordx4 v[48:51], v[60:61], off
	;; [unrolled: 1-line block ×3, first 2 shown]
	s_waitcnt vmcnt(7)
	v_xor_b32_e32 v56, 0x80000000, v27
	v_mov_b32_e32 v57, v26
	v_xor_b32_e32 v58, 0x80000000, v23
	v_mov_b32_e32 v59, v22
	s_waitcnt vmcnt(6)
	v_xor_b32_e32 v62, 0x80000000, v31
	v_mov_b32_e32 v63, v30
	v_add_u32_e32 v12, 48, v12
	s_waitcnt vmcnt(5)
	v_pk_fma_f32 v[10:11], v[24:25], v[32:33], v[10:11] op_sel_hi:[1,0,1]
	v_pk_fma_f32 v[8:9], v[26:27], v[32:33], v[8:9] op_sel_hi:[1,0,1]
	v_pk_fma_f32 v[10:11], v[24:25], v[32:33], v[10:11] op_sel:[1,1,0] op_sel_hi:[0,1,1] neg_lo:[1,0,0]
	v_pk_fma_f32 v[8:9], v[56:57], v[32:33], v[8:9] op_sel:[0,1,0]
	v_mov_b32_e32 v14, v35
	v_pk_fma_f32 v[10:11], v[20:21], v[34:35], v[10:11] op_sel_hi:[1,0,1]
	v_pk_fma_f32 v[8:9], v[22:23], v[34:35], v[8:9] op_sel_hi:[1,0,1]
	v_pk_fma_f32 v[10:11], v[20:21], v[14:15], v[10:11] op_sel:[1,0,0] op_sel_hi:[0,0,1] neg_lo:[1,0,0]
	v_pk_fma_f32 v[8:9], v[58:59], v[14:15], v[8:9] op_sel_hi:[1,0,1]
	s_waitcnt vmcnt(4)
	v_pk_fma_f32 v[10:11], v[28:29], v[36:37], v[10:11] op_sel_hi:[1,0,1]
	v_pk_fma_f32 v[8:9], v[30:31], v[36:37], v[8:9] op_sel_hi:[1,0,1]
	v_pk_fma_f32 v[10:11], v[28:29], v[36:37], v[10:11] op_sel:[1,1,0] op_sel_hi:[0,1,1] neg_lo:[1,0,0]
	v_pk_fma_f32 v[8:9], v[62:63], v[36:37], v[8:9] op_sel:[0,1,0]
	v_mov_b32_e32 v24, v39
	s_waitcnt vmcnt(3)
	v_xor_b32_e32 v22, 0x80000000, v43
	v_mov_b32_e32 v23, v42
	v_pk_fma_f32 v[10:11], v[40:41], v[38:39], v[10:11] op_sel_hi:[1,0,1]
	v_pk_fma_f32 v[8:9], v[42:43], v[38:39], v[8:9] op_sel_hi:[1,0,1]
	v_pk_fma_f32 v[10:11], v[40:41], v[24:25], v[10:11] op_sel:[1,0,0] op_sel_hi:[0,0,1] neg_lo:[1,0,0]
	v_pk_fma_f32 v[8:9], v[22:23], v[24:25], v[8:9] op_sel_hi:[1,0,1]
	s_waitcnt vmcnt(2)
	v_xor_b32_e32 v20, 0x80000000, v47
	v_mov_b32_e32 v21, v46
	s_waitcnt vmcnt(1)
	v_pk_fma_f32 v[10:11], v[44:45], v[48:49], v[10:11] op_sel_hi:[1,0,1]
	v_pk_fma_f32 v[8:9], v[46:47], v[48:49], v[8:9] op_sel_hi:[1,0,1]
	v_pk_fma_f32 v[10:11], v[44:45], v[48:49], v[10:11] op_sel:[1,1,0] op_sel_hi:[0,1,1] neg_lo:[1,0,0]
	v_pk_fma_f32 v[8:9], v[20:21], v[48:49], v[8:9] op_sel:[0,1,0]
	s_waitcnt vmcnt(0)
	v_xor_b32_e32 v60, 0x80000000, v55
	v_mov_b32_e32 v61, v54
	v_mov_b32_e32 v14, v51
	v_pk_fma_f32 v[10:11], v[52:53], v[50:51], v[10:11] op_sel_hi:[1,0,1]
	v_pk_fma_f32 v[8:9], v[54:55], v[50:51], v[8:9] op_sel_hi:[1,0,1]
	v_pk_fma_f32 v[10:11], v[52:53], v[14:15], v[10:11] op_sel:[1,0,0] op_sel_hi:[0,0,1] neg_lo:[1,0,0]
	v_pk_fma_f32 v[8:9], v[60:61], v[14:15], v[8:9] op_sel_hi:[1,0,1]
	s_andn2_b64 exec, exec, s[14:15]
	s_cbranch_execnz .LBB172_13
; %bb.14:
	s_or_b64 exec, exec, s[14:15]
.LBB172_15:
	s_or_b64 exec, exec, s[4:5]
	s_cbranch_execz .LBB172_19
	s_branch .LBB172_24
.LBB172_16:
	v_mov_b64_e32 v[4:5], s[8:9]
	flat_load_dword v3, v[4:5] offset:4
	s_and_b64 vcc, exec, s[4:5]
	v_mov_b32_e32 v4, s6
	s_cbranch_vccnz .LBB172_4
.LBB172_17:
	v_mov_b64_e32 v[4:5], s[6:7]
	flat_load_dword v4, v[4:5]
	s_and_b64 vcc, exec, s[4:5]
	v_mov_b32_e32 v5, s7
	s_cbranch_vccz .LBB172_5
	s_branch .LBB172_6
.LBB172_18:
                                        ; implicit-def: $vgpr11
                                        ; implicit-def: $vgpr9
.LBB172_19:
	v_mov_b32_e32 v11, 0
	v_mov_b32_e32 v10, v11
	;; [unrolled: 1-line block ×4, first 2 shown]
	s_and_saveexec_b64 s[4:5], s[2:3]
	s_cbranch_execz .LBB172_23
; %bb.20:
	v_mad_u64_u32 v[12:13], s[2:3], v0, 12, 11
	v_mov_b32_e32 v15, 0
	s_mov_b64 s[2:3], 0
	v_mov_b32_e32 v8, v15
	v_mov_b32_e32 v9, v15
	;; [unrolled: 1-line block ×4, first 2 shown]
.LBB172_21:                             ; =>This Inner Loop Header: Depth=1
	v_ashrrev_i32_e32 v1, 31, v0
	v_lshl_add_u64 v[16:17], v[0:1], 2, s[6:7]
	global_load_dword v1, v[16:17], off
	v_add_u32_e32 v14, -11, v12
	v_add_u32_e32 v16, -5, v12
	v_mov_b32_e32 v17, v15
	v_mov_b32_e32 v37, v15
	v_lshl_add_u64 v[28:29], v[14:15], 3, s[8:9]
	v_lshl_add_u64 v[16:17], v[16:17], 3, s[8:9]
	v_add_u32_e32 v14, -4, v12
	global_load_dwordx4 v[20:23], v[28:29], off offset:16
	global_load_dwordx4 v[24:27], v[28:29], off
	v_lshl_add_u64 v[28:29], v[14:15], 3, s[8:9]
	global_load_dwordx2 v[42:43], v[16:17], off
	global_load_dwordx2 v[44:45], v[28:29], off
	v_mov_b32_e32 v13, v15
	v_lshl_add_u64 v[40:41], v[12:13], 3, s[8:9]
	v_add_u32_e32 v0, 4, v0
	v_cmp_ge_i32_e32 vcc, v0, v18
	s_or_b64 s[2:3], vcc, s[2:3]
	s_waitcnt vmcnt(4)
	v_subrev_u32_e32 v1, s12, v1
	v_mul_lo_u32 v36, v1, 6
	v_lshl_add_u64 v[16:17], v[36:37], 3, s[10:11]
	global_load_dwordx4 v[28:31], v[16:17], off
	v_add_u32_e32 v14, 2, v36
	v_lshl_add_u64 v[16:17], v[14:15], 3, s[10:11]
	v_add_u32_e32 v14, -3, v12
	global_load_dwordx4 v[32:35], v[16:17], off
	v_lshl_add_u64 v[16:17], v[14:15], 3, s[8:9]
	v_add_u32_e32 v14, -2, v12
	global_load_dwordx2 v[16:17], v[16:17], off
	v_lshl_add_u64 v[46:47], v[14:15], 3, s[8:9]
	v_add_u32_e32 v14, -7, v12
	v_lshl_add_u64 v[48:49], v[14:15], 3, s[8:9]
	v_add_u32_e32 v14, 4, v36
	v_lshl_add_u64 v[50:51], v[14:15], 3, s[10:11]
	v_add_u32_e32 v14, -1, v12
	global_load_dwordx2 v[52:53], v[48:49], off
	global_load_dwordx2 v[54:55], v[46:47], off
	global_load_dwordx4 v[36:39], v[50:51], off
	v_lshl_add_u64 v[46:47], v[14:15], 3, s[8:9]
	v_add_u32_e32 v14, -6, v12
	v_lshl_add_u64 v[48:49], v[14:15], 3, s[8:9]
	global_load_dwordx2 v[50:51], v[40:41], off
	global_load_dwordx2 v[56:57], v[46:47], off
	;; [unrolled: 1-line block ×3, first 2 shown]
	s_waitcnt vmcnt(11)
	v_xor_b32_e32 v40, 0x80000000, v27
	v_mov_b32_e32 v41, v26
	v_xor_b32_e32 v46, 0x80000000, v23
	v_mov_b32_e32 v47, v22
	v_add_u32_e32 v12, 48, v12
	s_waitcnt vmcnt(8)
	v_pk_fma_f32 v[10:11], v[24:25], v[28:29], v[10:11] op_sel_hi:[1,0,1]
	v_pk_fma_f32 v[8:9], v[42:43], v[28:29], v[8:9] op_sel_hi:[1,0,1]
	v_pk_fma_f32 v[10:11], v[24:25], v[28:29], v[10:11] op_sel:[1,1,0] op_sel_hi:[0,1,1] neg_lo:[1,0,0]
	v_pk_fma_f32 v[8:9], v[42:43], v[28:29], v[8:9] op_sel:[1,1,0] op_sel_hi:[0,1,1] neg_lo:[1,0,0]
	v_mov_b32_e32 v14, v31
	v_pk_fma_f32 v[10:11], v[26:27], v[30:31], v[10:11] op_sel_hi:[1,0,1]
	v_pk_fma_f32 v[8:9], v[44:45], v[30:31], v[8:9] op_sel_hi:[1,0,1]
	;; [unrolled: 1-line block ×3, first 2 shown]
	v_pk_fma_f32 v[8:9], v[44:45], v[14:15], v[8:9] op_sel:[1,0,0] op_sel_hi:[0,0,1] neg_lo:[1,0,0]
	s_waitcnt vmcnt(7)
	v_pk_fma_f32 v[10:11], v[20:21], v[32:33], v[10:11] op_sel_hi:[1,0,1]
	s_waitcnt vmcnt(6)
	v_pk_fma_f32 v[8:9], v[16:17], v[32:33], v[8:9] op_sel_hi:[1,0,1]
	v_pk_fma_f32 v[10:11], v[20:21], v[32:33], v[10:11] op_sel:[1,1,0] op_sel_hi:[0,1,1] neg_lo:[1,0,0]
	v_pk_fma_f32 v[8:9], v[16:17], v[32:33], v[8:9] op_sel:[1,1,0] op_sel_hi:[0,1,1] neg_lo:[1,0,0]
	v_mov_b32_e32 v24, v35
	v_pk_fma_f32 v[10:11], v[22:23], v[34:35], v[10:11] op_sel_hi:[1,0,1]
	s_waitcnt vmcnt(4)
	v_pk_fma_f32 v[8:9], v[54:55], v[34:35], v[8:9] op_sel_hi:[1,0,1]
	v_pk_fma_f32 v[10:11], v[46:47], v[24:25], v[10:11] op_sel_hi:[1,0,1]
	v_pk_fma_f32 v[8:9], v[54:55], v[24:25], v[8:9] op_sel:[1,0,0] op_sel_hi:[0,0,1] neg_lo:[1,0,0]
	s_waitcnt vmcnt(3)
	v_pk_fma_f32 v[10:11], v[52:53], v[36:37], v[10:11] op_sel_hi:[1,0,1]
	s_waitcnt vmcnt(1)
	v_pk_fma_f32 v[8:9], v[56:57], v[36:37], v[8:9] op_sel_hi:[1,0,1]
	v_pk_fma_f32 v[10:11], v[52:53], v[36:37], v[10:11] op_sel:[1,1,0] op_sel_hi:[0,1,1] neg_lo:[1,0,0]
	v_pk_fma_f32 v[8:9], v[56:57], v[36:37], v[8:9] op_sel:[1,1,0] op_sel_hi:[0,1,1] neg_lo:[1,0,0]
	v_mov_b32_e32 v14, v39
	s_waitcnt vmcnt(0)
	v_pk_fma_f32 v[10:11], v[58:59], v[38:39], v[10:11] op_sel_hi:[1,0,1]
	v_pk_fma_f32 v[8:9], v[50:51], v[38:39], v[8:9] op_sel_hi:[1,0,1]
	v_pk_fma_f32 v[10:11], v[58:59], v[14:15], v[10:11] op_sel:[1,0,0] op_sel_hi:[0,0,1] neg_lo:[1,0,0]
	v_pk_fma_f32 v[8:9], v[50:51], v[14:15], v[8:9] op_sel:[1,0,0] op_sel_hi:[0,0,1] neg_lo:[1,0,0]
	s_andn2_b64 exec, exec, s[2:3]
	s_cbranch_execnz .LBB172_21
; %bb.22:
	s_or_b64 exec, exec, s[2:3]
.LBB172_23:
	s_or_b64 exec, exec, s[4:5]
.LBB172_24:
	v_mov_b32_dpp v0, v10 row_shr:1 row_mask:0xf bank_mask:0xf
	v_mov_b32_dpp v12, v8 row_shr:1 row_mask:0xf bank_mask:0xf
	v_add_f32_e32 v0, v10, v0
	v_mov_b32_dpp v10, v11 row_shr:1 row_mask:0xf bank_mask:0xf
	v_add_f32_e32 v13, v8, v12
	;; [unrolled: 2-line block ×3, first 2 shown]
	v_add_f32_e32 v9, v9, v8
	v_mov_b32_dpp v1, v0 row_shr:2 row_mask:0xf bank_mask:0xf
	v_mov_b32_dpp v11, v10 row_shr:2 row_mask:0xf bank_mask:0xf
	;; [unrolled: 1-line block ×4, first 2 shown]
	v_cmp_eq_u32_e32 vcc, 3, v7
	s_and_b64 exec, exec, vcc
	s_cbranch_execz .LBB172_29
; %bb.25:
	s_load_dwordx2 s[2:3], s[0:1], 0x38
	v_add_f32_e32 v8, v0, v1
	v_and_b32_e32 v1, 0x7fffffff, v4
	v_cmp_eq_u32_e32 vcc, 0, v1
	v_cmp_eq_f32_e64 s[0:1], 0, v5
	v_add_f32_e32 v12, v10, v11
	v_add_f32_e32 v0, v13, v14
	;; [unrolled: 1-line block ×3, first 2 shown]
	s_and_b64 s[0:1], vcc, s[0:1]
	s_and_saveexec_b64 s[4:5], s[0:1]
	s_xor_b64 s[0:1], exec, s[4:5]
	s_cbranch_execz .LBB172_27
; %bb.26:
	v_lshlrev_b32_e32 v4, 1, v6
	v_xor_b32_e32 v14, 0x80000000, v3
	v_ashrrev_i32_e32 v5, 31, v4
	v_mov_b32_e32 v15, v2
	s_waitcnt lgkmcnt(0)
	v_lshl_add_u64 v[16:17], v[4:5], 3, s[2:3]
	v_pk_mul_f32 v[4:5], v[12:13], v[14:15] op_sel_hi:[0,1]
	v_pk_mul_f32 v[6:7], v[10:11], v[14:15] op_sel_hi:[0,1]
	v_pk_fma_f32 v[4:5], v[2:3], v[8:9], v[4:5] op_sel_hi:[1,0,1]
	v_pk_fma_f32 v[6:7], v[2:3], v[0:1], v[6:7] op_sel_hi:[1,0,1]
	global_store_dwordx4 v[16:17], v[4:7], off
                                        ; implicit-def: $vgpr3
                                        ; implicit-def: $vgpr4
                                        ; implicit-def: $vgpr6
                                        ; implicit-def: $vgpr8
                                        ; implicit-def: $vgpr12
                                        ; implicit-def: $vgpr0
                                        ; implicit-def: $vgpr10
.LBB172_27:
	s_andn2_saveexec_b64 s[0:1], s[0:1]
	s_cbranch_execz .LBB172_29
; %bb.28:
	v_lshlrev_b32_e32 v6, 1, v6
	v_ashrrev_i32_e32 v7, 31, v6
	s_waitcnt lgkmcnt(0)
	v_lshl_add_u64 v[6:7], v[6:7], 3, s[2:3]
	global_load_dwordx4 v[14:17], v[6:7], off
	v_xor_b32_e32 v18, 0x80000000, v3
	v_mov_b32_e32 v19, v2
	v_pk_mul_f32 v[12:13], v[12:13], v[18:19] op_sel_hi:[0,1]
	v_pk_mul_f32 v[10:11], v[10:11], v[18:19] op_sel_hi:[0,1]
	v_pk_fma_f32 v[8:9], v[2:3], v[8:9], v[12:13] op_sel_hi:[1,0,1]
	v_pk_fma_f32 v[0:1], v[2:3], v[0:1], v[10:11] op_sel_hi:[1,0,1]
	v_xor_b32_e32 v20, 0x80000000, v5
	v_mov_b32_e32 v21, v4
	s_waitcnt vmcnt(0)
	v_pk_fma_f32 v[2:3], v[4:5], v[14:15], v[8:9] op_sel_hi:[1,0,1]
	v_pk_fma_f32 v[4:5], v[4:5], v[16:17], v[0:1] op_sel_hi:[1,0,1]
	v_mov_b32_e32 v8, v17
	v_pk_fma_f32 v[0:1], v[20:21], v[14:15], v[2:3] op_sel:[0,1,0]
	v_pk_fma_f32 v[2:3], v[20:21], v[8:9], v[4:5] op_sel_hi:[1,0,1]
	global_store_dwordx4 v[6:7], v[0:3], off
.LBB172_29:
	s_endpgm
	.section	.rodata,"a",@progbits
	.p2align	6, 0x0
	.amdhsa_kernel _ZN9rocsparseL19gebsrmvn_2xn_kernelILj128ELj6ELj4E21rocsparse_complex_numIfEEEvi20rocsparse_direction_NS_24const_host_device_scalarIT2_EEPKiS8_PKS5_SA_S6_PS5_21rocsparse_index_base_b
		.amdhsa_group_segment_fixed_size 0
		.amdhsa_private_segment_fixed_size 0
		.amdhsa_kernarg_size 72
		.amdhsa_user_sgpr_count 2
		.amdhsa_user_sgpr_dispatch_ptr 0
		.amdhsa_user_sgpr_queue_ptr 0
		.amdhsa_user_sgpr_kernarg_segment_ptr 1
		.amdhsa_user_sgpr_dispatch_id 0
		.amdhsa_user_sgpr_kernarg_preload_length 0
		.amdhsa_user_sgpr_kernarg_preload_offset 0
		.amdhsa_user_sgpr_private_segment_size 0
		.amdhsa_uses_dynamic_stack 0
		.amdhsa_enable_private_segment 0
		.amdhsa_system_sgpr_workgroup_id_x 1
		.amdhsa_system_sgpr_workgroup_id_y 0
		.amdhsa_system_sgpr_workgroup_id_z 0
		.amdhsa_system_sgpr_workgroup_info 0
		.amdhsa_system_vgpr_workitem_id 0
		.amdhsa_next_free_vgpr 64
		.amdhsa_next_free_sgpr 16
		.amdhsa_accum_offset 64
		.amdhsa_reserve_vcc 1
		.amdhsa_float_round_mode_32 0
		.amdhsa_float_round_mode_16_64 0
		.amdhsa_float_denorm_mode_32 3
		.amdhsa_float_denorm_mode_16_64 3
		.amdhsa_dx10_clamp 1
		.amdhsa_ieee_mode 1
		.amdhsa_fp16_overflow 0
		.amdhsa_tg_split 0
		.amdhsa_exception_fp_ieee_invalid_op 0
		.amdhsa_exception_fp_denorm_src 0
		.amdhsa_exception_fp_ieee_div_zero 0
		.amdhsa_exception_fp_ieee_overflow 0
		.amdhsa_exception_fp_ieee_underflow 0
		.amdhsa_exception_fp_ieee_inexact 0
		.amdhsa_exception_int_div_zero 0
	.end_amdhsa_kernel
	.section	.text._ZN9rocsparseL19gebsrmvn_2xn_kernelILj128ELj6ELj4E21rocsparse_complex_numIfEEEvi20rocsparse_direction_NS_24const_host_device_scalarIT2_EEPKiS8_PKS5_SA_S6_PS5_21rocsparse_index_base_b,"axG",@progbits,_ZN9rocsparseL19gebsrmvn_2xn_kernelILj128ELj6ELj4E21rocsparse_complex_numIfEEEvi20rocsparse_direction_NS_24const_host_device_scalarIT2_EEPKiS8_PKS5_SA_S6_PS5_21rocsparse_index_base_b,comdat
.Lfunc_end172:
	.size	_ZN9rocsparseL19gebsrmvn_2xn_kernelILj128ELj6ELj4E21rocsparse_complex_numIfEEEvi20rocsparse_direction_NS_24const_host_device_scalarIT2_EEPKiS8_PKS5_SA_S6_PS5_21rocsparse_index_base_b, .Lfunc_end172-_ZN9rocsparseL19gebsrmvn_2xn_kernelILj128ELj6ELj4E21rocsparse_complex_numIfEEEvi20rocsparse_direction_NS_24const_host_device_scalarIT2_EEPKiS8_PKS5_SA_S6_PS5_21rocsparse_index_base_b
                                        ; -- End function
	.section	.AMDGPU.csdata,"",@progbits
; Kernel info:
; codeLenInByte = 1976
; NumSgprs: 22
; NumVgprs: 64
; NumAgprs: 0
; TotalNumVgprs: 64
; ScratchSize: 0
; MemoryBound: 0
; FloatMode: 240
; IeeeMode: 1
; LDSByteSize: 0 bytes/workgroup (compile time only)
; SGPRBlocks: 2
; VGPRBlocks: 7
; NumSGPRsForWavesPerEU: 22
; NumVGPRsForWavesPerEU: 64
; AccumOffset: 64
; Occupancy: 8
; WaveLimiterHint : 1
; COMPUTE_PGM_RSRC2:SCRATCH_EN: 0
; COMPUTE_PGM_RSRC2:USER_SGPR: 2
; COMPUTE_PGM_RSRC2:TRAP_HANDLER: 0
; COMPUTE_PGM_RSRC2:TGID_X_EN: 1
; COMPUTE_PGM_RSRC2:TGID_Y_EN: 0
; COMPUTE_PGM_RSRC2:TGID_Z_EN: 0
; COMPUTE_PGM_RSRC2:TIDIG_COMP_CNT: 0
; COMPUTE_PGM_RSRC3_GFX90A:ACCUM_OFFSET: 15
; COMPUTE_PGM_RSRC3_GFX90A:TG_SPLIT: 0
	.section	.text._ZN9rocsparseL19gebsrmvn_2xn_kernelILj128ELj6ELj8E21rocsparse_complex_numIfEEEvi20rocsparse_direction_NS_24const_host_device_scalarIT2_EEPKiS8_PKS5_SA_S6_PS5_21rocsparse_index_base_b,"axG",@progbits,_ZN9rocsparseL19gebsrmvn_2xn_kernelILj128ELj6ELj8E21rocsparse_complex_numIfEEEvi20rocsparse_direction_NS_24const_host_device_scalarIT2_EEPKiS8_PKS5_SA_S6_PS5_21rocsparse_index_base_b,comdat
	.globl	_ZN9rocsparseL19gebsrmvn_2xn_kernelILj128ELj6ELj8E21rocsparse_complex_numIfEEEvi20rocsparse_direction_NS_24const_host_device_scalarIT2_EEPKiS8_PKS5_SA_S6_PS5_21rocsparse_index_base_b ; -- Begin function _ZN9rocsparseL19gebsrmvn_2xn_kernelILj128ELj6ELj8E21rocsparse_complex_numIfEEEvi20rocsparse_direction_NS_24const_host_device_scalarIT2_EEPKiS8_PKS5_SA_S6_PS5_21rocsparse_index_base_b
	.p2align	8
	.type	_ZN9rocsparseL19gebsrmvn_2xn_kernelILj128ELj6ELj8E21rocsparse_complex_numIfEEEvi20rocsparse_direction_NS_24const_host_device_scalarIT2_EEPKiS8_PKS5_SA_S6_PS5_21rocsparse_index_base_b,@function
_ZN9rocsparseL19gebsrmvn_2xn_kernelILj128ELj6ELj8E21rocsparse_complex_numIfEEEvi20rocsparse_direction_NS_24const_host_device_scalarIT2_EEPKiS8_PKS5_SA_S6_PS5_21rocsparse_index_base_b: ; @_ZN9rocsparseL19gebsrmvn_2xn_kernelILj128ELj6ELj8E21rocsparse_complex_numIfEEEvi20rocsparse_direction_NS_24const_host_device_scalarIT2_EEPKiS8_PKS5_SA_S6_PS5_21rocsparse_index_base_b
; %bb.0:
	s_load_dwordx2 s[12:13], s[0:1], 0x40
	s_load_dwordx2 s[8:9], s[0:1], 0x8
	;; [unrolled: 1-line block ×3, first 2 shown]
	s_waitcnt lgkmcnt(0)
	s_bitcmp1_b32 s13, 0
	s_cselect_b64 s[4:5], -1, 0
	s_xor_b64 s[10:11], s[4:5], -1
	s_and_b64 vcc, exec, s[4:5]
	v_mov_b32_e32 v2, s8
	s_cbranch_vccnz .LBB173_2
; %bb.1:
	v_mov_b64_e32 v[2:3], s[8:9]
	flat_load_dword v2, v[2:3]
.LBB173_2:
	v_cndmask_b32_e64 v1, 0, 1, s[10:11]
	v_cmp_ne_u32_e64 s[4:5], 1, v1
	s_andn2_b64 vcc, exec, s[10:11]
	v_mov_b32_e32 v3, s9
	s_cbranch_vccz .LBB173_16
; %bb.3:
	s_and_b64 vcc, exec, s[4:5]
	v_mov_b32_e32 v4, s6
	s_cbranch_vccz .LBB173_17
.LBB173_4:
	s_and_b64 vcc, exec, s[4:5]
	v_mov_b32_e32 v5, s7
	s_cbranch_vccnz .LBB173_6
.LBB173_5:
	v_mov_b64_e32 v[6:7], s[6:7]
	flat_load_dword v5, v[6:7] offset:4
.LBB173_6:
	s_waitcnt vmcnt(0) lgkmcnt(0)
	v_and_b32_e32 v1, 0x7fffffff, v2
	v_cmp_eq_u32_e32 vcc, 0, v1
	v_cmp_eq_f32_e64 s[4:5], 0, v3
	s_and_b64 s[8:9], vcc, s[4:5]
	s_mov_b64 s[4:5], -1
	s_and_saveexec_b64 s[6:7], s[8:9]
; %bb.7:
	v_and_b32_e32 v1, 0x7fffffff, v5
	v_cmp_neq_f32_e32 vcc, 1.0, v4
	v_cmp_ne_u32_e64 s[4:5], 0, v1
	s_or_b64 s[4:5], vcc, s[4:5]
	s_orn2_b64 s[4:5], s[4:5], exec
; %bb.8:
	s_or_b64 exec, exec, s[6:7]
	s_and_saveexec_b64 s[6:7], s[4:5]
	s_cbranch_execz .LBB173_29
; %bb.9:
	s_load_dwordx2 s[14:15], s[0:1], 0x0
	v_lshrrev_b32_e32 v1, 3, v0
	v_lshl_or_b32 v6, s2, 4, v1
	s_waitcnt lgkmcnt(0)
	v_cmp_gt_i32_e32 vcc, s14, v6
	s_and_b64 exec, exec, vcc
	s_cbranch_execz .LBB173_29
; %bb.10:
	s_load_dwordx8 s[4:11], s[0:1], 0x10
	v_ashrrev_i32_e32 v7, 31, v6
	s_cmp_lg_u32 s15, 0
	s_waitcnt lgkmcnt(0)
	v_lshl_add_u64 v[8:9], v[6:7], 2, s[4:5]
	global_load_dwordx2 v[8:9], v[8:9], off
	v_and_b32_e32 v7, 7, v0
	s_waitcnt vmcnt(0)
	v_subrev_u32_e32 v0, s12, v8
	v_subrev_u32_e32 v18, s12, v9
	v_add_u32_e32 v0, v0, v7
	v_cmp_lt_i32_e64 s[2:3], v0, v18
	s_cbranch_scc0 .LBB173_18
; %bb.11:
	v_mov_b32_e32 v11, 0
	v_mov_b32_e32 v10, v11
	;; [unrolled: 1-line block ×4, first 2 shown]
	s_and_saveexec_b64 s[4:5], s[2:3]
	s_cbranch_execz .LBB173_15
; %bb.12:
	v_mad_u64_u32 v[12:13], s[14:15], v0, 12, 10
	v_mov_b32_e32 v15, 0
	s_mov_b64 s[14:15], 0
	v_mov_b32_e32 v16, v0
	v_mov_b32_e32 v8, v15
	;; [unrolled: 1-line block ×5, first 2 shown]
.LBB173_13:                             ; =>This Inner Loop Header: Depth=1
	v_ashrrev_i32_e32 v17, 31, v16
	v_lshl_add_u64 v[20:21], v[16:17], 2, s[6:7]
	global_load_dword v1, v[20:21], off
	v_add_u32_e32 v14, -10, v12
	v_mov_b32_e32 v41, v15
	v_lshl_add_u64 v[28:29], v[14:15], 3, s[8:9]
	global_load_dwordx4 v[20:23], v[28:29], off offset:16
	global_load_dwordx4 v[24:27], v[28:29], off
	v_add_u32_e32 v14, -6, v12
	v_lshl_add_u64 v[28:29], v[14:15], 3, s[8:9]
	global_load_dwordx4 v[28:31], v[28:29], off
	v_mov_b32_e32 v13, v15
	v_lshl_add_u64 v[56:57], v[12:13], 3, s[8:9]
	v_add_u32_e32 v16, 8, v16
	v_cmp_ge_i32_e32 vcc, v16, v18
	s_or_b64 s[14:15], vcc, s[14:15]
	s_waitcnt vmcnt(3)
	v_subrev_u32_e32 v1, s12, v1
	v_mul_lo_u32 v40, v1, 6
	v_lshl_add_u64 v[32:33], v[40:41], 3, s[10:11]
	global_load_dwordx4 v[32:35], v[32:33], off
	v_add_u32_e32 v14, 2, v40
	v_lshl_add_u64 v[36:37], v[14:15], 3, s[10:11]
	global_load_dwordx4 v[36:39], v[36:37], off
	v_add_u32_e32 v14, -4, v12
	v_lshl_add_u64 v[42:43], v[14:15], 3, s[8:9]
	v_add_u32_e32 v14, -2, v12
	v_lshl_add_u64 v[58:59], v[14:15], 3, s[8:9]
	v_add_u32_e32 v14, 4, v40
	global_load_dwordx4 v[40:43], v[42:43], off
	v_lshl_add_u64 v[60:61], v[14:15], 3, s[10:11]
	global_load_dwordx4 v[44:47], v[58:59], off
	global_load_dwordx4 v[48:51], v[60:61], off
	;; [unrolled: 1-line block ×3, first 2 shown]
	s_waitcnt vmcnt(7)
	v_xor_b32_e32 v56, 0x80000000, v27
	v_mov_b32_e32 v57, v26
	v_xor_b32_e32 v58, 0x80000000, v23
	v_mov_b32_e32 v59, v22
	s_waitcnt vmcnt(6)
	v_xor_b32_e32 v62, 0x80000000, v31
	v_mov_b32_e32 v63, v30
	v_add_u32_e32 v12, 0x60, v12
	s_waitcnt vmcnt(5)
	v_pk_fma_f32 v[10:11], v[24:25], v[32:33], v[10:11] op_sel_hi:[1,0,1]
	v_pk_fma_f32 v[8:9], v[26:27], v[32:33], v[8:9] op_sel_hi:[1,0,1]
	v_pk_fma_f32 v[10:11], v[24:25], v[32:33], v[10:11] op_sel:[1,1,0] op_sel_hi:[0,1,1] neg_lo:[1,0,0]
	v_pk_fma_f32 v[8:9], v[56:57], v[32:33], v[8:9] op_sel:[0,1,0]
	v_mov_b32_e32 v14, v35
	v_pk_fma_f32 v[10:11], v[20:21], v[34:35], v[10:11] op_sel_hi:[1,0,1]
	v_pk_fma_f32 v[8:9], v[22:23], v[34:35], v[8:9] op_sel_hi:[1,0,1]
	v_pk_fma_f32 v[10:11], v[20:21], v[14:15], v[10:11] op_sel:[1,0,0] op_sel_hi:[0,0,1] neg_lo:[1,0,0]
	v_pk_fma_f32 v[8:9], v[58:59], v[14:15], v[8:9] op_sel_hi:[1,0,1]
	s_waitcnt vmcnt(4)
	v_pk_fma_f32 v[10:11], v[28:29], v[36:37], v[10:11] op_sel_hi:[1,0,1]
	v_pk_fma_f32 v[8:9], v[30:31], v[36:37], v[8:9] op_sel_hi:[1,0,1]
	v_pk_fma_f32 v[10:11], v[28:29], v[36:37], v[10:11] op_sel:[1,1,0] op_sel_hi:[0,1,1] neg_lo:[1,0,0]
	v_pk_fma_f32 v[8:9], v[62:63], v[36:37], v[8:9] op_sel:[0,1,0]
	v_mov_b32_e32 v24, v39
	s_waitcnt vmcnt(3)
	v_xor_b32_e32 v22, 0x80000000, v43
	v_mov_b32_e32 v23, v42
	v_pk_fma_f32 v[10:11], v[40:41], v[38:39], v[10:11] op_sel_hi:[1,0,1]
	v_pk_fma_f32 v[8:9], v[42:43], v[38:39], v[8:9] op_sel_hi:[1,0,1]
	v_pk_fma_f32 v[10:11], v[40:41], v[24:25], v[10:11] op_sel:[1,0,0] op_sel_hi:[0,0,1] neg_lo:[1,0,0]
	v_pk_fma_f32 v[8:9], v[22:23], v[24:25], v[8:9] op_sel_hi:[1,0,1]
	s_waitcnt vmcnt(2)
	v_xor_b32_e32 v20, 0x80000000, v47
	v_mov_b32_e32 v21, v46
	s_waitcnt vmcnt(1)
	v_pk_fma_f32 v[10:11], v[44:45], v[48:49], v[10:11] op_sel_hi:[1,0,1]
	v_pk_fma_f32 v[8:9], v[46:47], v[48:49], v[8:9] op_sel_hi:[1,0,1]
	v_pk_fma_f32 v[10:11], v[44:45], v[48:49], v[10:11] op_sel:[1,1,0] op_sel_hi:[0,1,1] neg_lo:[1,0,0]
	v_pk_fma_f32 v[8:9], v[20:21], v[48:49], v[8:9] op_sel:[0,1,0]
	s_waitcnt vmcnt(0)
	v_xor_b32_e32 v60, 0x80000000, v55
	v_mov_b32_e32 v61, v54
	v_mov_b32_e32 v14, v51
	v_pk_fma_f32 v[10:11], v[52:53], v[50:51], v[10:11] op_sel_hi:[1,0,1]
	v_pk_fma_f32 v[8:9], v[54:55], v[50:51], v[8:9] op_sel_hi:[1,0,1]
	v_pk_fma_f32 v[10:11], v[52:53], v[14:15], v[10:11] op_sel:[1,0,0] op_sel_hi:[0,0,1] neg_lo:[1,0,0]
	v_pk_fma_f32 v[8:9], v[60:61], v[14:15], v[8:9] op_sel_hi:[1,0,1]
	s_andn2_b64 exec, exec, s[14:15]
	s_cbranch_execnz .LBB173_13
; %bb.14:
	s_or_b64 exec, exec, s[14:15]
.LBB173_15:
	s_or_b64 exec, exec, s[4:5]
	s_cbranch_execz .LBB173_19
	s_branch .LBB173_24
.LBB173_16:
	v_mov_b64_e32 v[4:5], s[8:9]
	flat_load_dword v3, v[4:5] offset:4
	s_and_b64 vcc, exec, s[4:5]
	v_mov_b32_e32 v4, s6
	s_cbranch_vccnz .LBB173_4
.LBB173_17:
	v_mov_b64_e32 v[4:5], s[6:7]
	flat_load_dword v4, v[4:5]
	s_and_b64 vcc, exec, s[4:5]
	v_mov_b32_e32 v5, s7
	s_cbranch_vccz .LBB173_5
	s_branch .LBB173_6
.LBB173_18:
                                        ; implicit-def: $vgpr11
                                        ; implicit-def: $vgpr9
.LBB173_19:
	v_mov_b32_e32 v11, 0
	v_mov_b32_e32 v10, v11
	;; [unrolled: 1-line block ×4, first 2 shown]
	s_and_saveexec_b64 s[4:5], s[2:3]
	s_cbranch_execz .LBB173_23
; %bb.20:
	v_mad_u64_u32 v[12:13], s[2:3], v0, 12, 11
	v_mov_b32_e32 v15, 0
	s_mov_b64 s[2:3], 0
	v_mov_b32_e32 v8, v15
	v_mov_b32_e32 v9, v15
	;; [unrolled: 1-line block ×4, first 2 shown]
.LBB173_21:                             ; =>This Inner Loop Header: Depth=1
	v_ashrrev_i32_e32 v1, 31, v0
	v_lshl_add_u64 v[16:17], v[0:1], 2, s[6:7]
	global_load_dword v1, v[16:17], off
	v_add_u32_e32 v14, -11, v12
	v_add_u32_e32 v16, -5, v12
	v_mov_b32_e32 v17, v15
	v_mov_b32_e32 v37, v15
	v_lshl_add_u64 v[28:29], v[14:15], 3, s[8:9]
	v_lshl_add_u64 v[16:17], v[16:17], 3, s[8:9]
	v_add_u32_e32 v14, -4, v12
	global_load_dwordx4 v[20:23], v[28:29], off offset:16
	global_load_dwordx4 v[24:27], v[28:29], off
	v_lshl_add_u64 v[28:29], v[14:15], 3, s[8:9]
	global_load_dwordx2 v[42:43], v[16:17], off
	global_load_dwordx2 v[44:45], v[28:29], off
	v_mov_b32_e32 v13, v15
	v_lshl_add_u64 v[40:41], v[12:13], 3, s[8:9]
	v_add_u32_e32 v0, 8, v0
	v_cmp_ge_i32_e32 vcc, v0, v18
	s_or_b64 s[2:3], vcc, s[2:3]
	s_waitcnt vmcnt(4)
	v_subrev_u32_e32 v1, s12, v1
	v_mul_lo_u32 v36, v1, 6
	v_lshl_add_u64 v[16:17], v[36:37], 3, s[10:11]
	global_load_dwordx4 v[28:31], v[16:17], off
	v_add_u32_e32 v14, 2, v36
	v_lshl_add_u64 v[16:17], v[14:15], 3, s[10:11]
	v_add_u32_e32 v14, -3, v12
	global_load_dwordx4 v[32:35], v[16:17], off
	v_lshl_add_u64 v[16:17], v[14:15], 3, s[8:9]
	v_add_u32_e32 v14, -2, v12
	global_load_dwordx2 v[16:17], v[16:17], off
	v_lshl_add_u64 v[46:47], v[14:15], 3, s[8:9]
	v_add_u32_e32 v14, -7, v12
	v_lshl_add_u64 v[48:49], v[14:15], 3, s[8:9]
	v_add_u32_e32 v14, 4, v36
	v_lshl_add_u64 v[50:51], v[14:15], 3, s[10:11]
	v_add_u32_e32 v14, -1, v12
	global_load_dwordx2 v[52:53], v[48:49], off
	global_load_dwordx2 v[54:55], v[46:47], off
	global_load_dwordx4 v[36:39], v[50:51], off
	v_lshl_add_u64 v[46:47], v[14:15], 3, s[8:9]
	v_add_u32_e32 v14, -6, v12
	v_lshl_add_u64 v[48:49], v[14:15], 3, s[8:9]
	global_load_dwordx2 v[50:51], v[40:41], off
	global_load_dwordx2 v[56:57], v[46:47], off
	;; [unrolled: 1-line block ×3, first 2 shown]
	s_waitcnt vmcnt(11)
	v_xor_b32_e32 v40, 0x80000000, v27
	v_mov_b32_e32 v41, v26
	v_xor_b32_e32 v46, 0x80000000, v23
	v_mov_b32_e32 v47, v22
	v_add_u32_e32 v12, 0x60, v12
	s_waitcnt vmcnt(8)
	v_pk_fma_f32 v[10:11], v[24:25], v[28:29], v[10:11] op_sel_hi:[1,0,1]
	v_pk_fma_f32 v[8:9], v[42:43], v[28:29], v[8:9] op_sel_hi:[1,0,1]
	v_pk_fma_f32 v[10:11], v[24:25], v[28:29], v[10:11] op_sel:[1,1,0] op_sel_hi:[0,1,1] neg_lo:[1,0,0]
	v_pk_fma_f32 v[8:9], v[42:43], v[28:29], v[8:9] op_sel:[1,1,0] op_sel_hi:[0,1,1] neg_lo:[1,0,0]
	v_mov_b32_e32 v14, v31
	v_pk_fma_f32 v[10:11], v[26:27], v[30:31], v[10:11] op_sel_hi:[1,0,1]
	v_pk_fma_f32 v[8:9], v[44:45], v[30:31], v[8:9] op_sel_hi:[1,0,1]
	;; [unrolled: 1-line block ×3, first 2 shown]
	v_pk_fma_f32 v[8:9], v[44:45], v[14:15], v[8:9] op_sel:[1,0,0] op_sel_hi:[0,0,1] neg_lo:[1,0,0]
	s_waitcnt vmcnt(7)
	v_pk_fma_f32 v[10:11], v[20:21], v[32:33], v[10:11] op_sel_hi:[1,0,1]
	s_waitcnt vmcnt(6)
	v_pk_fma_f32 v[8:9], v[16:17], v[32:33], v[8:9] op_sel_hi:[1,0,1]
	v_pk_fma_f32 v[10:11], v[20:21], v[32:33], v[10:11] op_sel:[1,1,0] op_sel_hi:[0,1,1] neg_lo:[1,0,0]
	v_pk_fma_f32 v[8:9], v[16:17], v[32:33], v[8:9] op_sel:[1,1,0] op_sel_hi:[0,1,1] neg_lo:[1,0,0]
	v_mov_b32_e32 v24, v35
	v_pk_fma_f32 v[10:11], v[22:23], v[34:35], v[10:11] op_sel_hi:[1,0,1]
	s_waitcnt vmcnt(4)
	v_pk_fma_f32 v[8:9], v[54:55], v[34:35], v[8:9] op_sel_hi:[1,0,1]
	v_pk_fma_f32 v[10:11], v[46:47], v[24:25], v[10:11] op_sel_hi:[1,0,1]
	v_pk_fma_f32 v[8:9], v[54:55], v[24:25], v[8:9] op_sel:[1,0,0] op_sel_hi:[0,0,1] neg_lo:[1,0,0]
	s_waitcnt vmcnt(3)
	v_pk_fma_f32 v[10:11], v[52:53], v[36:37], v[10:11] op_sel_hi:[1,0,1]
	s_waitcnt vmcnt(1)
	v_pk_fma_f32 v[8:9], v[56:57], v[36:37], v[8:9] op_sel_hi:[1,0,1]
	v_pk_fma_f32 v[10:11], v[52:53], v[36:37], v[10:11] op_sel:[1,1,0] op_sel_hi:[0,1,1] neg_lo:[1,0,0]
	v_pk_fma_f32 v[8:9], v[56:57], v[36:37], v[8:9] op_sel:[1,1,0] op_sel_hi:[0,1,1] neg_lo:[1,0,0]
	v_mov_b32_e32 v14, v39
	s_waitcnt vmcnt(0)
	v_pk_fma_f32 v[10:11], v[58:59], v[38:39], v[10:11] op_sel_hi:[1,0,1]
	v_pk_fma_f32 v[8:9], v[50:51], v[38:39], v[8:9] op_sel_hi:[1,0,1]
	v_pk_fma_f32 v[10:11], v[58:59], v[14:15], v[10:11] op_sel:[1,0,0] op_sel_hi:[0,0,1] neg_lo:[1,0,0]
	v_pk_fma_f32 v[8:9], v[50:51], v[14:15], v[8:9] op_sel:[1,0,0] op_sel_hi:[0,0,1] neg_lo:[1,0,0]
	s_andn2_b64 exec, exec, s[2:3]
	s_cbranch_execnz .LBB173_21
; %bb.22:
	s_or_b64 exec, exec, s[2:3]
.LBB173_23:
	s_or_b64 exec, exec, s[4:5]
.LBB173_24:
	v_mov_b32_dpp v12, v8 row_shr:1 row_mask:0xf bank_mask:0xf
	v_add_f32_e32 v8, v8, v12
	v_mov_b32_dpp v0, v10 row_shr:1 row_mask:0xf bank_mask:0xf
	v_add_f32_e32 v0, v10, v0
	v_mov_b32_dpp v12, v8 row_shr:2 row_mask:0xf bank_mask:0xf
	v_mov_b32_dpp v10, v11 row_shr:1 row_mask:0xf bank_mask:0xf
	v_add_f32_e32 v13, v8, v12
	v_mov_b32_dpp v8, v9 row_shr:1 row_mask:0xf bank_mask:0xf
	v_add_f32_e32 v10, v11, v10
	v_add_f32_e32 v8, v9, v8
	v_mov_b32_dpp v1, v0 row_shr:2 row_mask:0xf bank_mask:0xf
	v_mov_b32_dpp v11, v10 row_shr:2 row_mask:0xf bank_mask:0xf
	;; [unrolled: 1-line block ×3, first 2 shown]
	v_add_f32_e32 v0, v0, v1
	v_add_f32_e32 v10, v10, v11
	;; [unrolled: 1-line block ×3, first 2 shown]
	v_mov_b32_dpp v1, v0 row_shr:4 row_mask:0xf bank_mask:0xe
	v_mov_b32_dpp v11, v10 row_shr:4 row_mask:0xf bank_mask:0xe
	;; [unrolled: 1-line block ×4, first 2 shown]
	v_cmp_eq_u32_e32 vcc, 7, v7
	s_and_b64 exec, exec, vcc
	s_cbranch_execz .LBB173_29
; %bb.25:
	s_load_dwordx2 s[2:3], s[0:1], 0x38
	v_add_f32_e32 v8, v0, v1
	v_and_b32_e32 v1, 0x7fffffff, v4
	v_cmp_eq_u32_e32 vcc, 0, v1
	v_cmp_eq_f32_e64 s[0:1], 0, v5
	v_add_f32_e32 v12, v10, v11
	v_add_f32_e32 v0, v13, v14
	;; [unrolled: 1-line block ×3, first 2 shown]
	s_and_b64 s[0:1], vcc, s[0:1]
	s_and_saveexec_b64 s[4:5], s[0:1]
	s_xor_b64 s[0:1], exec, s[4:5]
	s_cbranch_execz .LBB173_27
; %bb.26:
	v_lshlrev_b32_e32 v4, 1, v6
	v_xor_b32_e32 v14, 0x80000000, v3
	v_ashrrev_i32_e32 v5, 31, v4
	v_mov_b32_e32 v15, v2
	s_waitcnt lgkmcnt(0)
	v_lshl_add_u64 v[16:17], v[4:5], 3, s[2:3]
	v_pk_mul_f32 v[4:5], v[12:13], v[14:15] op_sel_hi:[0,1]
	v_pk_mul_f32 v[6:7], v[10:11], v[14:15] op_sel_hi:[0,1]
	v_pk_fma_f32 v[4:5], v[2:3], v[8:9], v[4:5] op_sel_hi:[1,0,1]
	v_pk_fma_f32 v[6:7], v[2:3], v[0:1], v[6:7] op_sel_hi:[1,0,1]
	global_store_dwordx4 v[16:17], v[4:7], off
                                        ; implicit-def: $vgpr3
                                        ; implicit-def: $vgpr4
                                        ; implicit-def: $vgpr6
                                        ; implicit-def: $vgpr8
                                        ; implicit-def: $vgpr12
                                        ; implicit-def: $vgpr0
                                        ; implicit-def: $vgpr10
.LBB173_27:
	s_andn2_saveexec_b64 s[0:1], s[0:1]
	s_cbranch_execz .LBB173_29
; %bb.28:
	v_lshlrev_b32_e32 v6, 1, v6
	v_ashrrev_i32_e32 v7, 31, v6
	s_waitcnt lgkmcnt(0)
	v_lshl_add_u64 v[6:7], v[6:7], 3, s[2:3]
	global_load_dwordx4 v[14:17], v[6:7], off
	v_xor_b32_e32 v18, 0x80000000, v3
	v_mov_b32_e32 v19, v2
	v_pk_mul_f32 v[12:13], v[12:13], v[18:19] op_sel_hi:[0,1]
	v_pk_mul_f32 v[10:11], v[10:11], v[18:19] op_sel_hi:[0,1]
	v_pk_fma_f32 v[8:9], v[2:3], v[8:9], v[12:13] op_sel_hi:[1,0,1]
	v_pk_fma_f32 v[0:1], v[2:3], v[0:1], v[10:11] op_sel_hi:[1,0,1]
	v_xor_b32_e32 v20, 0x80000000, v5
	v_mov_b32_e32 v21, v4
	s_waitcnt vmcnt(0)
	v_pk_fma_f32 v[2:3], v[4:5], v[14:15], v[8:9] op_sel_hi:[1,0,1]
	v_pk_fma_f32 v[4:5], v[4:5], v[16:17], v[0:1] op_sel_hi:[1,0,1]
	v_mov_b32_e32 v8, v17
	v_pk_fma_f32 v[0:1], v[20:21], v[14:15], v[2:3] op_sel:[0,1,0]
	v_pk_fma_f32 v[2:3], v[20:21], v[8:9], v[4:5] op_sel_hi:[1,0,1]
	global_store_dwordx4 v[6:7], v[0:3], off
.LBB173_29:
	s_endpgm
	.section	.rodata,"a",@progbits
	.p2align	6, 0x0
	.amdhsa_kernel _ZN9rocsparseL19gebsrmvn_2xn_kernelILj128ELj6ELj8E21rocsparse_complex_numIfEEEvi20rocsparse_direction_NS_24const_host_device_scalarIT2_EEPKiS8_PKS5_SA_S6_PS5_21rocsparse_index_base_b
		.amdhsa_group_segment_fixed_size 0
		.amdhsa_private_segment_fixed_size 0
		.amdhsa_kernarg_size 72
		.amdhsa_user_sgpr_count 2
		.amdhsa_user_sgpr_dispatch_ptr 0
		.amdhsa_user_sgpr_queue_ptr 0
		.amdhsa_user_sgpr_kernarg_segment_ptr 1
		.amdhsa_user_sgpr_dispatch_id 0
		.amdhsa_user_sgpr_kernarg_preload_length 0
		.amdhsa_user_sgpr_kernarg_preload_offset 0
		.amdhsa_user_sgpr_private_segment_size 0
		.amdhsa_uses_dynamic_stack 0
		.amdhsa_enable_private_segment 0
		.amdhsa_system_sgpr_workgroup_id_x 1
		.amdhsa_system_sgpr_workgroup_id_y 0
		.amdhsa_system_sgpr_workgroup_id_z 0
		.amdhsa_system_sgpr_workgroup_info 0
		.amdhsa_system_vgpr_workitem_id 0
		.amdhsa_next_free_vgpr 64
		.amdhsa_next_free_sgpr 16
		.amdhsa_accum_offset 64
		.amdhsa_reserve_vcc 1
		.amdhsa_float_round_mode_32 0
		.amdhsa_float_round_mode_16_64 0
		.amdhsa_float_denorm_mode_32 3
		.amdhsa_float_denorm_mode_16_64 3
		.amdhsa_dx10_clamp 1
		.amdhsa_ieee_mode 1
		.amdhsa_fp16_overflow 0
		.amdhsa_tg_split 0
		.amdhsa_exception_fp_ieee_invalid_op 0
		.amdhsa_exception_fp_denorm_src 0
		.amdhsa_exception_fp_ieee_div_zero 0
		.amdhsa_exception_fp_ieee_overflow 0
		.amdhsa_exception_fp_ieee_underflow 0
		.amdhsa_exception_fp_ieee_inexact 0
		.amdhsa_exception_int_div_zero 0
	.end_amdhsa_kernel
	.section	.text._ZN9rocsparseL19gebsrmvn_2xn_kernelILj128ELj6ELj8E21rocsparse_complex_numIfEEEvi20rocsparse_direction_NS_24const_host_device_scalarIT2_EEPKiS8_PKS5_SA_S6_PS5_21rocsparse_index_base_b,"axG",@progbits,_ZN9rocsparseL19gebsrmvn_2xn_kernelILj128ELj6ELj8E21rocsparse_complex_numIfEEEvi20rocsparse_direction_NS_24const_host_device_scalarIT2_EEPKiS8_PKS5_SA_S6_PS5_21rocsparse_index_base_b,comdat
.Lfunc_end173:
	.size	_ZN9rocsparseL19gebsrmvn_2xn_kernelILj128ELj6ELj8E21rocsparse_complex_numIfEEEvi20rocsparse_direction_NS_24const_host_device_scalarIT2_EEPKiS8_PKS5_SA_S6_PS5_21rocsparse_index_base_b, .Lfunc_end173-_ZN9rocsparseL19gebsrmvn_2xn_kernelILj128ELj6ELj8E21rocsparse_complex_numIfEEEvi20rocsparse_direction_NS_24const_host_device_scalarIT2_EEPKiS8_PKS5_SA_S6_PS5_21rocsparse_index_base_b
                                        ; -- End function
	.section	.AMDGPU.csdata,"",@progbits
; Kernel info:
; codeLenInByte = 2032
; NumSgprs: 22
; NumVgprs: 64
; NumAgprs: 0
; TotalNumVgprs: 64
; ScratchSize: 0
; MemoryBound: 0
; FloatMode: 240
; IeeeMode: 1
; LDSByteSize: 0 bytes/workgroup (compile time only)
; SGPRBlocks: 2
; VGPRBlocks: 7
; NumSGPRsForWavesPerEU: 22
; NumVGPRsForWavesPerEU: 64
; AccumOffset: 64
; Occupancy: 8
; WaveLimiterHint : 1
; COMPUTE_PGM_RSRC2:SCRATCH_EN: 0
; COMPUTE_PGM_RSRC2:USER_SGPR: 2
; COMPUTE_PGM_RSRC2:TRAP_HANDLER: 0
; COMPUTE_PGM_RSRC2:TGID_X_EN: 1
; COMPUTE_PGM_RSRC2:TGID_Y_EN: 0
; COMPUTE_PGM_RSRC2:TGID_Z_EN: 0
; COMPUTE_PGM_RSRC2:TIDIG_COMP_CNT: 0
; COMPUTE_PGM_RSRC3_GFX90A:ACCUM_OFFSET: 15
; COMPUTE_PGM_RSRC3_GFX90A:TG_SPLIT: 0
	.section	.text._ZN9rocsparseL19gebsrmvn_2xn_kernelILj128ELj6ELj16E21rocsparse_complex_numIfEEEvi20rocsparse_direction_NS_24const_host_device_scalarIT2_EEPKiS8_PKS5_SA_S6_PS5_21rocsparse_index_base_b,"axG",@progbits,_ZN9rocsparseL19gebsrmvn_2xn_kernelILj128ELj6ELj16E21rocsparse_complex_numIfEEEvi20rocsparse_direction_NS_24const_host_device_scalarIT2_EEPKiS8_PKS5_SA_S6_PS5_21rocsparse_index_base_b,comdat
	.globl	_ZN9rocsparseL19gebsrmvn_2xn_kernelILj128ELj6ELj16E21rocsparse_complex_numIfEEEvi20rocsparse_direction_NS_24const_host_device_scalarIT2_EEPKiS8_PKS5_SA_S6_PS5_21rocsparse_index_base_b ; -- Begin function _ZN9rocsparseL19gebsrmvn_2xn_kernelILj128ELj6ELj16E21rocsparse_complex_numIfEEEvi20rocsparse_direction_NS_24const_host_device_scalarIT2_EEPKiS8_PKS5_SA_S6_PS5_21rocsparse_index_base_b
	.p2align	8
	.type	_ZN9rocsparseL19gebsrmvn_2xn_kernelILj128ELj6ELj16E21rocsparse_complex_numIfEEEvi20rocsparse_direction_NS_24const_host_device_scalarIT2_EEPKiS8_PKS5_SA_S6_PS5_21rocsparse_index_base_b,@function
_ZN9rocsparseL19gebsrmvn_2xn_kernelILj128ELj6ELj16E21rocsparse_complex_numIfEEEvi20rocsparse_direction_NS_24const_host_device_scalarIT2_EEPKiS8_PKS5_SA_S6_PS5_21rocsparse_index_base_b: ; @_ZN9rocsparseL19gebsrmvn_2xn_kernelILj128ELj6ELj16E21rocsparse_complex_numIfEEEvi20rocsparse_direction_NS_24const_host_device_scalarIT2_EEPKiS8_PKS5_SA_S6_PS5_21rocsparse_index_base_b
; %bb.0:
	s_load_dwordx2 s[12:13], s[0:1], 0x40
	s_load_dwordx2 s[8:9], s[0:1], 0x8
	;; [unrolled: 1-line block ×3, first 2 shown]
	s_waitcnt lgkmcnt(0)
	s_bitcmp1_b32 s13, 0
	s_cselect_b64 s[4:5], -1, 0
	s_xor_b64 s[10:11], s[4:5], -1
	s_and_b64 vcc, exec, s[4:5]
	v_mov_b32_e32 v2, s8
	s_cbranch_vccnz .LBB174_2
; %bb.1:
	v_mov_b64_e32 v[2:3], s[8:9]
	flat_load_dword v2, v[2:3]
.LBB174_2:
	v_cndmask_b32_e64 v1, 0, 1, s[10:11]
	v_cmp_ne_u32_e64 s[4:5], 1, v1
	s_andn2_b64 vcc, exec, s[10:11]
	v_mov_b32_e32 v3, s9
	s_cbranch_vccz .LBB174_16
; %bb.3:
	s_and_b64 vcc, exec, s[4:5]
	v_mov_b32_e32 v4, s6
	s_cbranch_vccz .LBB174_17
.LBB174_4:
	s_and_b64 vcc, exec, s[4:5]
	v_mov_b32_e32 v5, s7
	s_cbranch_vccnz .LBB174_6
.LBB174_5:
	v_mov_b64_e32 v[6:7], s[6:7]
	flat_load_dword v5, v[6:7] offset:4
.LBB174_6:
	s_waitcnt vmcnt(0) lgkmcnt(0)
	v_and_b32_e32 v1, 0x7fffffff, v2
	v_cmp_eq_u32_e32 vcc, 0, v1
	v_cmp_eq_f32_e64 s[4:5], 0, v3
	s_and_b64 s[8:9], vcc, s[4:5]
	s_mov_b64 s[4:5], -1
	s_and_saveexec_b64 s[6:7], s[8:9]
; %bb.7:
	v_and_b32_e32 v1, 0x7fffffff, v5
	v_cmp_neq_f32_e32 vcc, 1.0, v4
	v_cmp_ne_u32_e64 s[4:5], 0, v1
	s_or_b64 s[4:5], vcc, s[4:5]
	s_orn2_b64 s[4:5], s[4:5], exec
; %bb.8:
	s_or_b64 exec, exec, s[6:7]
	s_and_saveexec_b64 s[6:7], s[4:5]
	s_cbranch_execz .LBB174_29
; %bb.9:
	s_load_dwordx2 s[14:15], s[0:1], 0x0
	v_lshrrev_b32_e32 v1, 4, v0
	v_lshl_or_b32 v6, s2, 3, v1
	s_waitcnt lgkmcnt(0)
	v_cmp_gt_i32_e32 vcc, s14, v6
	s_and_b64 exec, exec, vcc
	s_cbranch_execz .LBB174_29
; %bb.10:
	s_load_dwordx8 s[4:11], s[0:1], 0x10
	v_ashrrev_i32_e32 v7, 31, v6
	s_cmp_lg_u32 s15, 0
	s_waitcnt lgkmcnt(0)
	v_lshl_add_u64 v[8:9], v[6:7], 2, s[4:5]
	global_load_dwordx2 v[8:9], v[8:9], off
	v_and_b32_e32 v7, 15, v0
	s_waitcnt vmcnt(0)
	v_subrev_u32_e32 v0, s12, v8
	v_subrev_u32_e32 v18, s12, v9
	v_add_u32_e32 v0, v0, v7
	v_cmp_lt_i32_e64 s[2:3], v0, v18
	s_cbranch_scc0 .LBB174_18
; %bb.11:
	v_mov_b32_e32 v11, 0
	v_mov_b32_e32 v10, v11
	;; [unrolled: 1-line block ×4, first 2 shown]
	s_and_saveexec_b64 s[4:5], s[2:3]
	s_cbranch_execz .LBB174_15
; %bb.12:
	v_mad_u64_u32 v[12:13], s[14:15], v0, 12, 10
	v_mov_b32_e32 v15, 0
	s_mov_b64 s[14:15], 0
	v_mov_b32_e32 v16, v0
	v_mov_b32_e32 v8, v15
	;; [unrolled: 1-line block ×5, first 2 shown]
.LBB174_13:                             ; =>This Inner Loop Header: Depth=1
	v_ashrrev_i32_e32 v17, 31, v16
	v_lshl_add_u64 v[20:21], v[16:17], 2, s[6:7]
	global_load_dword v1, v[20:21], off
	v_add_u32_e32 v14, -10, v12
	v_mov_b32_e32 v41, v15
	v_lshl_add_u64 v[28:29], v[14:15], 3, s[8:9]
	global_load_dwordx4 v[20:23], v[28:29], off offset:16
	global_load_dwordx4 v[24:27], v[28:29], off
	v_add_u32_e32 v14, -6, v12
	v_lshl_add_u64 v[28:29], v[14:15], 3, s[8:9]
	global_load_dwordx4 v[28:31], v[28:29], off
	v_mov_b32_e32 v13, v15
	v_lshl_add_u64 v[56:57], v[12:13], 3, s[8:9]
	v_add_u32_e32 v16, 16, v16
	v_cmp_ge_i32_e32 vcc, v16, v18
	s_or_b64 s[14:15], vcc, s[14:15]
	s_waitcnt vmcnt(3)
	v_subrev_u32_e32 v1, s12, v1
	v_mul_lo_u32 v40, v1, 6
	v_lshl_add_u64 v[32:33], v[40:41], 3, s[10:11]
	global_load_dwordx4 v[32:35], v[32:33], off
	v_add_u32_e32 v14, 2, v40
	v_lshl_add_u64 v[36:37], v[14:15], 3, s[10:11]
	global_load_dwordx4 v[36:39], v[36:37], off
	v_add_u32_e32 v14, -4, v12
	v_lshl_add_u64 v[42:43], v[14:15], 3, s[8:9]
	v_add_u32_e32 v14, -2, v12
	v_lshl_add_u64 v[58:59], v[14:15], 3, s[8:9]
	v_add_u32_e32 v14, 4, v40
	global_load_dwordx4 v[40:43], v[42:43], off
	v_lshl_add_u64 v[60:61], v[14:15], 3, s[10:11]
	global_load_dwordx4 v[44:47], v[58:59], off
	global_load_dwordx4 v[48:51], v[60:61], off
	;; [unrolled: 1-line block ×3, first 2 shown]
	s_waitcnt vmcnt(7)
	v_xor_b32_e32 v56, 0x80000000, v27
	v_mov_b32_e32 v57, v26
	v_xor_b32_e32 v58, 0x80000000, v23
	v_mov_b32_e32 v59, v22
	s_waitcnt vmcnt(6)
	v_xor_b32_e32 v62, 0x80000000, v31
	v_mov_b32_e32 v63, v30
	v_add_u32_e32 v12, 0xc0, v12
	s_waitcnt vmcnt(5)
	v_pk_fma_f32 v[10:11], v[24:25], v[32:33], v[10:11] op_sel_hi:[1,0,1]
	v_pk_fma_f32 v[8:9], v[26:27], v[32:33], v[8:9] op_sel_hi:[1,0,1]
	v_pk_fma_f32 v[10:11], v[24:25], v[32:33], v[10:11] op_sel:[1,1,0] op_sel_hi:[0,1,1] neg_lo:[1,0,0]
	v_pk_fma_f32 v[8:9], v[56:57], v[32:33], v[8:9] op_sel:[0,1,0]
	v_mov_b32_e32 v14, v35
	v_pk_fma_f32 v[10:11], v[20:21], v[34:35], v[10:11] op_sel_hi:[1,0,1]
	v_pk_fma_f32 v[8:9], v[22:23], v[34:35], v[8:9] op_sel_hi:[1,0,1]
	v_pk_fma_f32 v[10:11], v[20:21], v[14:15], v[10:11] op_sel:[1,0,0] op_sel_hi:[0,0,1] neg_lo:[1,0,0]
	v_pk_fma_f32 v[8:9], v[58:59], v[14:15], v[8:9] op_sel_hi:[1,0,1]
	s_waitcnt vmcnt(4)
	v_pk_fma_f32 v[10:11], v[28:29], v[36:37], v[10:11] op_sel_hi:[1,0,1]
	v_pk_fma_f32 v[8:9], v[30:31], v[36:37], v[8:9] op_sel_hi:[1,0,1]
	v_pk_fma_f32 v[10:11], v[28:29], v[36:37], v[10:11] op_sel:[1,1,0] op_sel_hi:[0,1,1] neg_lo:[1,0,0]
	v_pk_fma_f32 v[8:9], v[62:63], v[36:37], v[8:9] op_sel:[0,1,0]
	v_mov_b32_e32 v24, v39
	s_waitcnt vmcnt(3)
	v_xor_b32_e32 v22, 0x80000000, v43
	v_mov_b32_e32 v23, v42
	v_pk_fma_f32 v[10:11], v[40:41], v[38:39], v[10:11] op_sel_hi:[1,0,1]
	v_pk_fma_f32 v[8:9], v[42:43], v[38:39], v[8:9] op_sel_hi:[1,0,1]
	v_pk_fma_f32 v[10:11], v[40:41], v[24:25], v[10:11] op_sel:[1,0,0] op_sel_hi:[0,0,1] neg_lo:[1,0,0]
	v_pk_fma_f32 v[8:9], v[22:23], v[24:25], v[8:9] op_sel_hi:[1,0,1]
	s_waitcnt vmcnt(2)
	v_xor_b32_e32 v20, 0x80000000, v47
	v_mov_b32_e32 v21, v46
	s_waitcnt vmcnt(1)
	v_pk_fma_f32 v[10:11], v[44:45], v[48:49], v[10:11] op_sel_hi:[1,0,1]
	v_pk_fma_f32 v[8:9], v[46:47], v[48:49], v[8:9] op_sel_hi:[1,0,1]
	v_pk_fma_f32 v[10:11], v[44:45], v[48:49], v[10:11] op_sel:[1,1,0] op_sel_hi:[0,1,1] neg_lo:[1,0,0]
	v_pk_fma_f32 v[8:9], v[20:21], v[48:49], v[8:9] op_sel:[0,1,0]
	s_waitcnt vmcnt(0)
	v_xor_b32_e32 v60, 0x80000000, v55
	v_mov_b32_e32 v61, v54
	v_mov_b32_e32 v14, v51
	v_pk_fma_f32 v[10:11], v[52:53], v[50:51], v[10:11] op_sel_hi:[1,0,1]
	v_pk_fma_f32 v[8:9], v[54:55], v[50:51], v[8:9] op_sel_hi:[1,0,1]
	v_pk_fma_f32 v[10:11], v[52:53], v[14:15], v[10:11] op_sel:[1,0,0] op_sel_hi:[0,0,1] neg_lo:[1,0,0]
	v_pk_fma_f32 v[8:9], v[60:61], v[14:15], v[8:9] op_sel_hi:[1,0,1]
	s_andn2_b64 exec, exec, s[14:15]
	s_cbranch_execnz .LBB174_13
; %bb.14:
	s_or_b64 exec, exec, s[14:15]
.LBB174_15:
	s_or_b64 exec, exec, s[4:5]
	s_cbranch_execz .LBB174_19
	s_branch .LBB174_24
.LBB174_16:
	v_mov_b64_e32 v[4:5], s[8:9]
	flat_load_dword v3, v[4:5] offset:4
	s_and_b64 vcc, exec, s[4:5]
	v_mov_b32_e32 v4, s6
	s_cbranch_vccnz .LBB174_4
.LBB174_17:
	v_mov_b64_e32 v[4:5], s[6:7]
	flat_load_dword v4, v[4:5]
	s_and_b64 vcc, exec, s[4:5]
	v_mov_b32_e32 v5, s7
	s_cbranch_vccz .LBB174_5
	s_branch .LBB174_6
.LBB174_18:
                                        ; implicit-def: $vgpr11
                                        ; implicit-def: $vgpr9
.LBB174_19:
	v_mov_b32_e32 v11, 0
	v_mov_b32_e32 v10, v11
	;; [unrolled: 1-line block ×4, first 2 shown]
	s_and_saveexec_b64 s[4:5], s[2:3]
	s_cbranch_execz .LBB174_23
; %bb.20:
	v_mad_u64_u32 v[12:13], s[2:3], v0, 12, 11
	v_mov_b32_e32 v15, 0
	s_mov_b64 s[2:3], 0
	v_mov_b32_e32 v8, v15
	v_mov_b32_e32 v9, v15
	;; [unrolled: 1-line block ×4, first 2 shown]
.LBB174_21:                             ; =>This Inner Loop Header: Depth=1
	v_ashrrev_i32_e32 v1, 31, v0
	v_lshl_add_u64 v[16:17], v[0:1], 2, s[6:7]
	global_load_dword v1, v[16:17], off
	v_add_u32_e32 v14, -11, v12
	v_add_u32_e32 v16, -5, v12
	v_mov_b32_e32 v17, v15
	v_mov_b32_e32 v37, v15
	v_lshl_add_u64 v[28:29], v[14:15], 3, s[8:9]
	v_lshl_add_u64 v[16:17], v[16:17], 3, s[8:9]
	v_add_u32_e32 v14, -4, v12
	global_load_dwordx4 v[20:23], v[28:29], off offset:16
	global_load_dwordx4 v[24:27], v[28:29], off
	v_lshl_add_u64 v[28:29], v[14:15], 3, s[8:9]
	global_load_dwordx2 v[42:43], v[16:17], off
	global_load_dwordx2 v[44:45], v[28:29], off
	v_mov_b32_e32 v13, v15
	v_lshl_add_u64 v[40:41], v[12:13], 3, s[8:9]
	v_add_u32_e32 v0, 16, v0
	v_cmp_ge_i32_e32 vcc, v0, v18
	s_or_b64 s[2:3], vcc, s[2:3]
	s_waitcnt vmcnt(4)
	v_subrev_u32_e32 v1, s12, v1
	v_mul_lo_u32 v36, v1, 6
	v_lshl_add_u64 v[16:17], v[36:37], 3, s[10:11]
	global_load_dwordx4 v[28:31], v[16:17], off
	v_add_u32_e32 v14, 2, v36
	v_lshl_add_u64 v[16:17], v[14:15], 3, s[10:11]
	v_add_u32_e32 v14, -3, v12
	global_load_dwordx4 v[32:35], v[16:17], off
	v_lshl_add_u64 v[16:17], v[14:15], 3, s[8:9]
	v_add_u32_e32 v14, -2, v12
	global_load_dwordx2 v[16:17], v[16:17], off
	v_lshl_add_u64 v[46:47], v[14:15], 3, s[8:9]
	v_add_u32_e32 v14, -7, v12
	v_lshl_add_u64 v[48:49], v[14:15], 3, s[8:9]
	v_add_u32_e32 v14, 4, v36
	v_lshl_add_u64 v[50:51], v[14:15], 3, s[10:11]
	v_add_u32_e32 v14, -1, v12
	global_load_dwordx2 v[52:53], v[48:49], off
	global_load_dwordx2 v[54:55], v[46:47], off
	global_load_dwordx4 v[36:39], v[50:51], off
	v_lshl_add_u64 v[46:47], v[14:15], 3, s[8:9]
	v_add_u32_e32 v14, -6, v12
	v_lshl_add_u64 v[48:49], v[14:15], 3, s[8:9]
	global_load_dwordx2 v[50:51], v[40:41], off
	global_load_dwordx2 v[56:57], v[46:47], off
	;; [unrolled: 1-line block ×3, first 2 shown]
	s_waitcnt vmcnt(11)
	v_xor_b32_e32 v40, 0x80000000, v27
	v_mov_b32_e32 v41, v26
	v_xor_b32_e32 v46, 0x80000000, v23
	v_mov_b32_e32 v47, v22
	v_add_u32_e32 v12, 0xc0, v12
	s_waitcnt vmcnt(8)
	v_pk_fma_f32 v[10:11], v[24:25], v[28:29], v[10:11] op_sel_hi:[1,0,1]
	v_pk_fma_f32 v[8:9], v[42:43], v[28:29], v[8:9] op_sel_hi:[1,0,1]
	v_pk_fma_f32 v[10:11], v[24:25], v[28:29], v[10:11] op_sel:[1,1,0] op_sel_hi:[0,1,1] neg_lo:[1,0,0]
	v_pk_fma_f32 v[8:9], v[42:43], v[28:29], v[8:9] op_sel:[1,1,0] op_sel_hi:[0,1,1] neg_lo:[1,0,0]
	v_mov_b32_e32 v14, v31
	v_pk_fma_f32 v[10:11], v[26:27], v[30:31], v[10:11] op_sel_hi:[1,0,1]
	v_pk_fma_f32 v[8:9], v[44:45], v[30:31], v[8:9] op_sel_hi:[1,0,1]
	;; [unrolled: 1-line block ×3, first 2 shown]
	v_pk_fma_f32 v[8:9], v[44:45], v[14:15], v[8:9] op_sel:[1,0,0] op_sel_hi:[0,0,1] neg_lo:[1,0,0]
	s_waitcnt vmcnt(7)
	v_pk_fma_f32 v[10:11], v[20:21], v[32:33], v[10:11] op_sel_hi:[1,0,1]
	s_waitcnt vmcnt(6)
	v_pk_fma_f32 v[8:9], v[16:17], v[32:33], v[8:9] op_sel_hi:[1,0,1]
	v_pk_fma_f32 v[10:11], v[20:21], v[32:33], v[10:11] op_sel:[1,1,0] op_sel_hi:[0,1,1] neg_lo:[1,0,0]
	v_pk_fma_f32 v[8:9], v[16:17], v[32:33], v[8:9] op_sel:[1,1,0] op_sel_hi:[0,1,1] neg_lo:[1,0,0]
	v_mov_b32_e32 v24, v35
	v_pk_fma_f32 v[10:11], v[22:23], v[34:35], v[10:11] op_sel_hi:[1,0,1]
	s_waitcnt vmcnt(4)
	v_pk_fma_f32 v[8:9], v[54:55], v[34:35], v[8:9] op_sel_hi:[1,0,1]
	v_pk_fma_f32 v[10:11], v[46:47], v[24:25], v[10:11] op_sel_hi:[1,0,1]
	v_pk_fma_f32 v[8:9], v[54:55], v[24:25], v[8:9] op_sel:[1,0,0] op_sel_hi:[0,0,1] neg_lo:[1,0,0]
	s_waitcnt vmcnt(3)
	v_pk_fma_f32 v[10:11], v[52:53], v[36:37], v[10:11] op_sel_hi:[1,0,1]
	s_waitcnt vmcnt(1)
	v_pk_fma_f32 v[8:9], v[56:57], v[36:37], v[8:9] op_sel_hi:[1,0,1]
	v_pk_fma_f32 v[10:11], v[52:53], v[36:37], v[10:11] op_sel:[1,1,0] op_sel_hi:[0,1,1] neg_lo:[1,0,0]
	v_pk_fma_f32 v[8:9], v[56:57], v[36:37], v[8:9] op_sel:[1,1,0] op_sel_hi:[0,1,1] neg_lo:[1,0,0]
	v_mov_b32_e32 v14, v39
	s_waitcnt vmcnt(0)
	v_pk_fma_f32 v[10:11], v[58:59], v[38:39], v[10:11] op_sel_hi:[1,0,1]
	v_pk_fma_f32 v[8:9], v[50:51], v[38:39], v[8:9] op_sel_hi:[1,0,1]
	v_pk_fma_f32 v[10:11], v[58:59], v[14:15], v[10:11] op_sel:[1,0,0] op_sel_hi:[0,0,1] neg_lo:[1,0,0]
	v_pk_fma_f32 v[8:9], v[50:51], v[14:15], v[8:9] op_sel:[1,0,0] op_sel_hi:[0,0,1] neg_lo:[1,0,0]
	s_andn2_b64 exec, exec, s[2:3]
	s_cbranch_execnz .LBB174_21
; %bb.22:
	s_or_b64 exec, exec, s[2:3]
.LBB174_23:
	s_or_b64 exec, exec, s[4:5]
.LBB174_24:
	v_mov_b32_dpp v12, v8 row_shr:1 row_mask:0xf bank_mask:0xf
	v_add_f32_e32 v8, v8, v12
	v_mov_b32_dpp v0, v10 row_shr:1 row_mask:0xf bank_mask:0xf
	v_add_f32_e32 v0, v10, v0
	;; [unrolled: 2-line block ×6, first 2 shown]
	v_mov_b32_dpp v1, v0 row_shr:2 row_mask:0xf bank_mask:0xf
	v_mov_b32_dpp v11, v10 row_shr:2 row_mask:0xf bank_mask:0xf
	;; [unrolled: 1-line block ×3, first 2 shown]
	v_add_f32_e32 v0, v0, v1
	v_add_f32_e32 v10, v10, v11
	;; [unrolled: 1-line block ×3, first 2 shown]
	v_mov_b32_dpp v1, v0 row_shr:4 row_mask:0xf bank_mask:0xe
	v_mov_b32_dpp v11, v10 row_shr:4 row_mask:0xf bank_mask:0xe
	;; [unrolled: 1-line block ×3, first 2 shown]
	v_add_f32_e32 v0, v0, v1
	v_add_f32_e32 v10, v10, v11
	;; [unrolled: 1-line block ×3, first 2 shown]
	v_mov_b32_dpp v1, v0 row_shr:8 row_mask:0xf bank_mask:0xc
	v_mov_b32_dpp v11, v10 row_shr:8 row_mask:0xf bank_mask:0xc
	;; [unrolled: 1-line block ×4, first 2 shown]
	v_cmp_eq_u32_e32 vcc, 15, v7
	s_and_b64 exec, exec, vcc
	s_cbranch_execz .LBB174_29
; %bb.25:
	s_load_dwordx2 s[2:3], s[0:1], 0x38
	v_add_f32_e32 v8, v0, v1
	v_and_b32_e32 v1, 0x7fffffff, v4
	v_cmp_eq_u32_e32 vcc, 0, v1
	v_cmp_eq_f32_e64 s[0:1], 0, v5
	v_add_f32_e32 v12, v10, v11
	v_add_f32_e32 v0, v13, v14
	;; [unrolled: 1-line block ×3, first 2 shown]
	s_and_b64 s[0:1], vcc, s[0:1]
	s_and_saveexec_b64 s[4:5], s[0:1]
	s_xor_b64 s[0:1], exec, s[4:5]
	s_cbranch_execz .LBB174_27
; %bb.26:
	v_lshlrev_b32_e32 v4, 1, v6
	v_xor_b32_e32 v14, 0x80000000, v3
	v_ashrrev_i32_e32 v5, 31, v4
	v_mov_b32_e32 v15, v2
	s_waitcnt lgkmcnt(0)
	v_lshl_add_u64 v[16:17], v[4:5], 3, s[2:3]
	v_pk_mul_f32 v[4:5], v[12:13], v[14:15] op_sel_hi:[0,1]
	v_pk_mul_f32 v[6:7], v[10:11], v[14:15] op_sel_hi:[0,1]
	v_pk_fma_f32 v[4:5], v[2:3], v[8:9], v[4:5] op_sel_hi:[1,0,1]
	v_pk_fma_f32 v[6:7], v[2:3], v[0:1], v[6:7] op_sel_hi:[1,0,1]
	global_store_dwordx4 v[16:17], v[4:7], off
                                        ; implicit-def: $vgpr3
                                        ; implicit-def: $vgpr4
                                        ; implicit-def: $vgpr6
                                        ; implicit-def: $vgpr8
                                        ; implicit-def: $vgpr12
                                        ; implicit-def: $vgpr0
                                        ; implicit-def: $vgpr10
.LBB174_27:
	s_andn2_saveexec_b64 s[0:1], s[0:1]
	s_cbranch_execz .LBB174_29
; %bb.28:
	v_lshlrev_b32_e32 v6, 1, v6
	v_ashrrev_i32_e32 v7, 31, v6
	s_waitcnt lgkmcnt(0)
	v_lshl_add_u64 v[6:7], v[6:7], 3, s[2:3]
	global_load_dwordx4 v[14:17], v[6:7], off
	v_xor_b32_e32 v18, 0x80000000, v3
	v_mov_b32_e32 v19, v2
	v_pk_mul_f32 v[12:13], v[12:13], v[18:19] op_sel_hi:[0,1]
	v_pk_mul_f32 v[10:11], v[10:11], v[18:19] op_sel_hi:[0,1]
	v_pk_fma_f32 v[8:9], v[2:3], v[8:9], v[12:13] op_sel_hi:[1,0,1]
	v_pk_fma_f32 v[0:1], v[2:3], v[0:1], v[10:11] op_sel_hi:[1,0,1]
	v_xor_b32_e32 v20, 0x80000000, v5
	v_mov_b32_e32 v21, v4
	s_waitcnt vmcnt(0)
	v_pk_fma_f32 v[2:3], v[4:5], v[14:15], v[8:9] op_sel_hi:[1,0,1]
	v_pk_fma_f32 v[4:5], v[4:5], v[16:17], v[0:1] op_sel_hi:[1,0,1]
	v_mov_b32_e32 v8, v17
	v_pk_fma_f32 v[0:1], v[20:21], v[14:15], v[2:3] op_sel:[0,1,0]
	v_pk_fma_f32 v[2:3], v[20:21], v[8:9], v[4:5] op_sel_hi:[1,0,1]
	global_store_dwordx4 v[6:7], v[0:3], off
.LBB174_29:
	s_endpgm
	.section	.rodata,"a",@progbits
	.p2align	6, 0x0
	.amdhsa_kernel _ZN9rocsparseL19gebsrmvn_2xn_kernelILj128ELj6ELj16E21rocsparse_complex_numIfEEEvi20rocsparse_direction_NS_24const_host_device_scalarIT2_EEPKiS8_PKS5_SA_S6_PS5_21rocsparse_index_base_b
		.amdhsa_group_segment_fixed_size 0
		.amdhsa_private_segment_fixed_size 0
		.amdhsa_kernarg_size 72
		.amdhsa_user_sgpr_count 2
		.amdhsa_user_sgpr_dispatch_ptr 0
		.amdhsa_user_sgpr_queue_ptr 0
		.amdhsa_user_sgpr_kernarg_segment_ptr 1
		.amdhsa_user_sgpr_dispatch_id 0
		.amdhsa_user_sgpr_kernarg_preload_length 0
		.amdhsa_user_sgpr_kernarg_preload_offset 0
		.amdhsa_user_sgpr_private_segment_size 0
		.amdhsa_uses_dynamic_stack 0
		.amdhsa_enable_private_segment 0
		.amdhsa_system_sgpr_workgroup_id_x 1
		.amdhsa_system_sgpr_workgroup_id_y 0
		.amdhsa_system_sgpr_workgroup_id_z 0
		.amdhsa_system_sgpr_workgroup_info 0
		.amdhsa_system_vgpr_workitem_id 0
		.amdhsa_next_free_vgpr 64
		.amdhsa_next_free_sgpr 16
		.amdhsa_accum_offset 64
		.amdhsa_reserve_vcc 1
		.amdhsa_float_round_mode_32 0
		.amdhsa_float_round_mode_16_64 0
		.amdhsa_float_denorm_mode_32 3
		.amdhsa_float_denorm_mode_16_64 3
		.amdhsa_dx10_clamp 1
		.amdhsa_ieee_mode 1
		.amdhsa_fp16_overflow 0
		.amdhsa_tg_split 0
		.amdhsa_exception_fp_ieee_invalid_op 0
		.amdhsa_exception_fp_denorm_src 0
		.amdhsa_exception_fp_ieee_div_zero 0
		.amdhsa_exception_fp_ieee_overflow 0
		.amdhsa_exception_fp_ieee_underflow 0
		.amdhsa_exception_fp_ieee_inexact 0
		.amdhsa_exception_int_div_zero 0
	.end_amdhsa_kernel
	.section	.text._ZN9rocsparseL19gebsrmvn_2xn_kernelILj128ELj6ELj16E21rocsparse_complex_numIfEEEvi20rocsparse_direction_NS_24const_host_device_scalarIT2_EEPKiS8_PKS5_SA_S6_PS5_21rocsparse_index_base_b,"axG",@progbits,_ZN9rocsparseL19gebsrmvn_2xn_kernelILj128ELj6ELj16E21rocsparse_complex_numIfEEEvi20rocsparse_direction_NS_24const_host_device_scalarIT2_EEPKiS8_PKS5_SA_S6_PS5_21rocsparse_index_base_b,comdat
.Lfunc_end174:
	.size	_ZN9rocsparseL19gebsrmvn_2xn_kernelILj128ELj6ELj16E21rocsparse_complex_numIfEEEvi20rocsparse_direction_NS_24const_host_device_scalarIT2_EEPKiS8_PKS5_SA_S6_PS5_21rocsparse_index_base_b, .Lfunc_end174-_ZN9rocsparseL19gebsrmvn_2xn_kernelILj128ELj6ELj16E21rocsparse_complex_numIfEEEvi20rocsparse_direction_NS_24const_host_device_scalarIT2_EEPKiS8_PKS5_SA_S6_PS5_21rocsparse_index_base_b
                                        ; -- End function
	.section	.AMDGPU.csdata,"",@progbits
; Kernel info:
; codeLenInByte = 2080
; NumSgprs: 22
; NumVgprs: 64
; NumAgprs: 0
; TotalNumVgprs: 64
; ScratchSize: 0
; MemoryBound: 0
; FloatMode: 240
; IeeeMode: 1
; LDSByteSize: 0 bytes/workgroup (compile time only)
; SGPRBlocks: 2
; VGPRBlocks: 7
; NumSGPRsForWavesPerEU: 22
; NumVGPRsForWavesPerEU: 64
; AccumOffset: 64
; Occupancy: 8
; WaveLimiterHint : 1
; COMPUTE_PGM_RSRC2:SCRATCH_EN: 0
; COMPUTE_PGM_RSRC2:USER_SGPR: 2
; COMPUTE_PGM_RSRC2:TRAP_HANDLER: 0
; COMPUTE_PGM_RSRC2:TGID_X_EN: 1
; COMPUTE_PGM_RSRC2:TGID_Y_EN: 0
; COMPUTE_PGM_RSRC2:TGID_Z_EN: 0
; COMPUTE_PGM_RSRC2:TIDIG_COMP_CNT: 0
; COMPUTE_PGM_RSRC3_GFX90A:ACCUM_OFFSET: 15
; COMPUTE_PGM_RSRC3_GFX90A:TG_SPLIT: 0
	.section	.text._ZN9rocsparseL19gebsrmvn_2xn_kernelILj128ELj6ELj32E21rocsparse_complex_numIfEEEvi20rocsparse_direction_NS_24const_host_device_scalarIT2_EEPKiS8_PKS5_SA_S6_PS5_21rocsparse_index_base_b,"axG",@progbits,_ZN9rocsparseL19gebsrmvn_2xn_kernelILj128ELj6ELj32E21rocsparse_complex_numIfEEEvi20rocsparse_direction_NS_24const_host_device_scalarIT2_EEPKiS8_PKS5_SA_S6_PS5_21rocsparse_index_base_b,comdat
	.globl	_ZN9rocsparseL19gebsrmvn_2xn_kernelILj128ELj6ELj32E21rocsparse_complex_numIfEEEvi20rocsparse_direction_NS_24const_host_device_scalarIT2_EEPKiS8_PKS5_SA_S6_PS5_21rocsparse_index_base_b ; -- Begin function _ZN9rocsparseL19gebsrmvn_2xn_kernelILj128ELj6ELj32E21rocsparse_complex_numIfEEEvi20rocsparse_direction_NS_24const_host_device_scalarIT2_EEPKiS8_PKS5_SA_S6_PS5_21rocsparse_index_base_b
	.p2align	8
	.type	_ZN9rocsparseL19gebsrmvn_2xn_kernelILj128ELj6ELj32E21rocsparse_complex_numIfEEEvi20rocsparse_direction_NS_24const_host_device_scalarIT2_EEPKiS8_PKS5_SA_S6_PS5_21rocsparse_index_base_b,@function
_ZN9rocsparseL19gebsrmvn_2xn_kernelILj128ELj6ELj32E21rocsparse_complex_numIfEEEvi20rocsparse_direction_NS_24const_host_device_scalarIT2_EEPKiS8_PKS5_SA_S6_PS5_21rocsparse_index_base_b: ; @_ZN9rocsparseL19gebsrmvn_2xn_kernelILj128ELj6ELj32E21rocsparse_complex_numIfEEEvi20rocsparse_direction_NS_24const_host_device_scalarIT2_EEPKiS8_PKS5_SA_S6_PS5_21rocsparse_index_base_b
; %bb.0:
	s_load_dwordx2 s[12:13], s[0:1], 0x40
	s_load_dwordx2 s[8:9], s[0:1], 0x8
	;; [unrolled: 1-line block ×3, first 2 shown]
	s_waitcnt lgkmcnt(0)
	s_bitcmp1_b32 s13, 0
	s_cselect_b64 s[4:5], -1, 0
	s_xor_b64 s[10:11], s[4:5], -1
	s_and_b64 vcc, exec, s[4:5]
	v_mov_b32_e32 v2, s8
	s_cbranch_vccnz .LBB175_2
; %bb.1:
	v_mov_b64_e32 v[2:3], s[8:9]
	flat_load_dword v2, v[2:3]
.LBB175_2:
	v_cndmask_b32_e64 v1, 0, 1, s[10:11]
	v_cmp_ne_u32_e64 s[4:5], 1, v1
	s_andn2_b64 vcc, exec, s[10:11]
	v_mov_b32_e32 v3, s9
	s_cbranch_vccz .LBB175_16
; %bb.3:
	s_and_b64 vcc, exec, s[4:5]
	v_mov_b32_e32 v4, s6
	s_cbranch_vccz .LBB175_17
.LBB175_4:
	s_and_b64 vcc, exec, s[4:5]
	v_mov_b32_e32 v5, s7
	s_cbranch_vccnz .LBB175_6
.LBB175_5:
	v_mov_b64_e32 v[6:7], s[6:7]
	flat_load_dword v5, v[6:7] offset:4
.LBB175_6:
	s_waitcnt vmcnt(0) lgkmcnt(0)
	v_and_b32_e32 v1, 0x7fffffff, v2
	v_cmp_eq_u32_e32 vcc, 0, v1
	v_cmp_eq_f32_e64 s[4:5], 0, v3
	s_and_b64 s[8:9], vcc, s[4:5]
	s_mov_b64 s[4:5], -1
	s_and_saveexec_b64 s[6:7], s[8:9]
; %bb.7:
	v_and_b32_e32 v1, 0x7fffffff, v5
	v_cmp_neq_f32_e32 vcc, 1.0, v4
	v_cmp_ne_u32_e64 s[4:5], 0, v1
	s_or_b64 s[4:5], vcc, s[4:5]
	s_orn2_b64 s[4:5], s[4:5], exec
; %bb.8:
	s_or_b64 exec, exec, s[6:7]
	s_and_saveexec_b64 s[6:7], s[4:5]
	s_cbranch_execz .LBB175_29
; %bb.9:
	s_load_dwordx2 s[14:15], s[0:1], 0x0
	v_lshrrev_b32_e32 v1, 5, v0
	v_lshl_or_b32 v6, s2, 2, v1
	s_waitcnt lgkmcnt(0)
	v_cmp_gt_i32_e32 vcc, s14, v6
	s_and_b64 exec, exec, vcc
	s_cbranch_execz .LBB175_29
; %bb.10:
	s_load_dwordx8 s[4:11], s[0:1], 0x10
	v_ashrrev_i32_e32 v7, 31, v6
	s_cmp_lg_u32 s15, 0
	s_waitcnt lgkmcnt(0)
	v_lshl_add_u64 v[8:9], v[6:7], 2, s[4:5]
	global_load_dwordx2 v[8:9], v[8:9], off
	v_and_b32_e32 v7, 31, v0
	s_waitcnt vmcnt(0)
	v_subrev_u32_e32 v0, s12, v8
	v_subrev_u32_e32 v18, s12, v9
	v_add_u32_e32 v0, v0, v7
	v_cmp_lt_i32_e64 s[2:3], v0, v18
	s_cbranch_scc0 .LBB175_18
; %bb.11:
	v_mov_b32_e32 v11, 0
	v_mov_b32_e32 v10, v11
	;; [unrolled: 1-line block ×4, first 2 shown]
	s_and_saveexec_b64 s[4:5], s[2:3]
	s_cbranch_execz .LBB175_15
; %bb.12:
	v_mad_u64_u32 v[12:13], s[14:15], v0, 12, 10
	v_mov_b32_e32 v15, 0
	s_mov_b64 s[14:15], 0
	v_mov_b32_e32 v16, v0
	v_mov_b32_e32 v8, v15
	v_mov_b32_e32 v9, v15
	v_mov_b32_e32 v10, v15
	v_mov_b32_e32 v11, v15
.LBB175_13:                             ; =>This Inner Loop Header: Depth=1
	v_ashrrev_i32_e32 v17, 31, v16
	v_lshl_add_u64 v[20:21], v[16:17], 2, s[6:7]
	global_load_dword v1, v[20:21], off
	v_add_u32_e32 v14, -10, v12
	v_mov_b32_e32 v41, v15
	v_lshl_add_u64 v[28:29], v[14:15], 3, s[8:9]
	global_load_dwordx4 v[20:23], v[28:29], off offset:16
	global_load_dwordx4 v[24:27], v[28:29], off
	v_add_u32_e32 v14, -6, v12
	v_lshl_add_u64 v[28:29], v[14:15], 3, s[8:9]
	global_load_dwordx4 v[28:31], v[28:29], off
	v_mov_b32_e32 v13, v15
	v_lshl_add_u64 v[56:57], v[12:13], 3, s[8:9]
	v_add_u32_e32 v16, 32, v16
	v_cmp_ge_i32_e32 vcc, v16, v18
	s_or_b64 s[14:15], vcc, s[14:15]
	s_waitcnt vmcnt(3)
	v_subrev_u32_e32 v1, s12, v1
	v_mul_lo_u32 v40, v1, 6
	v_lshl_add_u64 v[32:33], v[40:41], 3, s[10:11]
	global_load_dwordx4 v[32:35], v[32:33], off
	v_add_u32_e32 v14, 2, v40
	v_lshl_add_u64 v[36:37], v[14:15], 3, s[10:11]
	global_load_dwordx4 v[36:39], v[36:37], off
	v_add_u32_e32 v14, -4, v12
	v_lshl_add_u64 v[42:43], v[14:15], 3, s[8:9]
	v_add_u32_e32 v14, -2, v12
	v_lshl_add_u64 v[58:59], v[14:15], 3, s[8:9]
	v_add_u32_e32 v14, 4, v40
	global_load_dwordx4 v[40:43], v[42:43], off
	v_lshl_add_u64 v[60:61], v[14:15], 3, s[10:11]
	global_load_dwordx4 v[44:47], v[58:59], off
	global_load_dwordx4 v[48:51], v[60:61], off
	;; [unrolled: 1-line block ×3, first 2 shown]
	s_waitcnt vmcnt(7)
	v_xor_b32_e32 v56, 0x80000000, v27
	v_mov_b32_e32 v57, v26
	v_xor_b32_e32 v58, 0x80000000, v23
	v_mov_b32_e32 v59, v22
	s_waitcnt vmcnt(6)
	v_xor_b32_e32 v62, 0x80000000, v31
	v_mov_b32_e32 v63, v30
	v_add_u32_e32 v12, 0x180, v12
	s_waitcnt vmcnt(5)
	v_pk_fma_f32 v[10:11], v[24:25], v[32:33], v[10:11] op_sel_hi:[1,0,1]
	v_pk_fma_f32 v[8:9], v[26:27], v[32:33], v[8:9] op_sel_hi:[1,0,1]
	v_pk_fma_f32 v[10:11], v[24:25], v[32:33], v[10:11] op_sel:[1,1,0] op_sel_hi:[0,1,1] neg_lo:[1,0,0]
	v_pk_fma_f32 v[8:9], v[56:57], v[32:33], v[8:9] op_sel:[0,1,0]
	v_mov_b32_e32 v14, v35
	v_pk_fma_f32 v[10:11], v[20:21], v[34:35], v[10:11] op_sel_hi:[1,0,1]
	v_pk_fma_f32 v[8:9], v[22:23], v[34:35], v[8:9] op_sel_hi:[1,0,1]
	v_pk_fma_f32 v[10:11], v[20:21], v[14:15], v[10:11] op_sel:[1,0,0] op_sel_hi:[0,0,1] neg_lo:[1,0,0]
	v_pk_fma_f32 v[8:9], v[58:59], v[14:15], v[8:9] op_sel_hi:[1,0,1]
	s_waitcnt vmcnt(4)
	v_pk_fma_f32 v[10:11], v[28:29], v[36:37], v[10:11] op_sel_hi:[1,0,1]
	v_pk_fma_f32 v[8:9], v[30:31], v[36:37], v[8:9] op_sel_hi:[1,0,1]
	v_pk_fma_f32 v[10:11], v[28:29], v[36:37], v[10:11] op_sel:[1,1,0] op_sel_hi:[0,1,1] neg_lo:[1,0,0]
	v_pk_fma_f32 v[8:9], v[62:63], v[36:37], v[8:9] op_sel:[0,1,0]
	v_mov_b32_e32 v24, v39
	s_waitcnt vmcnt(3)
	v_xor_b32_e32 v22, 0x80000000, v43
	v_mov_b32_e32 v23, v42
	v_pk_fma_f32 v[10:11], v[40:41], v[38:39], v[10:11] op_sel_hi:[1,0,1]
	v_pk_fma_f32 v[8:9], v[42:43], v[38:39], v[8:9] op_sel_hi:[1,0,1]
	v_pk_fma_f32 v[10:11], v[40:41], v[24:25], v[10:11] op_sel:[1,0,0] op_sel_hi:[0,0,1] neg_lo:[1,0,0]
	v_pk_fma_f32 v[8:9], v[22:23], v[24:25], v[8:9] op_sel_hi:[1,0,1]
	s_waitcnt vmcnt(2)
	v_xor_b32_e32 v20, 0x80000000, v47
	v_mov_b32_e32 v21, v46
	s_waitcnt vmcnt(1)
	v_pk_fma_f32 v[10:11], v[44:45], v[48:49], v[10:11] op_sel_hi:[1,0,1]
	v_pk_fma_f32 v[8:9], v[46:47], v[48:49], v[8:9] op_sel_hi:[1,0,1]
	v_pk_fma_f32 v[10:11], v[44:45], v[48:49], v[10:11] op_sel:[1,1,0] op_sel_hi:[0,1,1] neg_lo:[1,0,0]
	v_pk_fma_f32 v[8:9], v[20:21], v[48:49], v[8:9] op_sel:[0,1,0]
	s_waitcnt vmcnt(0)
	v_xor_b32_e32 v60, 0x80000000, v55
	v_mov_b32_e32 v61, v54
	v_mov_b32_e32 v14, v51
	v_pk_fma_f32 v[10:11], v[52:53], v[50:51], v[10:11] op_sel_hi:[1,0,1]
	v_pk_fma_f32 v[8:9], v[54:55], v[50:51], v[8:9] op_sel_hi:[1,0,1]
	v_pk_fma_f32 v[10:11], v[52:53], v[14:15], v[10:11] op_sel:[1,0,0] op_sel_hi:[0,0,1] neg_lo:[1,0,0]
	v_pk_fma_f32 v[8:9], v[60:61], v[14:15], v[8:9] op_sel_hi:[1,0,1]
	s_andn2_b64 exec, exec, s[14:15]
	s_cbranch_execnz .LBB175_13
; %bb.14:
	s_or_b64 exec, exec, s[14:15]
.LBB175_15:
	s_or_b64 exec, exec, s[4:5]
	s_cbranch_execz .LBB175_19
	s_branch .LBB175_24
.LBB175_16:
	v_mov_b64_e32 v[4:5], s[8:9]
	flat_load_dword v3, v[4:5] offset:4
	s_and_b64 vcc, exec, s[4:5]
	v_mov_b32_e32 v4, s6
	s_cbranch_vccnz .LBB175_4
.LBB175_17:
	v_mov_b64_e32 v[4:5], s[6:7]
	flat_load_dword v4, v[4:5]
	s_and_b64 vcc, exec, s[4:5]
	v_mov_b32_e32 v5, s7
	s_cbranch_vccz .LBB175_5
	s_branch .LBB175_6
.LBB175_18:
                                        ; implicit-def: $vgpr11
                                        ; implicit-def: $vgpr9
.LBB175_19:
	v_mov_b32_e32 v11, 0
	v_mov_b32_e32 v10, v11
	;; [unrolled: 1-line block ×4, first 2 shown]
	s_and_saveexec_b64 s[4:5], s[2:3]
	s_cbranch_execz .LBB175_23
; %bb.20:
	v_mad_u64_u32 v[12:13], s[2:3], v0, 12, 11
	v_mov_b32_e32 v15, 0
	s_mov_b64 s[2:3], 0
	v_mov_b32_e32 v8, v15
	v_mov_b32_e32 v9, v15
	;; [unrolled: 1-line block ×4, first 2 shown]
.LBB175_21:                             ; =>This Inner Loop Header: Depth=1
	v_ashrrev_i32_e32 v1, 31, v0
	v_lshl_add_u64 v[16:17], v[0:1], 2, s[6:7]
	global_load_dword v1, v[16:17], off
	v_add_u32_e32 v14, -11, v12
	v_add_u32_e32 v16, -5, v12
	v_mov_b32_e32 v17, v15
	v_mov_b32_e32 v37, v15
	v_lshl_add_u64 v[28:29], v[14:15], 3, s[8:9]
	v_lshl_add_u64 v[16:17], v[16:17], 3, s[8:9]
	v_add_u32_e32 v14, -4, v12
	global_load_dwordx4 v[20:23], v[28:29], off offset:16
	global_load_dwordx4 v[24:27], v[28:29], off
	v_lshl_add_u64 v[28:29], v[14:15], 3, s[8:9]
	global_load_dwordx2 v[42:43], v[16:17], off
	global_load_dwordx2 v[44:45], v[28:29], off
	v_mov_b32_e32 v13, v15
	v_lshl_add_u64 v[40:41], v[12:13], 3, s[8:9]
	v_add_u32_e32 v0, 32, v0
	v_cmp_ge_i32_e32 vcc, v0, v18
	s_or_b64 s[2:3], vcc, s[2:3]
	s_waitcnt vmcnt(4)
	v_subrev_u32_e32 v1, s12, v1
	v_mul_lo_u32 v36, v1, 6
	v_lshl_add_u64 v[16:17], v[36:37], 3, s[10:11]
	global_load_dwordx4 v[28:31], v[16:17], off
	v_add_u32_e32 v14, 2, v36
	v_lshl_add_u64 v[16:17], v[14:15], 3, s[10:11]
	v_add_u32_e32 v14, -3, v12
	global_load_dwordx4 v[32:35], v[16:17], off
	v_lshl_add_u64 v[16:17], v[14:15], 3, s[8:9]
	v_add_u32_e32 v14, -2, v12
	global_load_dwordx2 v[16:17], v[16:17], off
	v_lshl_add_u64 v[46:47], v[14:15], 3, s[8:9]
	v_add_u32_e32 v14, -7, v12
	v_lshl_add_u64 v[48:49], v[14:15], 3, s[8:9]
	v_add_u32_e32 v14, 4, v36
	v_lshl_add_u64 v[50:51], v[14:15], 3, s[10:11]
	v_add_u32_e32 v14, -1, v12
	global_load_dwordx2 v[52:53], v[48:49], off
	global_load_dwordx2 v[54:55], v[46:47], off
	global_load_dwordx4 v[36:39], v[50:51], off
	v_lshl_add_u64 v[46:47], v[14:15], 3, s[8:9]
	v_add_u32_e32 v14, -6, v12
	v_lshl_add_u64 v[48:49], v[14:15], 3, s[8:9]
	global_load_dwordx2 v[50:51], v[40:41], off
	global_load_dwordx2 v[56:57], v[46:47], off
	;; [unrolled: 1-line block ×3, first 2 shown]
	s_waitcnt vmcnt(11)
	v_xor_b32_e32 v40, 0x80000000, v27
	v_mov_b32_e32 v41, v26
	v_xor_b32_e32 v46, 0x80000000, v23
	v_mov_b32_e32 v47, v22
	v_add_u32_e32 v12, 0x180, v12
	s_waitcnt vmcnt(8)
	v_pk_fma_f32 v[10:11], v[24:25], v[28:29], v[10:11] op_sel_hi:[1,0,1]
	v_pk_fma_f32 v[8:9], v[42:43], v[28:29], v[8:9] op_sel_hi:[1,0,1]
	v_pk_fma_f32 v[10:11], v[24:25], v[28:29], v[10:11] op_sel:[1,1,0] op_sel_hi:[0,1,1] neg_lo:[1,0,0]
	v_pk_fma_f32 v[8:9], v[42:43], v[28:29], v[8:9] op_sel:[1,1,0] op_sel_hi:[0,1,1] neg_lo:[1,0,0]
	v_mov_b32_e32 v14, v31
	v_pk_fma_f32 v[10:11], v[26:27], v[30:31], v[10:11] op_sel_hi:[1,0,1]
	v_pk_fma_f32 v[8:9], v[44:45], v[30:31], v[8:9] op_sel_hi:[1,0,1]
	;; [unrolled: 1-line block ×3, first 2 shown]
	v_pk_fma_f32 v[8:9], v[44:45], v[14:15], v[8:9] op_sel:[1,0,0] op_sel_hi:[0,0,1] neg_lo:[1,0,0]
	s_waitcnt vmcnt(7)
	v_pk_fma_f32 v[10:11], v[20:21], v[32:33], v[10:11] op_sel_hi:[1,0,1]
	s_waitcnt vmcnt(6)
	v_pk_fma_f32 v[8:9], v[16:17], v[32:33], v[8:9] op_sel_hi:[1,0,1]
	v_pk_fma_f32 v[10:11], v[20:21], v[32:33], v[10:11] op_sel:[1,1,0] op_sel_hi:[0,1,1] neg_lo:[1,0,0]
	v_pk_fma_f32 v[8:9], v[16:17], v[32:33], v[8:9] op_sel:[1,1,0] op_sel_hi:[0,1,1] neg_lo:[1,0,0]
	v_mov_b32_e32 v24, v35
	v_pk_fma_f32 v[10:11], v[22:23], v[34:35], v[10:11] op_sel_hi:[1,0,1]
	s_waitcnt vmcnt(4)
	v_pk_fma_f32 v[8:9], v[54:55], v[34:35], v[8:9] op_sel_hi:[1,0,1]
	v_pk_fma_f32 v[10:11], v[46:47], v[24:25], v[10:11] op_sel_hi:[1,0,1]
	v_pk_fma_f32 v[8:9], v[54:55], v[24:25], v[8:9] op_sel:[1,0,0] op_sel_hi:[0,0,1] neg_lo:[1,0,0]
	s_waitcnt vmcnt(3)
	v_pk_fma_f32 v[10:11], v[52:53], v[36:37], v[10:11] op_sel_hi:[1,0,1]
	s_waitcnt vmcnt(1)
	v_pk_fma_f32 v[8:9], v[56:57], v[36:37], v[8:9] op_sel_hi:[1,0,1]
	v_pk_fma_f32 v[10:11], v[52:53], v[36:37], v[10:11] op_sel:[1,1,0] op_sel_hi:[0,1,1] neg_lo:[1,0,0]
	v_pk_fma_f32 v[8:9], v[56:57], v[36:37], v[8:9] op_sel:[1,1,0] op_sel_hi:[0,1,1] neg_lo:[1,0,0]
	v_mov_b32_e32 v14, v39
	s_waitcnt vmcnt(0)
	v_pk_fma_f32 v[10:11], v[58:59], v[38:39], v[10:11] op_sel_hi:[1,0,1]
	v_pk_fma_f32 v[8:9], v[50:51], v[38:39], v[8:9] op_sel_hi:[1,0,1]
	v_pk_fma_f32 v[10:11], v[58:59], v[14:15], v[10:11] op_sel:[1,0,0] op_sel_hi:[0,0,1] neg_lo:[1,0,0]
	v_pk_fma_f32 v[8:9], v[50:51], v[14:15], v[8:9] op_sel:[1,0,0] op_sel_hi:[0,0,1] neg_lo:[1,0,0]
	s_andn2_b64 exec, exec, s[2:3]
	s_cbranch_execnz .LBB175_21
; %bb.22:
	s_or_b64 exec, exec, s[2:3]
.LBB175_23:
	s_or_b64 exec, exec, s[4:5]
.LBB175_24:
	v_mov_b32_dpp v12, v8 row_shr:1 row_mask:0xf bank_mask:0xf
	v_add_f32_e32 v8, v8, v12
	v_mov_b32_dpp v0, v10 row_shr:1 row_mask:0xf bank_mask:0xf
	v_add_f32_e32 v0, v10, v0
	;; [unrolled: 2-line block ×5, first 2 shown]
	v_mov_b32_dpp v1, v0 row_shr:2 row_mask:0xf bank_mask:0xf
	v_mov_b32_dpp v11, v10 row_shr:2 row_mask:0xf bank_mask:0xf
	;; [unrolled: 1-line block ×3, first 2 shown]
	v_add_f32_e32 v13, v8, v12
	v_mov_b32_dpp v8, v9 row_shr:1 row_mask:0xf bank_mask:0xf
	v_add_f32_e32 v8, v9, v8
	v_add_f32_e32 v0, v0, v1
	;; [unrolled: 1-line block ×3, first 2 shown]
	v_mov_b32_dpp v9, v8 row_shr:2 row_mask:0xf bank_mask:0xf
	v_add_f32_e32 v8, v8, v9
	v_mov_b32_dpp v1, v0 row_shr:4 row_mask:0xf bank_mask:0xe
	v_mov_b32_dpp v11, v10 row_shr:4 row_mask:0xf bank_mask:0xe
	;; [unrolled: 1-line block ×3, first 2 shown]
	v_add_f32_e32 v0, v0, v1
	v_add_f32_e32 v10, v10, v11
	v_add_f32_e32 v8, v8, v9
	v_mov_b32_dpp v1, v0 row_shr:8 row_mask:0xf bank_mask:0xc
	v_mov_b32_dpp v11, v10 row_shr:8 row_mask:0xf bank_mask:0xc
	;; [unrolled: 1-line block ×3, first 2 shown]
	v_add_f32_e32 v0, v0, v1
	v_add_f32_e32 v10, v10, v11
	;; [unrolled: 1-line block ×3, first 2 shown]
	v_mov_b32_dpp v1, v0 row_bcast:15 row_mask:0xa bank_mask:0xf
	v_mov_b32_dpp v11, v10 row_bcast:15 row_mask:0xa bank_mask:0xf
	;; [unrolled: 1-line block ×4, first 2 shown]
	v_cmp_eq_u32_e32 vcc, 31, v7
	s_and_b64 exec, exec, vcc
	s_cbranch_execz .LBB175_29
; %bb.25:
	s_load_dwordx2 s[2:3], s[0:1], 0x38
	v_add_f32_e32 v8, v0, v1
	v_and_b32_e32 v1, 0x7fffffff, v4
	v_cmp_eq_u32_e32 vcc, 0, v1
	v_cmp_eq_f32_e64 s[0:1], 0, v5
	v_add_f32_e32 v12, v10, v11
	v_add_f32_e32 v0, v13, v14
	;; [unrolled: 1-line block ×3, first 2 shown]
	s_and_b64 s[0:1], vcc, s[0:1]
	s_and_saveexec_b64 s[4:5], s[0:1]
	s_xor_b64 s[0:1], exec, s[4:5]
	s_cbranch_execz .LBB175_27
; %bb.26:
	v_lshlrev_b32_e32 v4, 1, v6
	v_xor_b32_e32 v14, 0x80000000, v3
	v_ashrrev_i32_e32 v5, 31, v4
	v_mov_b32_e32 v15, v2
	s_waitcnt lgkmcnt(0)
	v_lshl_add_u64 v[16:17], v[4:5], 3, s[2:3]
	v_pk_mul_f32 v[4:5], v[12:13], v[14:15] op_sel_hi:[0,1]
	v_pk_mul_f32 v[6:7], v[10:11], v[14:15] op_sel_hi:[0,1]
	v_pk_fma_f32 v[4:5], v[2:3], v[8:9], v[4:5] op_sel_hi:[1,0,1]
	v_pk_fma_f32 v[6:7], v[2:3], v[0:1], v[6:7] op_sel_hi:[1,0,1]
	global_store_dwordx4 v[16:17], v[4:7], off
                                        ; implicit-def: $vgpr3
                                        ; implicit-def: $vgpr4
                                        ; implicit-def: $vgpr6
                                        ; implicit-def: $vgpr8
                                        ; implicit-def: $vgpr12
                                        ; implicit-def: $vgpr0
                                        ; implicit-def: $vgpr10
.LBB175_27:
	s_andn2_saveexec_b64 s[0:1], s[0:1]
	s_cbranch_execz .LBB175_29
; %bb.28:
	v_lshlrev_b32_e32 v6, 1, v6
	v_ashrrev_i32_e32 v7, 31, v6
	s_waitcnt lgkmcnt(0)
	v_lshl_add_u64 v[6:7], v[6:7], 3, s[2:3]
	global_load_dwordx4 v[14:17], v[6:7], off
	v_xor_b32_e32 v18, 0x80000000, v3
	v_mov_b32_e32 v19, v2
	v_pk_mul_f32 v[12:13], v[12:13], v[18:19] op_sel_hi:[0,1]
	v_pk_mul_f32 v[10:11], v[10:11], v[18:19] op_sel_hi:[0,1]
	v_pk_fma_f32 v[8:9], v[2:3], v[8:9], v[12:13] op_sel_hi:[1,0,1]
	v_pk_fma_f32 v[0:1], v[2:3], v[0:1], v[10:11] op_sel_hi:[1,0,1]
	v_xor_b32_e32 v20, 0x80000000, v5
	v_mov_b32_e32 v21, v4
	s_waitcnt vmcnt(0)
	v_pk_fma_f32 v[2:3], v[4:5], v[14:15], v[8:9] op_sel_hi:[1,0,1]
	v_pk_fma_f32 v[4:5], v[4:5], v[16:17], v[0:1] op_sel_hi:[1,0,1]
	v_mov_b32_e32 v8, v17
	v_pk_fma_f32 v[0:1], v[20:21], v[14:15], v[2:3] op_sel:[0,1,0]
	v_pk_fma_f32 v[2:3], v[20:21], v[8:9], v[4:5] op_sel_hi:[1,0,1]
	global_store_dwordx4 v[6:7], v[0:3], off
.LBB175_29:
	s_endpgm
	.section	.rodata,"a",@progbits
	.p2align	6, 0x0
	.amdhsa_kernel _ZN9rocsparseL19gebsrmvn_2xn_kernelILj128ELj6ELj32E21rocsparse_complex_numIfEEEvi20rocsparse_direction_NS_24const_host_device_scalarIT2_EEPKiS8_PKS5_SA_S6_PS5_21rocsparse_index_base_b
		.amdhsa_group_segment_fixed_size 0
		.amdhsa_private_segment_fixed_size 0
		.amdhsa_kernarg_size 72
		.amdhsa_user_sgpr_count 2
		.amdhsa_user_sgpr_dispatch_ptr 0
		.amdhsa_user_sgpr_queue_ptr 0
		.amdhsa_user_sgpr_kernarg_segment_ptr 1
		.amdhsa_user_sgpr_dispatch_id 0
		.amdhsa_user_sgpr_kernarg_preload_length 0
		.amdhsa_user_sgpr_kernarg_preload_offset 0
		.amdhsa_user_sgpr_private_segment_size 0
		.amdhsa_uses_dynamic_stack 0
		.amdhsa_enable_private_segment 0
		.amdhsa_system_sgpr_workgroup_id_x 1
		.amdhsa_system_sgpr_workgroup_id_y 0
		.amdhsa_system_sgpr_workgroup_id_z 0
		.amdhsa_system_sgpr_workgroup_info 0
		.amdhsa_system_vgpr_workitem_id 0
		.amdhsa_next_free_vgpr 64
		.amdhsa_next_free_sgpr 16
		.amdhsa_accum_offset 64
		.amdhsa_reserve_vcc 1
		.amdhsa_float_round_mode_32 0
		.amdhsa_float_round_mode_16_64 0
		.amdhsa_float_denorm_mode_32 3
		.amdhsa_float_denorm_mode_16_64 3
		.amdhsa_dx10_clamp 1
		.amdhsa_ieee_mode 1
		.amdhsa_fp16_overflow 0
		.amdhsa_tg_split 0
		.amdhsa_exception_fp_ieee_invalid_op 0
		.amdhsa_exception_fp_denorm_src 0
		.amdhsa_exception_fp_ieee_div_zero 0
		.amdhsa_exception_fp_ieee_overflow 0
		.amdhsa_exception_fp_ieee_underflow 0
		.amdhsa_exception_fp_ieee_inexact 0
		.amdhsa_exception_int_div_zero 0
	.end_amdhsa_kernel
	.section	.text._ZN9rocsparseL19gebsrmvn_2xn_kernelILj128ELj6ELj32E21rocsparse_complex_numIfEEEvi20rocsparse_direction_NS_24const_host_device_scalarIT2_EEPKiS8_PKS5_SA_S6_PS5_21rocsparse_index_base_b,"axG",@progbits,_ZN9rocsparseL19gebsrmvn_2xn_kernelILj128ELj6ELj32E21rocsparse_complex_numIfEEEvi20rocsparse_direction_NS_24const_host_device_scalarIT2_EEPKiS8_PKS5_SA_S6_PS5_21rocsparse_index_base_b,comdat
.Lfunc_end175:
	.size	_ZN9rocsparseL19gebsrmvn_2xn_kernelILj128ELj6ELj32E21rocsparse_complex_numIfEEEvi20rocsparse_direction_NS_24const_host_device_scalarIT2_EEPKiS8_PKS5_SA_S6_PS5_21rocsparse_index_base_b, .Lfunc_end175-_ZN9rocsparseL19gebsrmvn_2xn_kernelILj128ELj6ELj32E21rocsparse_complex_numIfEEEvi20rocsparse_direction_NS_24const_host_device_scalarIT2_EEPKiS8_PKS5_SA_S6_PS5_21rocsparse_index_base_b
                                        ; -- End function
	.section	.AMDGPU.csdata,"",@progbits
; Kernel info:
; codeLenInByte = 2128
; NumSgprs: 22
; NumVgprs: 64
; NumAgprs: 0
; TotalNumVgprs: 64
; ScratchSize: 0
; MemoryBound: 0
; FloatMode: 240
; IeeeMode: 1
; LDSByteSize: 0 bytes/workgroup (compile time only)
; SGPRBlocks: 2
; VGPRBlocks: 7
; NumSGPRsForWavesPerEU: 22
; NumVGPRsForWavesPerEU: 64
; AccumOffset: 64
; Occupancy: 8
; WaveLimiterHint : 1
; COMPUTE_PGM_RSRC2:SCRATCH_EN: 0
; COMPUTE_PGM_RSRC2:USER_SGPR: 2
; COMPUTE_PGM_RSRC2:TRAP_HANDLER: 0
; COMPUTE_PGM_RSRC2:TGID_X_EN: 1
; COMPUTE_PGM_RSRC2:TGID_Y_EN: 0
; COMPUTE_PGM_RSRC2:TGID_Z_EN: 0
; COMPUTE_PGM_RSRC2:TIDIG_COMP_CNT: 0
; COMPUTE_PGM_RSRC3_GFX90A:ACCUM_OFFSET: 15
; COMPUTE_PGM_RSRC3_GFX90A:TG_SPLIT: 0
	.section	.text._ZN9rocsparseL19gebsrmvn_2xn_kernelILj128ELj6ELj64E21rocsparse_complex_numIfEEEvi20rocsparse_direction_NS_24const_host_device_scalarIT2_EEPKiS8_PKS5_SA_S6_PS5_21rocsparse_index_base_b,"axG",@progbits,_ZN9rocsparseL19gebsrmvn_2xn_kernelILj128ELj6ELj64E21rocsparse_complex_numIfEEEvi20rocsparse_direction_NS_24const_host_device_scalarIT2_EEPKiS8_PKS5_SA_S6_PS5_21rocsparse_index_base_b,comdat
	.globl	_ZN9rocsparseL19gebsrmvn_2xn_kernelILj128ELj6ELj64E21rocsparse_complex_numIfEEEvi20rocsparse_direction_NS_24const_host_device_scalarIT2_EEPKiS8_PKS5_SA_S6_PS5_21rocsparse_index_base_b ; -- Begin function _ZN9rocsparseL19gebsrmvn_2xn_kernelILj128ELj6ELj64E21rocsparse_complex_numIfEEEvi20rocsparse_direction_NS_24const_host_device_scalarIT2_EEPKiS8_PKS5_SA_S6_PS5_21rocsparse_index_base_b
	.p2align	8
	.type	_ZN9rocsparseL19gebsrmvn_2xn_kernelILj128ELj6ELj64E21rocsparse_complex_numIfEEEvi20rocsparse_direction_NS_24const_host_device_scalarIT2_EEPKiS8_PKS5_SA_S6_PS5_21rocsparse_index_base_b,@function
_ZN9rocsparseL19gebsrmvn_2xn_kernelILj128ELj6ELj64E21rocsparse_complex_numIfEEEvi20rocsparse_direction_NS_24const_host_device_scalarIT2_EEPKiS8_PKS5_SA_S6_PS5_21rocsparse_index_base_b: ; @_ZN9rocsparseL19gebsrmvn_2xn_kernelILj128ELj6ELj64E21rocsparse_complex_numIfEEEvi20rocsparse_direction_NS_24const_host_device_scalarIT2_EEPKiS8_PKS5_SA_S6_PS5_21rocsparse_index_base_b
; %bb.0:
	s_load_dwordx2 s[12:13], s[0:1], 0x40
	s_load_dwordx2 s[8:9], s[0:1], 0x8
	;; [unrolled: 1-line block ×3, first 2 shown]
	s_waitcnt lgkmcnt(0)
	s_bitcmp1_b32 s13, 0
	s_cselect_b64 s[4:5], -1, 0
	s_xor_b64 s[10:11], s[4:5], -1
	s_and_b64 vcc, exec, s[4:5]
	v_mov_b32_e32 v2, s8
	s_cbranch_vccnz .LBB176_2
; %bb.1:
	v_mov_b64_e32 v[2:3], s[8:9]
	flat_load_dword v2, v[2:3]
.LBB176_2:
	v_cndmask_b32_e64 v1, 0, 1, s[10:11]
	v_cmp_ne_u32_e64 s[4:5], 1, v1
	s_andn2_b64 vcc, exec, s[10:11]
	v_mov_b32_e32 v3, s9
	s_cbranch_vccz .LBB176_16
; %bb.3:
	s_and_b64 vcc, exec, s[4:5]
	v_mov_b32_e32 v4, s6
	s_cbranch_vccz .LBB176_17
.LBB176_4:
	s_and_b64 vcc, exec, s[4:5]
	v_mov_b32_e32 v5, s7
	s_cbranch_vccnz .LBB176_6
.LBB176_5:
	v_mov_b64_e32 v[6:7], s[6:7]
	flat_load_dword v5, v[6:7] offset:4
.LBB176_6:
	s_waitcnt vmcnt(0) lgkmcnt(0)
	v_and_b32_e32 v1, 0x7fffffff, v2
	v_cmp_eq_u32_e32 vcc, 0, v1
	v_cmp_eq_f32_e64 s[4:5], 0, v3
	s_and_b64 s[8:9], vcc, s[4:5]
	s_mov_b64 s[4:5], -1
	s_and_saveexec_b64 s[6:7], s[8:9]
; %bb.7:
	v_and_b32_e32 v1, 0x7fffffff, v5
	v_cmp_neq_f32_e32 vcc, 1.0, v4
	v_cmp_ne_u32_e64 s[4:5], 0, v1
	s_or_b64 s[4:5], vcc, s[4:5]
	s_orn2_b64 s[4:5], s[4:5], exec
; %bb.8:
	s_or_b64 exec, exec, s[6:7]
	s_and_saveexec_b64 s[6:7], s[4:5]
	s_cbranch_execz .LBB176_29
; %bb.9:
	s_load_dwordx2 s[14:15], s[0:1], 0x0
	v_lshrrev_b32_e32 v1, 6, v0
	v_lshl_or_b32 v6, s2, 1, v1
	s_waitcnt lgkmcnt(0)
	v_cmp_gt_i32_e32 vcc, s14, v6
	s_and_b64 exec, exec, vcc
	s_cbranch_execz .LBB176_29
; %bb.10:
	s_load_dwordx8 s[4:11], s[0:1], 0x10
	v_ashrrev_i32_e32 v7, 31, v6
	s_cmp_lg_u32 s15, 0
	s_waitcnt lgkmcnt(0)
	v_lshl_add_u64 v[8:9], v[6:7], 2, s[4:5]
	global_load_dwordx2 v[8:9], v[8:9], off
	v_and_b32_e32 v7, 63, v0
	s_waitcnt vmcnt(0)
	v_subrev_u32_e32 v0, s12, v8
	v_subrev_u32_e32 v18, s12, v9
	v_add_u32_e32 v0, v0, v7
	v_cmp_lt_i32_e64 s[2:3], v0, v18
	s_cbranch_scc0 .LBB176_18
; %bb.11:
	v_mov_b32_e32 v11, 0
	v_mov_b32_e32 v10, v11
	;; [unrolled: 1-line block ×4, first 2 shown]
	s_and_saveexec_b64 s[4:5], s[2:3]
	s_cbranch_execz .LBB176_15
; %bb.12:
	v_mad_u64_u32 v[12:13], s[14:15], v0, 12, 10
	v_mov_b32_e32 v15, 0
	s_mov_b64 s[14:15], 0
	v_mov_b32_e32 v16, v0
	v_mov_b32_e32 v8, v15
	v_mov_b32_e32 v9, v15
	v_mov_b32_e32 v10, v15
	v_mov_b32_e32 v11, v15
.LBB176_13:                             ; =>This Inner Loop Header: Depth=1
	v_ashrrev_i32_e32 v17, 31, v16
	v_lshl_add_u64 v[20:21], v[16:17], 2, s[6:7]
	global_load_dword v1, v[20:21], off
	v_add_u32_e32 v14, -10, v12
	v_mov_b32_e32 v41, v15
	v_lshl_add_u64 v[28:29], v[14:15], 3, s[8:9]
	global_load_dwordx4 v[20:23], v[28:29], off offset:16
	global_load_dwordx4 v[24:27], v[28:29], off
	v_add_u32_e32 v14, -6, v12
	v_lshl_add_u64 v[28:29], v[14:15], 3, s[8:9]
	global_load_dwordx4 v[28:31], v[28:29], off
	v_mov_b32_e32 v13, v15
	v_lshl_add_u64 v[56:57], v[12:13], 3, s[8:9]
	v_add_u32_e32 v16, 64, v16
	v_cmp_ge_i32_e32 vcc, v16, v18
	s_or_b64 s[14:15], vcc, s[14:15]
	s_waitcnt vmcnt(3)
	v_subrev_u32_e32 v1, s12, v1
	v_mul_lo_u32 v40, v1, 6
	v_lshl_add_u64 v[32:33], v[40:41], 3, s[10:11]
	global_load_dwordx4 v[32:35], v[32:33], off
	v_add_u32_e32 v14, 2, v40
	v_lshl_add_u64 v[36:37], v[14:15], 3, s[10:11]
	global_load_dwordx4 v[36:39], v[36:37], off
	v_add_u32_e32 v14, -4, v12
	v_lshl_add_u64 v[42:43], v[14:15], 3, s[8:9]
	v_add_u32_e32 v14, -2, v12
	v_lshl_add_u64 v[58:59], v[14:15], 3, s[8:9]
	v_add_u32_e32 v14, 4, v40
	global_load_dwordx4 v[40:43], v[42:43], off
	v_lshl_add_u64 v[60:61], v[14:15], 3, s[10:11]
	global_load_dwordx4 v[44:47], v[58:59], off
	global_load_dwordx4 v[48:51], v[60:61], off
	;; [unrolled: 1-line block ×3, first 2 shown]
	s_waitcnt vmcnt(7)
	v_xor_b32_e32 v56, 0x80000000, v27
	v_mov_b32_e32 v57, v26
	v_xor_b32_e32 v58, 0x80000000, v23
	v_mov_b32_e32 v59, v22
	s_waitcnt vmcnt(6)
	v_xor_b32_e32 v62, 0x80000000, v31
	v_mov_b32_e32 v63, v30
	v_add_u32_e32 v12, 0x300, v12
	s_waitcnt vmcnt(5)
	v_pk_fma_f32 v[10:11], v[24:25], v[32:33], v[10:11] op_sel_hi:[1,0,1]
	v_pk_fma_f32 v[8:9], v[26:27], v[32:33], v[8:9] op_sel_hi:[1,0,1]
	v_pk_fma_f32 v[10:11], v[24:25], v[32:33], v[10:11] op_sel:[1,1,0] op_sel_hi:[0,1,1] neg_lo:[1,0,0]
	v_pk_fma_f32 v[8:9], v[56:57], v[32:33], v[8:9] op_sel:[0,1,0]
	v_mov_b32_e32 v14, v35
	v_pk_fma_f32 v[10:11], v[20:21], v[34:35], v[10:11] op_sel_hi:[1,0,1]
	v_pk_fma_f32 v[8:9], v[22:23], v[34:35], v[8:9] op_sel_hi:[1,0,1]
	v_pk_fma_f32 v[10:11], v[20:21], v[14:15], v[10:11] op_sel:[1,0,0] op_sel_hi:[0,0,1] neg_lo:[1,0,0]
	v_pk_fma_f32 v[8:9], v[58:59], v[14:15], v[8:9] op_sel_hi:[1,0,1]
	s_waitcnt vmcnt(4)
	v_pk_fma_f32 v[10:11], v[28:29], v[36:37], v[10:11] op_sel_hi:[1,0,1]
	v_pk_fma_f32 v[8:9], v[30:31], v[36:37], v[8:9] op_sel_hi:[1,0,1]
	v_pk_fma_f32 v[10:11], v[28:29], v[36:37], v[10:11] op_sel:[1,1,0] op_sel_hi:[0,1,1] neg_lo:[1,0,0]
	v_pk_fma_f32 v[8:9], v[62:63], v[36:37], v[8:9] op_sel:[0,1,0]
	v_mov_b32_e32 v24, v39
	s_waitcnt vmcnt(3)
	v_xor_b32_e32 v22, 0x80000000, v43
	v_mov_b32_e32 v23, v42
	v_pk_fma_f32 v[10:11], v[40:41], v[38:39], v[10:11] op_sel_hi:[1,0,1]
	v_pk_fma_f32 v[8:9], v[42:43], v[38:39], v[8:9] op_sel_hi:[1,0,1]
	v_pk_fma_f32 v[10:11], v[40:41], v[24:25], v[10:11] op_sel:[1,0,0] op_sel_hi:[0,0,1] neg_lo:[1,0,0]
	v_pk_fma_f32 v[8:9], v[22:23], v[24:25], v[8:9] op_sel_hi:[1,0,1]
	s_waitcnt vmcnt(2)
	v_xor_b32_e32 v20, 0x80000000, v47
	v_mov_b32_e32 v21, v46
	s_waitcnt vmcnt(1)
	v_pk_fma_f32 v[10:11], v[44:45], v[48:49], v[10:11] op_sel_hi:[1,0,1]
	v_pk_fma_f32 v[8:9], v[46:47], v[48:49], v[8:9] op_sel_hi:[1,0,1]
	v_pk_fma_f32 v[10:11], v[44:45], v[48:49], v[10:11] op_sel:[1,1,0] op_sel_hi:[0,1,1] neg_lo:[1,0,0]
	v_pk_fma_f32 v[8:9], v[20:21], v[48:49], v[8:9] op_sel:[0,1,0]
	s_waitcnt vmcnt(0)
	v_xor_b32_e32 v60, 0x80000000, v55
	v_mov_b32_e32 v61, v54
	v_mov_b32_e32 v14, v51
	v_pk_fma_f32 v[10:11], v[52:53], v[50:51], v[10:11] op_sel_hi:[1,0,1]
	v_pk_fma_f32 v[8:9], v[54:55], v[50:51], v[8:9] op_sel_hi:[1,0,1]
	v_pk_fma_f32 v[10:11], v[52:53], v[14:15], v[10:11] op_sel:[1,0,0] op_sel_hi:[0,0,1] neg_lo:[1,0,0]
	v_pk_fma_f32 v[8:9], v[60:61], v[14:15], v[8:9] op_sel_hi:[1,0,1]
	s_andn2_b64 exec, exec, s[14:15]
	s_cbranch_execnz .LBB176_13
; %bb.14:
	s_or_b64 exec, exec, s[14:15]
.LBB176_15:
	s_or_b64 exec, exec, s[4:5]
	s_cbranch_execz .LBB176_19
	s_branch .LBB176_24
.LBB176_16:
	v_mov_b64_e32 v[4:5], s[8:9]
	flat_load_dword v3, v[4:5] offset:4
	s_and_b64 vcc, exec, s[4:5]
	v_mov_b32_e32 v4, s6
	s_cbranch_vccnz .LBB176_4
.LBB176_17:
	v_mov_b64_e32 v[4:5], s[6:7]
	flat_load_dword v4, v[4:5]
	s_and_b64 vcc, exec, s[4:5]
	v_mov_b32_e32 v5, s7
	s_cbranch_vccz .LBB176_5
	s_branch .LBB176_6
.LBB176_18:
                                        ; implicit-def: $vgpr11
                                        ; implicit-def: $vgpr9
.LBB176_19:
	v_mov_b32_e32 v11, 0
	v_mov_b32_e32 v10, v11
	;; [unrolled: 1-line block ×4, first 2 shown]
	s_and_saveexec_b64 s[4:5], s[2:3]
	s_cbranch_execz .LBB176_23
; %bb.20:
	v_mad_u64_u32 v[12:13], s[2:3], v0, 12, 11
	v_mov_b32_e32 v15, 0
	s_mov_b64 s[2:3], 0
	v_mov_b32_e32 v8, v15
	v_mov_b32_e32 v9, v15
	;; [unrolled: 1-line block ×4, first 2 shown]
.LBB176_21:                             ; =>This Inner Loop Header: Depth=1
	v_ashrrev_i32_e32 v1, 31, v0
	v_lshl_add_u64 v[16:17], v[0:1], 2, s[6:7]
	global_load_dword v1, v[16:17], off
	v_add_u32_e32 v14, -11, v12
	v_add_u32_e32 v16, -5, v12
	v_mov_b32_e32 v17, v15
	v_mov_b32_e32 v37, v15
	v_lshl_add_u64 v[28:29], v[14:15], 3, s[8:9]
	v_lshl_add_u64 v[16:17], v[16:17], 3, s[8:9]
	v_add_u32_e32 v14, -4, v12
	global_load_dwordx4 v[20:23], v[28:29], off offset:16
	global_load_dwordx4 v[24:27], v[28:29], off
	v_lshl_add_u64 v[28:29], v[14:15], 3, s[8:9]
	global_load_dwordx2 v[42:43], v[16:17], off
	global_load_dwordx2 v[44:45], v[28:29], off
	v_mov_b32_e32 v13, v15
	v_lshl_add_u64 v[40:41], v[12:13], 3, s[8:9]
	v_add_u32_e32 v0, 64, v0
	v_cmp_ge_i32_e32 vcc, v0, v18
	s_or_b64 s[2:3], vcc, s[2:3]
	s_waitcnt vmcnt(4)
	v_subrev_u32_e32 v1, s12, v1
	v_mul_lo_u32 v36, v1, 6
	v_lshl_add_u64 v[16:17], v[36:37], 3, s[10:11]
	global_load_dwordx4 v[28:31], v[16:17], off
	v_add_u32_e32 v14, 2, v36
	v_lshl_add_u64 v[16:17], v[14:15], 3, s[10:11]
	v_add_u32_e32 v14, -3, v12
	global_load_dwordx4 v[32:35], v[16:17], off
	v_lshl_add_u64 v[16:17], v[14:15], 3, s[8:9]
	v_add_u32_e32 v14, -2, v12
	global_load_dwordx2 v[16:17], v[16:17], off
	v_lshl_add_u64 v[46:47], v[14:15], 3, s[8:9]
	v_add_u32_e32 v14, -7, v12
	v_lshl_add_u64 v[48:49], v[14:15], 3, s[8:9]
	v_add_u32_e32 v14, 4, v36
	v_lshl_add_u64 v[50:51], v[14:15], 3, s[10:11]
	v_add_u32_e32 v14, -1, v12
	global_load_dwordx2 v[52:53], v[48:49], off
	global_load_dwordx2 v[54:55], v[46:47], off
	global_load_dwordx4 v[36:39], v[50:51], off
	v_lshl_add_u64 v[46:47], v[14:15], 3, s[8:9]
	v_add_u32_e32 v14, -6, v12
	v_lshl_add_u64 v[48:49], v[14:15], 3, s[8:9]
	global_load_dwordx2 v[50:51], v[40:41], off
	global_load_dwordx2 v[56:57], v[46:47], off
	global_load_dwordx2 v[58:59], v[48:49], off
	s_waitcnt vmcnt(11)
	v_xor_b32_e32 v40, 0x80000000, v27
	v_mov_b32_e32 v41, v26
	v_xor_b32_e32 v46, 0x80000000, v23
	v_mov_b32_e32 v47, v22
	v_add_u32_e32 v12, 0x300, v12
	s_waitcnt vmcnt(8)
	v_pk_fma_f32 v[10:11], v[24:25], v[28:29], v[10:11] op_sel_hi:[1,0,1]
	v_pk_fma_f32 v[8:9], v[42:43], v[28:29], v[8:9] op_sel_hi:[1,0,1]
	v_pk_fma_f32 v[10:11], v[24:25], v[28:29], v[10:11] op_sel:[1,1,0] op_sel_hi:[0,1,1] neg_lo:[1,0,0]
	v_pk_fma_f32 v[8:9], v[42:43], v[28:29], v[8:9] op_sel:[1,1,0] op_sel_hi:[0,1,1] neg_lo:[1,0,0]
	v_mov_b32_e32 v14, v31
	v_pk_fma_f32 v[10:11], v[26:27], v[30:31], v[10:11] op_sel_hi:[1,0,1]
	v_pk_fma_f32 v[8:9], v[44:45], v[30:31], v[8:9] op_sel_hi:[1,0,1]
	;; [unrolled: 1-line block ×3, first 2 shown]
	v_pk_fma_f32 v[8:9], v[44:45], v[14:15], v[8:9] op_sel:[1,0,0] op_sel_hi:[0,0,1] neg_lo:[1,0,0]
	s_waitcnt vmcnt(7)
	v_pk_fma_f32 v[10:11], v[20:21], v[32:33], v[10:11] op_sel_hi:[1,0,1]
	s_waitcnt vmcnt(6)
	v_pk_fma_f32 v[8:9], v[16:17], v[32:33], v[8:9] op_sel_hi:[1,0,1]
	v_pk_fma_f32 v[10:11], v[20:21], v[32:33], v[10:11] op_sel:[1,1,0] op_sel_hi:[0,1,1] neg_lo:[1,0,0]
	v_pk_fma_f32 v[8:9], v[16:17], v[32:33], v[8:9] op_sel:[1,1,0] op_sel_hi:[0,1,1] neg_lo:[1,0,0]
	v_mov_b32_e32 v24, v35
	v_pk_fma_f32 v[10:11], v[22:23], v[34:35], v[10:11] op_sel_hi:[1,0,1]
	s_waitcnt vmcnt(4)
	v_pk_fma_f32 v[8:9], v[54:55], v[34:35], v[8:9] op_sel_hi:[1,0,1]
	v_pk_fma_f32 v[10:11], v[46:47], v[24:25], v[10:11] op_sel_hi:[1,0,1]
	v_pk_fma_f32 v[8:9], v[54:55], v[24:25], v[8:9] op_sel:[1,0,0] op_sel_hi:[0,0,1] neg_lo:[1,0,0]
	s_waitcnt vmcnt(3)
	v_pk_fma_f32 v[10:11], v[52:53], v[36:37], v[10:11] op_sel_hi:[1,0,1]
	s_waitcnt vmcnt(1)
	v_pk_fma_f32 v[8:9], v[56:57], v[36:37], v[8:9] op_sel_hi:[1,0,1]
	v_pk_fma_f32 v[10:11], v[52:53], v[36:37], v[10:11] op_sel:[1,1,0] op_sel_hi:[0,1,1] neg_lo:[1,0,0]
	v_pk_fma_f32 v[8:9], v[56:57], v[36:37], v[8:9] op_sel:[1,1,0] op_sel_hi:[0,1,1] neg_lo:[1,0,0]
	v_mov_b32_e32 v14, v39
	s_waitcnt vmcnt(0)
	v_pk_fma_f32 v[10:11], v[58:59], v[38:39], v[10:11] op_sel_hi:[1,0,1]
	v_pk_fma_f32 v[8:9], v[50:51], v[38:39], v[8:9] op_sel_hi:[1,0,1]
	v_pk_fma_f32 v[10:11], v[58:59], v[14:15], v[10:11] op_sel:[1,0,0] op_sel_hi:[0,0,1] neg_lo:[1,0,0]
	v_pk_fma_f32 v[8:9], v[50:51], v[14:15], v[8:9] op_sel:[1,0,0] op_sel_hi:[0,0,1] neg_lo:[1,0,0]
	s_andn2_b64 exec, exec, s[2:3]
	s_cbranch_execnz .LBB176_21
; %bb.22:
	s_or_b64 exec, exec, s[2:3]
.LBB176_23:
	s_or_b64 exec, exec, s[4:5]
.LBB176_24:
	v_mov_b32_dpp v12, v8 row_shr:1 row_mask:0xf bank_mask:0xf
	v_add_f32_e32 v8, v8, v12
	v_mov_b32_dpp v0, v10 row_shr:1 row_mask:0xf bank_mask:0xf
	v_add_f32_e32 v0, v10, v0
	;; [unrolled: 2-line block ×5, first 2 shown]
	v_mov_b32_dpp v1, v0 row_shr:2 row_mask:0xf bank_mask:0xf
	v_mov_b32_dpp v11, v10 row_shr:2 row_mask:0xf bank_mask:0xf
	;; [unrolled: 1-line block ×3, first 2 shown]
	v_add_f32_e32 v8, v8, v12
	v_add_f32_e32 v0, v0, v1
	;; [unrolled: 1-line block ×3, first 2 shown]
	v_mov_b32_dpp v12, v8 row_bcast:15 row_mask:0xa bank_mask:0xf
	v_add_f32_e32 v13, v8, v12
	v_mov_b32_dpp v8, v9 row_shr:1 row_mask:0xf bank_mask:0xf
	v_add_f32_e32 v8, v9, v8
	v_mov_b32_dpp v1, v0 row_shr:4 row_mask:0xf bank_mask:0xe
	v_mov_b32_dpp v11, v10 row_shr:4 row_mask:0xf bank_mask:0xe
	;; [unrolled: 1-line block ×3, first 2 shown]
	v_add_f32_e32 v8, v8, v9
	v_add_f32_e32 v0, v0, v1
	v_add_f32_e32 v10, v10, v11
	v_mov_b32_dpp v9, v8 row_shr:4 row_mask:0xf bank_mask:0xe
	v_add_f32_e32 v8, v8, v9
	v_mov_b32_dpp v1, v0 row_shr:8 row_mask:0xf bank_mask:0xc
	v_mov_b32_dpp v11, v10 row_shr:8 row_mask:0xf bank_mask:0xc
	;; [unrolled: 1-line block ×3, first 2 shown]
	v_add_f32_e32 v0, v0, v1
	v_add_f32_e32 v10, v10, v11
	;; [unrolled: 1-line block ×3, first 2 shown]
	v_mov_b32_dpp v1, v0 row_bcast:15 row_mask:0xa bank_mask:0xf
	v_mov_b32_dpp v11, v10 row_bcast:15 row_mask:0xa bank_mask:0xf
	;; [unrolled: 1-line block ×3, first 2 shown]
	v_add_f32_e32 v0, v0, v1
	v_add_f32_e32 v10, v10, v11
	;; [unrolled: 1-line block ×3, first 2 shown]
	v_mov_b32_dpp v1, v0 row_bcast:31 row_mask:0xc bank_mask:0xf
	v_mov_b32_dpp v11, v10 row_bcast:31 row_mask:0xc bank_mask:0xf
	;; [unrolled: 1-line block ×4, first 2 shown]
	v_cmp_eq_u32_e32 vcc, 63, v7
	s_and_b64 exec, exec, vcc
	s_cbranch_execz .LBB176_29
; %bb.25:
	s_load_dwordx2 s[2:3], s[0:1], 0x38
	v_add_f32_e32 v8, v0, v1
	v_and_b32_e32 v1, 0x7fffffff, v4
	v_cmp_eq_u32_e32 vcc, 0, v1
	v_cmp_eq_f32_e64 s[0:1], 0, v5
	v_add_f32_e32 v12, v10, v11
	v_add_f32_e32 v0, v13, v14
	;; [unrolled: 1-line block ×3, first 2 shown]
	s_and_b64 s[0:1], vcc, s[0:1]
	s_and_saveexec_b64 s[4:5], s[0:1]
	s_xor_b64 s[0:1], exec, s[4:5]
	s_cbranch_execz .LBB176_27
; %bb.26:
	v_lshlrev_b32_e32 v4, 1, v6
	v_xor_b32_e32 v14, 0x80000000, v3
	v_ashrrev_i32_e32 v5, 31, v4
	v_mov_b32_e32 v15, v2
	s_waitcnt lgkmcnt(0)
	v_lshl_add_u64 v[16:17], v[4:5], 3, s[2:3]
	v_pk_mul_f32 v[4:5], v[12:13], v[14:15] op_sel_hi:[0,1]
	v_pk_mul_f32 v[6:7], v[10:11], v[14:15] op_sel_hi:[0,1]
	v_pk_fma_f32 v[4:5], v[2:3], v[8:9], v[4:5] op_sel_hi:[1,0,1]
	v_pk_fma_f32 v[6:7], v[2:3], v[0:1], v[6:7] op_sel_hi:[1,0,1]
	global_store_dwordx4 v[16:17], v[4:7], off
                                        ; implicit-def: $vgpr3
                                        ; implicit-def: $vgpr4
                                        ; implicit-def: $vgpr6
                                        ; implicit-def: $vgpr8
                                        ; implicit-def: $vgpr12
                                        ; implicit-def: $vgpr0
                                        ; implicit-def: $vgpr10
.LBB176_27:
	s_andn2_saveexec_b64 s[0:1], s[0:1]
	s_cbranch_execz .LBB176_29
; %bb.28:
	v_lshlrev_b32_e32 v6, 1, v6
	v_ashrrev_i32_e32 v7, 31, v6
	s_waitcnt lgkmcnt(0)
	v_lshl_add_u64 v[6:7], v[6:7], 3, s[2:3]
	global_load_dwordx4 v[14:17], v[6:7], off
	v_xor_b32_e32 v18, 0x80000000, v3
	v_mov_b32_e32 v19, v2
	v_pk_mul_f32 v[12:13], v[12:13], v[18:19] op_sel_hi:[0,1]
	v_pk_mul_f32 v[10:11], v[10:11], v[18:19] op_sel_hi:[0,1]
	v_pk_fma_f32 v[8:9], v[2:3], v[8:9], v[12:13] op_sel_hi:[1,0,1]
	v_pk_fma_f32 v[0:1], v[2:3], v[0:1], v[10:11] op_sel_hi:[1,0,1]
	v_xor_b32_e32 v20, 0x80000000, v5
	v_mov_b32_e32 v21, v4
	s_waitcnt vmcnt(0)
	v_pk_fma_f32 v[2:3], v[4:5], v[14:15], v[8:9] op_sel_hi:[1,0,1]
	v_pk_fma_f32 v[4:5], v[4:5], v[16:17], v[0:1] op_sel_hi:[1,0,1]
	v_mov_b32_e32 v8, v17
	v_pk_fma_f32 v[0:1], v[20:21], v[14:15], v[2:3] op_sel:[0,1,0]
	v_pk_fma_f32 v[2:3], v[20:21], v[8:9], v[4:5] op_sel_hi:[1,0,1]
	global_store_dwordx4 v[6:7], v[0:3], off
.LBB176_29:
	s_endpgm
	.section	.rodata,"a",@progbits
	.p2align	6, 0x0
	.amdhsa_kernel _ZN9rocsparseL19gebsrmvn_2xn_kernelILj128ELj6ELj64E21rocsparse_complex_numIfEEEvi20rocsparse_direction_NS_24const_host_device_scalarIT2_EEPKiS8_PKS5_SA_S6_PS5_21rocsparse_index_base_b
		.amdhsa_group_segment_fixed_size 0
		.amdhsa_private_segment_fixed_size 0
		.amdhsa_kernarg_size 72
		.amdhsa_user_sgpr_count 2
		.amdhsa_user_sgpr_dispatch_ptr 0
		.amdhsa_user_sgpr_queue_ptr 0
		.amdhsa_user_sgpr_kernarg_segment_ptr 1
		.amdhsa_user_sgpr_dispatch_id 0
		.amdhsa_user_sgpr_kernarg_preload_length 0
		.amdhsa_user_sgpr_kernarg_preload_offset 0
		.amdhsa_user_sgpr_private_segment_size 0
		.amdhsa_uses_dynamic_stack 0
		.amdhsa_enable_private_segment 0
		.amdhsa_system_sgpr_workgroup_id_x 1
		.amdhsa_system_sgpr_workgroup_id_y 0
		.amdhsa_system_sgpr_workgroup_id_z 0
		.amdhsa_system_sgpr_workgroup_info 0
		.amdhsa_system_vgpr_workitem_id 0
		.amdhsa_next_free_vgpr 64
		.amdhsa_next_free_sgpr 16
		.amdhsa_accum_offset 64
		.amdhsa_reserve_vcc 1
		.amdhsa_float_round_mode_32 0
		.amdhsa_float_round_mode_16_64 0
		.amdhsa_float_denorm_mode_32 3
		.amdhsa_float_denorm_mode_16_64 3
		.amdhsa_dx10_clamp 1
		.amdhsa_ieee_mode 1
		.amdhsa_fp16_overflow 0
		.amdhsa_tg_split 0
		.amdhsa_exception_fp_ieee_invalid_op 0
		.amdhsa_exception_fp_denorm_src 0
		.amdhsa_exception_fp_ieee_div_zero 0
		.amdhsa_exception_fp_ieee_overflow 0
		.amdhsa_exception_fp_ieee_underflow 0
		.amdhsa_exception_fp_ieee_inexact 0
		.amdhsa_exception_int_div_zero 0
	.end_amdhsa_kernel
	.section	.text._ZN9rocsparseL19gebsrmvn_2xn_kernelILj128ELj6ELj64E21rocsparse_complex_numIfEEEvi20rocsparse_direction_NS_24const_host_device_scalarIT2_EEPKiS8_PKS5_SA_S6_PS5_21rocsparse_index_base_b,"axG",@progbits,_ZN9rocsparseL19gebsrmvn_2xn_kernelILj128ELj6ELj64E21rocsparse_complex_numIfEEEvi20rocsparse_direction_NS_24const_host_device_scalarIT2_EEPKiS8_PKS5_SA_S6_PS5_21rocsparse_index_base_b,comdat
.Lfunc_end176:
	.size	_ZN9rocsparseL19gebsrmvn_2xn_kernelILj128ELj6ELj64E21rocsparse_complex_numIfEEEvi20rocsparse_direction_NS_24const_host_device_scalarIT2_EEPKiS8_PKS5_SA_S6_PS5_21rocsparse_index_base_b, .Lfunc_end176-_ZN9rocsparseL19gebsrmvn_2xn_kernelILj128ELj6ELj64E21rocsparse_complex_numIfEEEvi20rocsparse_direction_NS_24const_host_device_scalarIT2_EEPKiS8_PKS5_SA_S6_PS5_21rocsparse_index_base_b
                                        ; -- End function
	.section	.AMDGPU.csdata,"",@progbits
; Kernel info:
; codeLenInByte = 2176
; NumSgprs: 22
; NumVgprs: 64
; NumAgprs: 0
; TotalNumVgprs: 64
; ScratchSize: 0
; MemoryBound: 0
; FloatMode: 240
; IeeeMode: 1
; LDSByteSize: 0 bytes/workgroup (compile time only)
; SGPRBlocks: 2
; VGPRBlocks: 7
; NumSGPRsForWavesPerEU: 22
; NumVGPRsForWavesPerEU: 64
; AccumOffset: 64
; Occupancy: 8
; WaveLimiterHint : 1
; COMPUTE_PGM_RSRC2:SCRATCH_EN: 0
; COMPUTE_PGM_RSRC2:USER_SGPR: 2
; COMPUTE_PGM_RSRC2:TRAP_HANDLER: 0
; COMPUTE_PGM_RSRC2:TGID_X_EN: 1
; COMPUTE_PGM_RSRC2:TGID_Y_EN: 0
; COMPUTE_PGM_RSRC2:TGID_Z_EN: 0
; COMPUTE_PGM_RSRC2:TIDIG_COMP_CNT: 0
; COMPUTE_PGM_RSRC3_GFX90A:ACCUM_OFFSET: 15
; COMPUTE_PGM_RSRC3_GFX90A:TG_SPLIT: 0
	.section	.text._ZN9rocsparseL19gebsrmvn_2xn_kernelILj128ELj7ELj4E21rocsparse_complex_numIfEEEvi20rocsparse_direction_NS_24const_host_device_scalarIT2_EEPKiS8_PKS5_SA_S6_PS5_21rocsparse_index_base_b,"axG",@progbits,_ZN9rocsparseL19gebsrmvn_2xn_kernelILj128ELj7ELj4E21rocsparse_complex_numIfEEEvi20rocsparse_direction_NS_24const_host_device_scalarIT2_EEPKiS8_PKS5_SA_S6_PS5_21rocsparse_index_base_b,comdat
	.globl	_ZN9rocsparseL19gebsrmvn_2xn_kernelILj128ELj7ELj4E21rocsparse_complex_numIfEEEvi20rocsparse_direction_NS_24const_host_device_scalarIT2_EEPKiS8_PKS5_SA_S6_PS5_21rocsparse_index_base_b ; -- Begin function _ZN9rocsparseL19gebsrmvn_2xn_kernelILj128ELj7ELj4E21rocsparse_complex_numIfEEEvi20rocsparse_direction_NS_24const_host_device_scalarIT2_EEPKiS8_PKS5_SA_S6_PS5_21rocsparse_index_base_b
	.p2align	8
	.type	_ZN9rocsparseL19gebsrmvn_2xn_kernelILj128ELj7ELj4E21rocsparse_complex_numIfEEEvi20rocsparse_direction_NS_24const_host_device_scalarIT2_EEPKiS8_PKS5_SA_S6_PS5_21rocsparse_index_base_b,@function
_ZN9rocsparseL19gebsrmvn_2xn_kernelILj128ELj7ELj4E21rocsparse_complex_numIfEEEvi20rocsparse_direction_NS_24const_host_device_scalarIT2_EEPKiS8_PKS5_SA_S6_PS5_21rocsparse_index_base_b: ; @_ZN9rocsparseL19gebsrmvn_2xn_kernelILj128ELj7ELj4E21rocsparse_complex_numIfEEEvi20rocsparse_direction_NS_24const_host_device_scalarIT2_EEPKiS8_PKS5_SA_S6_PS5_21rocsparse_index_base_b
; %bb.0:
	s_load_dwordx2 s[12:13], s[0:1], 0x40
	s_load_dwordx2 s[8:9], s[0:1], 0x8
	;; [unrolled: 1-line block ×3, first 2 shown]
	s_waitcnt lgkmcnt(0)
	s_bitcmp1_b32 s13, 0
	s_cselect_b64 s[4:5], -1, 0
	s_xor_b64 s[10:11], s[4:5], -1
	s_and_b64 vcc, exec, s[4:5]
	v_mov_b32_e32 v2, s8
	s_cbranch_vccnz .LBB177_2
; %bb.1:
	v_mov_b64_e32 v[2:3], s[8:9]
	flat_load_dword v2, v[2:3]
.LBB177_2:
	v_cndmask_b32_e64 v1, 0, 1, s[10:11]
	v_cmp_ne_u32_e64 s[4:5], 1, v1
	s_andn2_b64 vcc, exec, s[10:11]
	v_mov_b32_e32 v3, s9
	s_cbranch_vccz .LBB177_16
; %bb.3:
	s_and_b64 vcc, exec, s[4:5]
	v_mov_b32_e32 v4, s6
	s_cbranch_vccz .LBB177_17
.LBB177_4:
	s_and_b64 vcc, exec, s[4:5]
	v_mov_b32_e32 v5, s7
	s_cbranch_vccnz .LBB177_6
.LBB177_5:
	v_mov_b64_e32 v[6:7], s[6:7]
	flat_load_dword v5, v[6:7] offset:4
.LBB177_6:
	s_waitcnt vmcnt(0) lgkmcnt(0)
	v_and_b32_e32 v1, 0x7fffffff, v2
	v_cmp_eq_u32_e32 vcc, 0, v1
	v_cmp_eq_f32_e64 s[4:5], 0, v3
	s_and_b64 s[8:9], vcc, s[4:5]
	s_mov_b64 s[4:5], -1
	s_and_saveexec_b64 s[6:7], s[8:9]
; %bb.7:
	v_and_b32_e32 v1, 0x7fffffff, v5
	v_cmp_neq_f32_e32 vcc, 1.0, v4
	v_cmp_ne_u32_e64 s[4:5], 0, v1
	s_or_b64 s[4:5], vcc, s[4:5]
	s_orn2_b64 s[4:5], s[4:5], exec
; %bb.8:
	s_or_b64 exec, exec, s[6:7]
	s_and_saveexec_b64 s[6:7], s[4:5]
	s_cbranch_execz .LBB177_29
; %bb.9:
	s_load_dwordx2 s[14:15], s[0:1], 0x0
	v_lshrrev_b32_e32 v1, 2, v0
	v_lshl_or_b32 v6, s2, 5, v1
	s_waitcnt lgkmcnt(0)
	v_cmp_gt_i32_e32 vcc, s14, v6
	s_and_b64 exec, exec, vcc
	s_cbranch_execz .LBB177_29
; %bb.10:
	s_load_dwordx8 s[4:11], s[0:1], 0x10
	v_ashrrev_i32_e32 v7, 31, v6
	s_cmp_lg_u32 s15, 0
	s_waitcnt lgkmcnt(0)
	v_lshl_add_u64 v[8:9], v[6:7], 2, s[4:5]
	global_load_dwordx2 v[8:9], v[8:9], off
	v_and_b32_e32 v7, 3, v0
	s_waitcnt vmcnt(0)
	v_subrev_u32_e32 v0, s12, v8
	v_subrev_u32_e32 v18, s12, v9
	v_add_u32_e32 v0, v0, v7
	v_cmp_lt_i32_e64 s[2:3], v0, v18
	s_cbranch_scc0 .LBB177_18
; %bb.11:
	v_mov_b32_e32 v11, 0
	v_mov_b32_e32 v10, v11
	;; [unrolled: 1-line block ×4, first 2 shown]
	s_and_saveexec_b64 s[4:5], s[2:3]
	s_cbranch_execz .LBB177_15
; %bb.12:
	v_mad_u64_u32 v[12:13], s[14:15], v0, 14, 12
	v_mov_b32_e32 v15, 0
	s_mov_b64 s[14:15], 0
	v_mov_b32_e32 v16, v0
	v_mov_b32_e32 v8, v15
	;; [unrolled: 1-line block ×5, first 2 shown]
.LBB177_13:                             ; =>This Inner Loop Header: Depth=1
	v_ashrrev_i32_e32 v17, 31, v16
	v_lshl_add_u64 v[20:21], v[16:17], 2, s[6:7]
	global_load_dword v1, v[20:21], off
	v_add_u32_e32 v14, -12, v12
	v_mov_b32_e32 v49, v15
	v_mov_b32_e32 v13, v15
	v_lshl_add_u64 v[32:33], v[14:15], 3, s[8:9]
	v_add_u32_e32 v14, -10, v12
	v_lshl_add_u64 v[34:35], v[12:13], 3, s[8:9]
	v_lshl_add_u64 v[36:37], v[14:15], 3, s[8:9]
	global_load_dwordx4 v[20:23], v[32:33], off
	global_load_dwordx4 v[24:27], v[34:35], off
	;; [unrolled: 1-line block ×3, first 2 shown]
	v_add_u32_e32 v16, 4, v16
	v_cmp_ge_i32_e32 vcc, v16, v18
	s_or_b64 s[14:15], vcc, s[14:15]
	s_waitcnt vmcnt(3)
	v_subrev_u32_e32 v1, s12, v1
	v_mul_lo_u32 v48, v1, 7
	v_lshl_add_u64 v[32:33], v[48:49], 3, s[10:11]
	v_add_u32_e32 v14, 1, v48
	global_load_dwordx2 v[50:51], v[32:33], off
	v_lshl_add_u64 v[32:33], v[14:15], 3, s[10:11]
	v_add_u32_e32 v14, -8, v12
	global_load_dwordx2 v[52:53], v[32:33], off
	v_lshl_add_u64 v[32:33], v[14:15], 3, s[8:9]
	v_add_u32_e32 v14, 2, v48
	v_lshl_add_u64 v[36:37], v[14:15], 3, s[10:11]
	v_add_u32_e32 v14, -6, v12
	global_load_dwordx4 v[32:35], v[32:33], off
	s_waitcnt vmcnt(5)
	v_xor_b32_e32 v62, 0x80000000, v23
	global_load_dwordx2 v[54:55], v[36:37], off
	v_lshl_add_u64 v[36:37], v[14:15], 3, s[8:9]
	v_add_u32_e32 v14, 3, v48
	v_lshl_add_u64 v[40:41], v[14:15], 3, s[10:11]
	v_add_u32_e32 v14, -4, v12
	global_load_dwordx4 v[36:39], v[36:37], off
	v_mov_b32_e32 v63, v22
	global_load_dwordx2 v[56:57], v[40:41], off
	v_lshl_add_u64 v[40:41], v[14:15], 3, s[8:9]
	v_add_u32_e32 v14, 4, v48
	v_lshl_add_u64 v[44:45], v[14:15], 3, s[10:11]
	v_add_u32_e32 v14, -2, v12
	global_load_dwordx4 v[40:43], v[40:41], off
	s_waitcnt vmcnt(7)
	v_xor_b32_e32 v66, 0x80000000, v31
	global_load_dwordx2 v[58:59], v[44:45], off
	v_lshl_add_u64 v[44:45], v[14:15], 3, s[8:9]
	v_add_u32_e32 v14, 5, v48
	v_lshl_add_u64 v[60:61], v[14:15], 3, s[10:11]
	global_load_dwordx4 v[44:47], v[44:45], off
	v_add_u32_e32 v14, 6, v48
	global_load_dwordx2 v[48:49], v[60:61], off
	v_lshl_add_u64 v[60:61], v[14:15], 3, s[10:11]
	global_load_dwordx2 v[60:61], v[60:61], off
	v_mov_b32_e32 v67, v30
	v_xor_b32_e32 v64, 0x80000000, v27
	v_mov_b32_e32 v65, v26
	v_add_u32_e32 v12, 56, v12
	s_waitcnt vmcnt(10)
	v_pk_fma_f32 v[10:11], v[20:21], v[50:51], v[10:11] op_sel_hi:[1,0,1]
	v_pk_fma_f32 v[8:9], v[22:23], v[50:51], v[8:9] op_sel_hi:[1,0,1]
	v_pk_fma_f32 v[10:11], v[20:21], v[50:51], v[10:11] op_sel:[1,1,0] op_sel_hi:[0,1,1] neg_lo:[1,0,0]
	v_pk_fma_f32 v[8:9], v[62:63], v[50:51], v[8:9] op_sel:[0,1,0]
	s_waitcnt vmcnt(9)
	v_pk_fma_f32 v[10:11], v[28:29], v[52:53], v[10:11] op_sel_hi:[1,0,1]
	v_pk_fma_f32 v[8:9], v[30:31], v[52:53], v[8:9] op_sel_hi:[1,0,1]
	v_pk_fma_f32 v[10:11], v[28:29], v[52:53], v[10:11] op_sel:[1,1,0] op_sel_hi:[0,1,1] neg_lo:[1,0,0]
	v_pk_fma_f32 v[8:9], v[66:67], v[52:53], v[8:9] op_sel:[0,1,0]
	s_waitcnt vmcnt(8)
	v_xor_b32_e32 v20, 0x80000000, v35
	v_mov_b32_e32 v21, v34
	s_waitcnt vmcnt(7)
	v_pk_fma_f32 v[10:11], v[32:33], v[54:55], v[10:11] op_sel_hi:[1,0,1]
	v_pk_fma_f32 v[8:9], v[34:35], v[54:55], v[8:9] op_sel_hi:[1,0,1]
	v_pk_fma_f32 v[10:11], v[32:33], v[54:55], v[10:11] op_sel:[1,1,0] op_sel_hi:[0,1,1] neg_lo:[1,0,0]
	v_pk_fma_f32 v[8:9], v[20:21], v[54:55], v[8:9] op_sel:[0,1,0]
	s_waitcnt vmcnt(6)
	v_xor_b32_e32 v22, 0x80000000, v39
	v_mov_b32_e32 v23, v38
	;; [unrolled: 8-line block ×4, first 2 shown]
	s_waitcnt vmcnt(1)
	v_pk_fma_f32 v[10:11], v[44:45], v[48:49], v[10:11] op_sel_hi:[1,0,1]
	v_pk_fma_f32 v[8:9], v[46:47], v[48:49], v[8:9] op_sel_hi:[1,0,1]
	v_pk_fma_f32 v[10:11], v[44:45], v[48:49], v[10:11] op_sel:[1,1,0] op_sel_hi:[0,1,1] neg_lo:[1,0,0]
	v_pk_fma_f32 v[8:9], v[22:23], v[48:49], v[8:9] op_sel:[0,1,0]
	s_waitcnt vmcnt(0)
	v_pk_fma_f32 v[10:11], v[24:25], v[60:61], v[10:11] op_sel_hi:[1,0,1]
	v_pk_fma_f32 v[8:9], v[26:27], v[60:61], v[8:9] op_sel_hi:[1,0,1]
	v_pk_fma_f32 v[10:11], v[24:25], v[60:61], v[10:11] op_sel:[1,1,0] op_sel_hi:[0,1,1] neg_lo:[1,0,0]
	v_pk_fma_f32 v[8:9], v[64:65], v[60:61], v[8:9] op_sel:[0,1,0]
	s_andn2_b64 exec, exec, s[14:15]
	s_cbranch_execnz .LBB177_13
; %bb.14:
	s_or_b64 exec, exec, s[14:15]
.LBB177_15:
	s_or_b64 exec, exec, s[4:5]
	s_cbranch_execz .LBB177_19
	s_branch .LBB177_24
.LBB177_16:
	v_mov_b64_e32 v[4:5], s[8:9]
	flat_load_dword v3, v[4:5] offset:4
	s_and_b64 vcc, exec, s[4:5]
	v_mov_b32_e32 v4, s6
	s_cbranch_vccnz .LBB177_4
.LBB177_17:
	v_mov_b64_e32 v[4:5], s[6:7]
	flat_load_dword v4, v[4:5]
	s_and_b64 vcc, exec, s[4:5]
	v_mov_b32_e32 v5, s7
	s_cbranch_vccz .LBB177_5
	s_branch .LBB177_6
.LBB177_18:
                                        ; implicit-def: $vgpr11
                                        ; implicit-def: $vgpr9
.LBB177_19:
	v_mov_b32_e32 v11, 0
	v_mov_b32_e32 v10, v11
	;; [unrolled: 1-line block ×4, first 2 shown]
	s_and_saveexec_b64 s[4:5], s[2:3]
	s_cbranch_execz .LBB177_23
; %bb.20:
	v_mad_u64_u32 v[12:13], s[2:3], v0, 14, 13
	v_mov_b32_e32 v15, 0
	s_mov_b64 s[2:3], 0
	v_mov_b32_e32 v8, v15
	v_mov_b32_e32 v9, v15
	;; [unrolled: 1-line block ×4, first 2 shown]
.LBB177_21:                             ; =>This Inner Loop Header: Depth=1
	v_ashrrev_i32_e32 v1, 31, v0
	v_lshl_add_u64 v[16:17], v[0:1], 2, s[6:7]
	global_load_dword v1, v[16:17], off
	v_add_u32_e32 v14, -13, v12
	v_add_u32_e32 v16, -6, v12
	v_mov_b32_e32 v17, v15
	v_mov_b32_e32 v13, v15
	v_lshl_add_u64 v[26:27], v[14:15], 3, s[8:9]
	v_lshl_add_u64 v[16:17], v[16:17], 3, s[8:9]
	;; [unrolled: 1-line block ×3, first 2 shown]
	global_load_dwordx4 v[20:23], v[26:27], off
	global_load_dwordx2 v[30:31], v[16:17], off
	global_load_dwordx2 v[32:33], v[28:29], off
	v_mov_b32_e32 v25, v15
	v_add_u32_e32 v0, 4, v0
	v_cmp_ge_i32_e32 vcc, v0, v18
	s_or_b64 s[2:3], vcc, s[2:3]
	s_waitcnt vmcnt(3)
	v_subrev_u32_e32 v1, s12, v1
	v_mul_lo_u32 v24, v1, 7
	v_add_u32_e32 v14, 1, v24
	v_lshl_add_u64 v[26:27], v[14:15], 3, s[10:11]
	v_add_u32_e32 v14, -5, v12
	v_lshl_add_u64 v[28:29], v[14:15], 3, s[8:9]
	v_add_u32_e32 v14, -11, v12
	v_lshl_add_u64 v[34:35], v[14:15], 3, s[8:9]
	v_add_u32_e32 v14, 2, v24
	v_lshl_add_u64 v[16:17], v[24:25], 3, s[10:11]
	v_lshl_add_u64 v[36:37], v[14:15], 3, s[10:11]
	v_add_u32_e32 v14, -4, v12
	global_load_dwordx2 v[16:17], v[16:17], off
	s_nop 0
	global_load_dwordx2 v[26:27], v[26:27], off
	s_waitcnt vmcnt(1)
	v_pk_fma_f32 v[10:11], v[20:21], v[16:17], v[10:11] op_sel_hi:[1,0,1]
	global_load_dwordx2 v[28:29], v[28:29], off
	s_nop 0
	global_load_dwordx2 v[38:39], v[34:35], off
	global_load_dwordx2 v[40:41], v[36:37], off
	v_lshl_add_u64 v[34:35], v[14:15], 3, s[8:9]
	v_add_u32_e32 v14, -10, v12
	v_lshl_add_u64 v[36:37], v[14:15], 3, s[8:9]
	v_add_u32_e32 v14, 3, v24
	v_lshl_add_u64 v[42:43], v[14:15], 3, s[10:11]
	v_add_u32_e32 v14, -3, v12
	global_load_dwordx2 v[44:45], v[36:37], off
	global_load_dwordx2 v[46:47], v[34:35], off
	global_load_dwordx2 v[48:49], v[42:43], off
	v_lshl_add_u64 v[34:35], v[14:15], 3, s[8:9]
	v_add_u32_e32 v14, -9, v12
	v_lshl_add_u64 v[36:37], v[14:15], 3, s[8:9]
	v_add_u32_e32 v14, 4, v24
	v_lshl_add_u64 v[42:43], v[14:15], 3, s[10:11]
	v_add_u32_e32 v14, -2, v12
	global_load_dwordx2 v[50:51], v[36:37], off
	;; [unrolled: 9-line block ×3, first 2 shown]
	global_load_dwordx2 v[58:59], v[34:35], off
	global_load_dwordx2 v[60:61], v[42:43], off
	v_lshl_add_u64 v[34:35], v[14:15], 3, s[8:9]
	v_add_u32_e32 v14, -7, v12
	v_lshl_add_u64 v[36:37], v[14:15], 3, s[8:9]
	v_add_u32_e32 v14, 6, v24
	v_lshl_add_u64 v[24:25], v[14:15], 3, s[10:11]
	global_load_dwordx2 v[42:43], v[36:37], off
	global_load_dwordx2 v[62:63], v[34:35], off
	;; [unrolled: 1-line block ×3, first 2 shown]
	v_pk_fma_f32 v[8:9], v[30:31], v[16:17], v[8:9] op_sel_hi:[1,0,1]
	v_pk_fma_f32 v[10:11], v[20:21], v[16:17], v[10:11] op_sel:[1,1,0] op_sel_hi:[0,1,1] neg_lo:[1,0,0]
	v_pk_fma_f32 v[8:9], v[30:31], v[16:17], v[8:9] op_sel:[1,1,0] op_sel_hi:[0,1,1] neg_lo:[1,0,0]
	v_xor_b32_e32 v24, 0x80000000, v23
	v_mov_b32_e32 v25, v22
	s_waitcnt vmcnt(15)
	v_pk_fma_f32 v[10:11], v[22:23], v[26:27], v[10:11] op_sel_hi:[1,0,1]
	v_add_u32_e32 v12, 56, v12
	v_pk_fma_f32 v[10:11], v[24:25], v[26:27], v[10:11] op_sel:[0,1,0]
	s_waitcnt vmcnt(14)
	v_pk_fma_f32 v[8:9], v[28:29], v[26:27], v[8:9] op_sel_hi:[1,0,1]
	s_nop 0
	v_pk_fma_f32 v[8:9], v[28:29], v[26:27], v[8:9] op_sel:[1,1,0] op_sel_hi:[0,1,1] neg_lo:[1,0,0]
	s_waitcnt vmcnt(12)
	v_pk_fma_f32 v[10:11], v[38:39], v[40:41], v[10:11] op_sel_hi:[1,0,1]
	s_waitcnt vmcnt(10)
	v_pk_fma_f32 v[8:9], v[46:47], v[40:41], v[8:9] op_sel_hi:[1,0,1]
	v_pk_fma_f32 v[10:11], v[38:39], v[40:41], v[10:11] op_sel:[1,1,0] op_sel_hi:[0,1,1] neg_lo:[1,0,0]
	v_pk_fma_f32 v[8:9], v[46:47], v[40:41], v[8:9] op_sel:[1,1,0] op_sel_hi:[0,1,1] neg_lo:[1,0,0]
	s_waitcnt vmcnt(9)
	v_pk_fma_f32 v[10:11], v[44:45], v[48:49], v[10:11] op_sel_hi:[1,0,1]
	s_waitcnt vmcnt(7)
	v_pk_fma_f32 v[8:9], v[52:53], v[48:49], v[8:9] op_sel_hi:[1,0,1]
	v_pk_fma_f32 v[10:11], v[44:45], v[48:49], v[10:11] op_sel:[1,1,0] op_sel_hi:[0,1,1] neg_lo:[1,0,0]
	;; [unrolled: 6-line block ×4, first 2 shown]
	v_pk_fma_f32 v[8:9], v[62:63], v[60:61], v[8:9] op_sel:[1,1,0] op_sel_hi:[0,1,1] neg_lo:[1,0,0]
	s_waitcnt vmcnt(0)
	v_pk_fma_f32 v[10:11], v[42:43], v[64:65], v[10:11] op_sel_hi:[1,0,1]
	v_pk_fma_f32 v[8:9], v[32:33], v[64:65], v[8:9] op_sel_hi:[1,0,1]
	v_pk_fma_f32 v[10:11], v[42:43], v[64:65], v[10:11] op_sel:[1,1,0] op_sel_hi:[0,1,1] neg_lo:[1,0,0]
	v_pk_fma_f32 v[8:9], v[32:33], v[64:65], v[8:9] op_sel:[1,1,0] op_sel_hi:[0,1,1] neg_lo:[1,0,0]
	s_andn2_b64 exec, exec, s[2:3]
	s_cbranch_execnz .LBB177_21
; %bb.22:
	s_or_b64 exec, exec, s[2:3]
.LBB177_23:
	s_or_b64 exec, exec, s[4:5]
.LBB177_24:
	v_mov_b32_dpp v0, v10 row_shr:1 row_mask:0xf bank_mask:0xf
	v_mov_b32_dpp v12, v8 row_shr:1 row_mask:0xf bank_mask:0xf
	v_add_f32_e32 v0, v10, v0
	v_mov_b32_dpp v10, v11 row_shr:1 row_mask:0xf bank_mask:0xf
	v_add_f32_e32 v13, v8, v12
	v_mov_b32_dpp v8, v9 row_shr:1 row_mask:0xf bank_mask:0xf
	v_add_f32_e32 v10, v11, v10
	v_add_f32_e32 v9, v9, v8
	v_mov_b32_dpp v1, v0 row_shr:2 row_mask:0xf bank_mask:0xf
	v_mov_b32_dpp v11, v10 row_shr:2 row_mask:0xf bank_mask:0xf
	;; [unrolled: 1-line block ×4, first 2 shown]
	v_cmp_eq_u32_e32 vcc, 3, v7
	s_and_b64 exec, exec, vcc
	s_cbranch_execz .LBB177_29
; %bb.25:
	s_load_dwordx2 s[2:3], s[0:1], 0x38
	v_add_f32_e32 v8, v0, v1
	v_and_b32_e32 v1, 0x7fffffff, v4
	v_cmp_eq_u32_e32 vcc, 0, v1
	v_cmp_eq_f32_e64 s[0:1], 0, v5
	v_add_f32_e32 v12, v10, v11
	v_add_f32_e32 v0, v13, v14
	;; [unrolled: 1-line block ×3, first 2 shown]
	s_and_b64 s[0:1], vcc, s[0:1]
	s_and_saveexec_b64 s[4:5], s[0:1]
	s_xor_b64 s[0:1], exec, s[4:5]
	s_cbranch_execz .LBB177_27
; %bb.26:
	v_lshlrev_b32_e32 v4, 1, v6
	v_xor_b32_e32 v14, 0x80000000, v3
	v_ashrrev_i32_e32 v5, 31, v4
	v_mov_b32_e32 v15, v2
	s_waitcnt lgkmcnt(0)
	v_lshl_add_u64 v[16:17], v[4:5], 3, s[2:3]
	v_pk_mul_f32 v[4:5], v[12:13], v[14:15] op_sel_hi:[0,1]
	v_pk_mul_f32 v[6:7], v[10:11], v[14:15] op_sel_hi:[0,1]
	v_pk_fma_f32 v[4:5], v[2:3], v[8:9], v[4:5] op_sel_hi:[1,0,1]
	v_pk_fma_f32 v[6:7], v[2:3], v[0:1], v[6:7] op_sel_hi:[1,0,1]
	global_store_dwordx4 v[16:17], v[4:7], off
                                        ; implicit-def: $vgpr3
                                        ; implicit-def: $vgpr4
                                        ; implicit-def: $vgpr6
                                        ; implicit-def: $vgpr8
                                        ; implicit-def: $vgpr12
                                        ; implicit-def: $vgpr0
                                        ; implicit-def: $vgpr10
.LBB177_27:
	s_andn2_saveexec_b64 s[0:1], s[0:1]
	s_cbranch_execz .LBB177_29
; %bb.28:
	v_lshlrev_b32_e32 v6, 1, v6
	v_ashrrev_i32_e32 v7, 31, v6
	s_waitcnt lgkmcnt(0)
	v_lshl_add_u64 v[6:7], v[6:7], 3, s[2:3]
	global_load_dwordx4 v[14:17], v[6:7], off
	v_xor_b32_e32 v18, 0x80000000, v3
	v_mov_b32_e32 v19, v2
	v_pk_mul_f32 v[12:13], v[12:13], v[18:19] op_sel_hi:[0,1]
	v_pk_mul_f32 v[10:11], v[10:11], v[18:19] op_sel_hi:[0,1]
	v_pk_fma_f32 v[8:9], v[2:3], v[8:9], v[12:13] op_sel_hi:[1,0,1]
	v_pk_fma_f32 v[0:1], v[2:3], v[0:1], v[10:11] op_sel_hi:[1,0,1]
	v_xor_b32_e32 v20, 0x80000000, v5
	v_mov_b32_e32 v21, v4
	s_waitcnt vmcnt(0)
	v_pk_fma_f32 v[2:3], v[4:5], v[14:15], v[8:9] op_sel_hi:[1,0,1]
	v_pk_fma_f32 v[4:5], v[4:5], v[16:17], v[0:1] op_sel_hi:[1,0,1]
	v_mov_b32_e32 v8, v17
	v_pk_fma_f32 v[0:1], v[20:21], v[14:15], v[2:3] op_sel:[0,1,0]
	v_pk_fma_f32 v[2:3], v[20:21], v[8:9], v[4:5] op_sel_hi:[1,0,1]
	global_store_dwordx4 v[6:7], v[0:3], off
.LBB177_29:
	s_endpgm
	.section	.rodata,"a",@progbits
	.p2align	6, 0x0
	.amdhsa_kernel _ZN9rocsparseL19gebsrmvn_2xn_kernelILj128ELj7ELj4E21rocsparse_complex_numIfEEEvi20rocsparse_direction_NS_24const_host_device_scalarIT2_EEPKiS8_PKS5_SA_S6_PS5_21rocsparse_index_base_b
		.amdhsa_group_segment_fixed_size 0
		.amdhsa_private_segment_fixed_size 0
		.amdhsa_kernarg_size 72
		.amdhsa_user_sgpr_count 2
		.amdhsa_user_sgpr_dispatch_ptr 0
		.amdhsa_user_sgpr_queue_ptr 0
		.amdhsa_user_sgpr_kernarg_segment_ptr 1
		.amdhsa_user_sgpr_dispatch_id 0
		.amdhsa_user_sgpr_kernarg_preload_length 0
		.amdhsa_user_sgpr_kernarg_preload_offset 0
		.amdhsa_user_sgpr_private_segment_size 0
		.amdhsa_uses_dynamic_stack 0
		.amdhsa_enable_private_segment 0
		.amdhsa_system_sgpr_workgroup_id_x 1
		.amdhsa_system_sgpr_workgroup_id_y 0
		.amdhsa_system_sgpr_workgroup_id_z 0
		.amdhsa_system_sgpr_workgroup_info 0
		.amdhsa_system_vgpr_workitem_id 0
		.amdhsa_next_free_vgpr 68
		.amdhsa_next_free_sgpr 16
		.amdhsa_accum_offset 68
		.amdhsa_reserve_vcc 1
		.amdhsa_float_round_mode_32 0
		.amdhsa_float_round_mode_16_64 0
		.amdhsa_float_denorm_mode_32 3
		.amdhsa_float_denorm_mode_16_64 3
		.amdhsa_dx10_clamp 1
		.amdhsa_ieee_mode 1
		.amdhsa_fp16_overflow 0
		.amdhsa_tg_split 0
		.amdhsa_exception_fp_ieee_invalid_op 0
		.amdhsa_exception_fp_denorm_src 0
		.amdhsa_exception_fp_ieee_div_zero 0
		.amdhsa_exception_fp_ieee_overflow 0
		.amdhsa_exception_fp_ieee_underflow 0
		.amdhsa_exception_fp_ieee_inexact 0
		.amdhsa_exception_int_div_zero 0
	.end_amdhsa_kernel
	.section	.text._ZN9rocsparseL19gebsrmvn_2xn_kernelILj128ELj7ELj4E21rocsparse_complex_numIfEEEvi20rocsparse_direction_NS_24const_host_device_scalarIT2_EEPKiS8_PKS5_SA_S6_PS5_21rocsparse_index_base_b,"axG",@progbits,_ZN9rocsparseL19gebsrmvn_2xn_kernelILj128ELj7ELj4E21rocsparse_complex_numIfEEEvi20rocsparse_direction_NS_24const_host_device_scalarIT2_EEPKiS8_PKS5_SA_S6_PS5_21rocsparse_index_base_b,comdat
.Lfunc_end177:
	.size	_ZN9rocsparseL19gebsrmvn_2xn_kernelILj128ELj7ELj4E21rocsparse_complex_numIfEEEvi20rocsparse_direction_NS_24const_host_device_scalarIT2_EEPKiS8_PKS5_SA_S6_PS5_21rocsparse_index_base_b, .Lfunc_end177-_ZN9rocsparseL19gebsrmvn_2xn_kernelILj128ELj7ELj4E21rocsparse_complex_numIfEEEvi20rocsparse_direction_NS_24const_host_device_scalarIT2_EEPKiS8_PKS5_SA_S6_PS5_21rocsparse_index_base_b
                                        ; -- End function
	.section	.AMDGPU.csdata,"",@progbits
; Kernel info:
; codeLenInByte = 2328
; NumSgprs: 22
; NumVgprs: 68
; NumAgprs: 0
; TotalNumVgprs: 68
; ScratchSize: 0
; MemoryBound: 0
; FloatMode: 240
; IeeeMode: 1
; LDSByteSize: 0 bytes/workgroup (compile time only)
; SGPRBlocks: 2
; VGPRBlocks: 8
; NumSGPRsForWavesPerEU: 22
; NumVGPRsForWavesPerEU: 68
; AccumOffset: 68
; Occupancy: 7
; WaveLimiterHint : 1
; COMPUTE_PGM_RSRC2:SCRATCH_EN: 0
; COMPUTE_PGM_RSRC2:USER_SGPR: 2
; COMPUTE_PGM_RSRC2:TRAP_HANDLER: 0
; COMPUTE_PGM_RSRC2:TGID_X_EN: 1
; COMPUTE_PGM_RSRC2:TGID_Y_EN: 0
; COMPUTE_PGM_RSRC2:TGID_Z_EN: 0
; COMPUTE_PGM_RSRC2:TIDIG_COMP_CNT: 0
; COMPUTE_PGM_RSRC3_GFX90A:ACCUM_OFFSET: 16
; COMPUTE_PGM_RSRC3_GFX90A:TG_SPLIT: 0
	.section	.text._ZN9rocsparseL19gebsrmvn_2xn_kernelILj128ELj7ELj8E21rocsparse_complex_numIfEEEvi20rocsparse_direction_NS_24const_host_device_scalarIT2_EEPKiS8_PKS5_SA_S6_PS5_21rocsparse_index_base_b,"axG",@progbits,_ZN9rocsparseL19gebsrmvn_2xn_kernelILj128ELj7ELj8E21rocsparse_complex_numIfEEEvi20rocsparse_direction_NS_24const_host_device_scalarIT2_EEPKiS8_PKS5_SA_S6_PS5_21rocsparse_index_base_b,comdat
	.globl	_ZN9rocsparseL19gebsrmvn_2xn_kernelILj128ELj7ELj8E21rocsparse_complex_numIfEEEvi20rocsparse_direction_NS_24const_host_device_scalarIT2_EEPKiS8_PKS5_SA_S6_PS5_21rocsparse_index_base_b ; -- Begin function _ZN9rocsparseL19gebsrmvn_2xn_kernelILj128ELj7ELj8E21rocsparse_complex_numIfEEEvi20rocsparse_direction_NS_24const_host_device_scalarIT2_EEPKiS8_PKS5_SA_S6_PS5_21rocsparse_index_base_b
	.p2align	8
	.type	_ZN9rocsparseL19gebsrmvn_2xn_kernelILj128ELj7ELj8E21rocsparse_complex_numIfEEEvi20rocsparse_direction_NS_24const_host_device_scalarIT2_EEPKiS8_PKS5_SA_S6_PS5_21rocsparse_index_base_b,@function
_ZN9rocsparseL19gebsrmvn_2xn_kernelILj128ELj7ELj8E21rocsparse_complex_numIfEEEvi20rocsparse_direction_NS_24const_host_device_scalarIT2_EEPKiS8_PKS5_SA_S6_PS5_21rocsparse_index_base_b: ; @_ZN9rocsparseL19gebsrmvn_2xn_kernelILj128ELj7ELj8E21rocsparse_complex_numIfEEEvi20rocsparse_direction_NS_24const_host_device_scalarIT2_EEPKiS8_PKS5_SA_S6_PS5_21rocsparse_index_base_b
; %bb.0:
	s_load_dwordx2 s[12:13], s[0:1], 0x40
	s_load_dwordx2 s[8:9], s[0:1], 0x8
	;; [unrolled: 1-line block ×3, first 2 shown]
	s_waitcnt lgkmcnt(0)
	s_bitcmp1_b32 s13, 0
	s_cselect_b64 s[4:5], -1, 0
	s_xor_b64 s[10:11], s[4:5], -1
	s_and_b64 vcc, exec, s[4:5]
	v_mov_b32_e32 v2, s8
	s_cbranch_vccnz .LBB178_2
; %bb.1:
	v_mov_b64_e32 v[2:3], s[8:9]
	flat_load_dword v2, v[2:3]
.LBB178_2:
	v_cndmask_b32_e64 v1, 0, 1, s[10:11]
	v_cmp_ne_u32_e64 s[4:5], 1, v1
	s_andn2_b64 vcc, exec, s[10:11]
	v_mov_b32_e32 v3, s9
	s_cbranch_vccz .LBB178_16
; %bb.3:
	s_and_b64 vcc, exec, s[4:5]
	v_mov_b32_e32 v4, s6
	s_cbranch_vccz .LBB178_17
.LBB178_4:
	s_and_b64 vcc, exec, s[4:5]
	v_mov_b32_e32 v5, s7
	s_cbranch_vccnz .LBB178_6
.LBB178_5:
	v_mov_b64_e32 v[6:7], s[6:7]
	flat_load_dword v5, v[6:7] offset:4
.LBB178_6:
	s_waitcnt vmcnt(0) lgkmcnt(0)
	v_and_b32_e32 v1, 0x7fffffff, v2
	v_cmp_eq_u32_e32 vcc, 0, v1
	v_cmp_eq_f32_e64 s[4:5], 0, v3
	s_and_b64 s[8:9], vcc, s[4:5]
	s_mov_b64 s[4:5], -1
	s_and_saveexec_b64 s[6:7], s[8:9]
; %bb.7:
	v_and_b32_e32 v1, 0x7fffffff, v5
	v_cmp_neq_f32_e32 vcc, 1.0, v4
	v_cmp_ne_u32_e64 s[4:5], 0, v1
	s_or_b64 s[4:5], vcc, s[4:5]
	s_orn2_b64 s[4:5], s[4:5], exec
; %bb.8:
	s_or_b64 exec, exec, s[6:7]
	s_and_saveexec_b64 s[6:7], s[4:5]
	s_cbranch_execz .LBB178_29
; %bb.9:
	s_load_dwordx2 s[14:15], s[0:1], 0x0
	v_lshrrev_b32_e32 v1, 3, v0
	v_lshl_or_b32 v6, s2, 4, v1
	s_waitcnt lgkmcnt(0)
	v_cmp_gt_i32_e32 vcc, s14, v6
	s_and_b64 exec, exec, vcc
	s_cbranch_execz .LBB178_29
; %bb.10:
	s_load_dwordx8 s[4:11], s[0:1], 0x10
	v_ashrrev_i32_e32 v7, 31, v6
	s_cmp_lg_u32 s15, 0
	s_waitcnt lgkmcnt(0)
	v_lshl_add_u64 v[8:9], v[6:7], 2, s[4:5]
	global_load_dwordx2 v[8:9], v[8:9], off
	v_and_b32_e32 v7, 7, v0
	s_waitcnt vmcnt(0)
	v_subrev_u32_e32 v0, s12, v8
	v_subrev_u32_e32 v18, s12, v9
	v_add_u32_e32 v0, v0, v7
	v_cmp_lt_i32_e64 s[2:3], v0, v18
	s_cbranch_scc0 .LBB178_18
; %bb.11:
	v_mov_b32_e32 v11, 0
	v_mov_b32_e32 v10, v11
	;; [unrolled: 1-line block ×4, first 2 shown]
	s_and_saveexec_b64 s[4:5], s[2:3]
	s_cbranch_execz .LBB178_15
; %bb.12:
	v_mad_u64_u32 v[12:13], s[14:15], v0, 14, 12
	v_mov_b32_e32 v15, 0
	s_mov_b64 s[14:15], 0
	v_mov_b32_e32 v16, v0
	v_mov_b32_e32 v8, v15
	;; [unrolled: 1-line block ×5, first 2 shown]
.LBB178_13:                             ; =>This Inner Loop Header: Depth=1
	v_ashrrev_i32_e32 v17, 31, v16
	v_lshl_add_u64 v[20:21], v[16:17], 2, s[6:7]
	global_load_dword v1, v[20:21], off
	v_add_u32_e32 v14, -12, v12
	v_mov_b32_e32 v49, v15
	v_mov_b32_e32 v13, v15
	v_lshl_add_u64 v[32:33], v[14:15], 3, s[8:9]
	v_add_u32_e32 v14, -10, v12
	v_lshl_add_u64 v[34:35], v[12:13], 3, s[8:9]
	v_lshl_add_u64 v[36:37], v[14:15], 3, s[8:9]
	global_load_dwordx4 v[20:23], v[32:33], off
	global_load_dwordx4 v[24:27], v[34:35], off
	;; [unrolled: 1-line block ×3, first 2 shown]
	v_add_u32_e32 v16, 8, v16
	v_cmp_ge_i32_e32 vcc, v16, v18
	s_or_b64 s[14:15], vcc, s[14:15]
	s_waitcnt vmcnt(3)
	v_subrev_u32_e32 v1, s12, v1
	v_mul_lo_u32 v48, v1, 7
	v_lshl_add_u64 v[32:33], v[48:49], 3, s[10:11]
	v_add_u32_e32 v14, 1, v48
	global_load_dwordx2 v[50:51], v[32:33], off
	v_lshl_add_u64 v[32:33], v[14:15], 3, s[10:11]
	v_add_u32_e32 v14, -8, v12
	global_load_dwordx2 v[52:53], v[32:33], off
	v_lshl_add_u64 v[32:33], v[14:15], 3, s[8:9]
	v_add_u32_e32 v14, 2, v48
	v_lshl_add_u64 v[36:37], v[14:15], 3, s[10:11]
	v_add_u32_e32 v14, -6, v12
	global_load_dwordx4 v[32:35], v[32:33], off
	s_waitcnt vmcnt(5)
	v_xor_b32_e32 v62, 0x80000000, v23
	global_load_dwordx2 v[54:55], v[36:37], off
	v_lshl_add_u64 v[36:37], v[14:15], 3, s[8:9]
	v_add_u32_e32 v14, 3, v48
	v_lshl_add_u64 v[40:41], v[14:15], 3, s[10:11]
	v_add_u32_e32 v14, -4, v12
	global_load_dwordx4 v[36:39], v[36:37], off
	v_mov_b32_e32 v63, v22
	global_load_dwordx2 v[56:57], v[40:41], off
	v_lshl_add_u64 v[40:41], v[14:15], 3, s[8:9]
	v_add_u32_e32 v14, 4, v48
	v_lshl_add_u64 v[44:45], v[14:15], 3, s[10:11]
	v_add_u32_e32 v14, -2, v12
	global_load_dwordx4 v[40:43], v[40:41], off
	s_waitcnt vmcnt(7)
	v_xor_b32_e32 v66, 0x80000000, v31
	global_load_dwordx2 v[58:59], v[44:45], off
	v_lshl_add_u64 v[44:45], v[14:15], 3, s[8:9]
	v_add_u32_e32 v14, 5, v48
	v_lshl_add_u64 v[60:61], v[14:15], 3, s[10:11]
	global_load_dwordx4 v[44:47], v[44:45], off
	v_add_u32_e32 v14, 6, v48
	global_load_dwordx2 v[48:49], v[60:61], off
	v_lshl_add_u64 v[60:61], v[14:15], 3, s[10:11]
	global_load_dwordx2 v[60:61], v[60:61], off
	v_mov_b32_e32 v67, v30
	v_xor_b32_e32 v64, 0x80000000, v27
	v_mov_b32_e32 v65, v26
	v_add_u32_e32 v12, 0x70, v12
	s_waitcnt vmcnt(10)
	v_pk_fma_f32 v[10:11], v[20:21], v[50:51], v[10:11] op_sel_hi:[1,0,1]
	v_pk_fma_f32 v[8:9], v[22:23], v[50:51], v[8:9] op_sel_hi:[1,0,1]
	v_pk_fma_f32 v[10:11], v[20:21], v[50:51], v[10:11] op_sel:[1,1,0] op_sel_hi:[0,1,1] neg_lo:[1,0,0]
	v_pk_fma_f32 v[8:9], v[62:63], v[50:51], v[8:9] op_sel:[0,1,0]
	s_waitcnt vmcnt(9)
	v_pk_fma_f32 v[10:11], v[28:29], v[52:53], v[10:11] op_sel_hi:[1,0,1]
	v_pk_fma_f32 v[8:9], v[30:31], v[52:53], v[8:9] op_sel_hi:[1,0,1]
	v_pk_fma_f32 v[10:11], v[28:29], v[52:53], v[10:11] op_sel:[1,1,0] op_sel_hi:[0,1,1] neg_lo:[1,0,0]
	v_pk_fma_f32 v[8:9], v[66:67], v[52:53], v[8:9] op_sel:[0,1,0]
	s_waitcnt vmcnt(8)
	v_xor_b32_e32 v20, 0x80000000, v35
	v_mov_b32_e32 v21, v34
	s_waitcnt vmcnt(7)
	v_pk_fma_f32 v[10:11], v[32:33], v[54:55], v[10:11] op_sel_hi:[1,0,1]
	v_pk_fma_f32 v[8:9], v[34:35], v[54:55], v[8:9] op_sel_hi:[1,0,1]
	v_pk_fma_f32 v[10:11], v[32:33], v[54:55], v[10:11] op_sel:[1,1,0] op_sel_hi:[0,1,1] neg_lo:[1,0,0]
	v_pk_fma_f32 v[8:9], v[20:21], v[54:55], v[8:9] op_sel:[0,1,0]
	s_waitcnt vmcnt(6)
	v_xor_b32_e32 v22, 0x80000000, v39
	v_mov_b32_e32 v23, v38
	;; [unrolled: 8-line block ×4, first 2 shown]
	s_waitcnt vmcnt(1)
	v_pk_fma_f32 v[10:11], v[44:45], v[48:49], v[10:11] op_sel_hi:[1,0,1]
	v_pk_fma_f32 v[8:9], v[46:47], v[48:49], v[8:9] op_sel_hi:[1,0,1]
	v_pk_fma_f32 v[10:11], v[44:45], v[48:49], v[10:11] op_sel:[1,1,0] op_sel_hi:[0,1,1] neg_lo:[1,0,0]
	v_pk_fma_f32 v[8:9], v[22:23], v[48:49], v[8:9] op_sel:[0,1,0]
	s_waitcnt vmcnt(0)
	v_pk_fma_f32 v[10:11], v[24:25], v[60:61], v[10:11] op_sel_hi:[1,0,1]
	v_pk_fma_f32 v[8:9], v[26:27], v[60:61], v[8:9] op_sel_hi:[1,0,1]
	v_pk_fma_f32 v[10:11], v[24:25], v[60:61], v[10:11] op_sel:[1,1,0] op_sel_hi:[0,1,1] neg_lo:[1,0,0]
	v_pk_fma_f32 v[8:9], v[64:65], v[60:61], v[8:9] op_sel:[0,1,0]
	s_andn2_b64 exec, exec, s[14:15]
	s_cbranch_execnz .LBB178_13
; %bb.14:
	s_or_b64 exec, exec, s[14:15]
.LBB178_15:
	s_or_b64 exec, exec, s[4:5]
	s_cbranch_execz .LBB178_19
	s_branch .LBB178_24
.LBB178_16:
	v_mov_b64_e32 v[4:5], s[8:9]
	flat_load_dword v3, v[4:5] offset:4
	s_and_b64 vcc, exec, s[4:5]
	v_mov_b32_e32 v4, s6
	s_cbranch_vccnz .LBB178_4
.LBB178_17:
	v_mov_b64_e32 v[4:5], s[6:7]
	flat_load_dword v4, v[4:5]
	s_and_b64 vcc, exec, s[4:5]
	v_mov_b32_e32 v5, s7
	s_cbranch_vccz .LBB178_5
	s_branch .LBB178_6
.LBB178_18:
                                        ; implicit-def: $vgpr11
                                        ; implicit-def: $vgpr9
.LBB178_19:
	v_mov_b32_e32 v11, 0
	v_mov_b32_e32 v10, v11
	;; [unrolled: 1-line block ×4, first 2 shown]
	s_and_saveexec_b64 s[4:5], s[2:3]
	s_cbranch_execz .LBB178_23
; %bb.20:
	v_mad_u64_u32 v[12:13], s[2:3], v0, 14, 13
	v_mov_b32_e32 v15, 0
	s_mov_b64 s[2:3], 0
	v_mov_b32_e32 v8, v15
	v_mov_b32_e32 v9, v15
	;; [unrolled: 1-line block ×4, first 2 shown]
.LBB178_21:                             ; =>This Inner Loop Header: Depth=1
	v_ashrrev_i32_e32 v1, 31, v0
	v_lshl_add_u64 v[16:17], v[0:1], 2, s[6:7]
	global_load_dword v1, v[16:17], off
	v_add_u32_e32 v14, -13, v12
	v_add_u32_e32 v16, -6, v12
	v_mov_b32_e32 v17, v15
	v_mov_b32_e32 v13, v15
	v_lshl_add_u64 v[26:27], v[14:15], 3, s[8:9]
	v_lshl_add_u64 v[16:17], v[16:17], 3, s[8:9]
	;; [unrolled: 1-line block ×3, first 2 shown]
	global_load_dwordx4 v[20:23], v[26:27], off
	global_load_dwordx2 v[30:31], v[16:17], off
	global_load_dwordx2 v[32:33], v[28:29], off
	v_mov_b32_e32 v25, v15
	v_add_u32_e32 v0, 8, v0
	v_cmp_ge_i32_e32 vcc, v0, v18
	s_or_b64 s[2:3], vcc, s[2:3]
	s_waitcnt vmcnt(3)
	v_subrev_u32_e32 v1, s12, v1
	v_mul_lo_u32 v24, v1, 7
	v_add_u32_e32 v14, 1, v24
	v_lshl_add_u64 v[26:27], v[14:15], 3, s[10:11]
	v_add_u32_e32 v14, -5, v12
	v_lshl_add_u64 v[28:29], v[14:15], 3, s[8:9]
	v_add_u32_e32 v14, -11, v12
	v_lshl_add_u64 v[34:35], v[14:15], 3, s[8:9]
	v_add_u32_e32 v14, 2, v24
	v_lshl_add_u64 v[16:17], v[24:25], 3, s[10:11]
	v_lshl_add_u64 v[36:37], v[14:15], 3, s[10:11]
	v_add_u32_e32 v14, -4, v12
	global_load_dwordx2 v[16:17], v[16:17], off
	s_nop 0
	global_load_dwordx2 v[26:27], v[26:27], off
	s_waitcnt vmcnt(1)
	v_pk_fma_f32 v[10:11], v[20:21], v[16:17], v[10:11] op_sel_hi:[1,0,1]
	global_load_dwordx2 v[28:29], v[28:29], off
	s_nop 0
	global_load_dwordx2 v[38:39], v[34:35], off
	global_load_dwordx2 v[40:41], v[36:37], off
	v_lshl_add_u64 v[34:35], v[14:15], 3, s[8:9]
	v_add_u32_e32 v14, -10, v12
	v_lshl_add_u64 v[36:37], v[14:15], 3, s[8:9]
	v_add_u32_e32 v14, 3, v24
	v_lshl_add_u64 v[42:43], v[14:15], 3, s[10:11]
	v_add_u32_e32 v14, -3, v12
	global_load_dwordx2 v[44:45], v[36:37], off
	global_load_dwordx2 v[46:47], v[34:35], off
	global_load_dwordx2 v[48:49], v[42:43], off
	v_lshl_add_u64 v[34:35], v[14:15], 3, s[8:9]
	v_add_u32_e32 v14, -9, v12
	v_lshl_add_u64 v[36:37], v[14:15], 3, s[8:9]
	v_add_u32_e32 v14, 4, v24
	v_lshl_add_u64 v[42:43], v[14:15], 3, s[10:11]
	v_add_u32_e32 v14, -2, v12
	global_load_dwordx2 v[50:51], v[36:37], off
	;; [unrolled: 9-line block ×3, first 2 shown]
	global_load_dwordx2 v[58:59], v[34:35], off
	global_load_dwordx2 v[60:61], v[42:43], off
	v_lshl_add_u64 v[34:35], v[14:15], 3, s[8:9]
	v_add_u32_e32 v14, -7, v12
	v_lshl_add_u64 v[36:37], v[14:15], 3, s[8:9]
	v_add_u32_e32 v14, 6, v24
	v_lshl_add_u64 v[24:25], v[14:15], 3, s[10:11]
	global_load_dwordx2 v[42:43], v[36:37], off
	global_load_dwordx2 v[62:63], v[34:35], off
	;; [unrolled: 1-line block ×3, first 2 shown]
	v_pk_fma_f32 v[8:9], v[30:31], v[16:17], v[8:9] op_sel_hi:[1,0,1]
	v_pk_fma_f32 v[10:11], v[20:21], v[16:17], v[10:11] op_sel:[1,1,0] op_sel_hi:[0,1,1] neg_lo:[1,0,0]
	v_pk_fma_f32 v[8:9], v[30:31], v[16:17], v[8:9] op_sel:[1,1,0] op_sel_hi:[0,1,1] neg_lo:[1,0,0]
	v_xor_b32_e32 v24, 0x80000000, v23
	v_mov_b32_e32 v25, v22
	s_waitcnt vmcnt(15)
	v_pk_fma_f32 v[10:11], v[22:23], v[26:27], v[10:11] op_sel_hi:[1,0,1]
	v_add_u32_e32 v12, 0x70, v12
	v_pk_fma_f32 v[10:11], v[24:25], v[26:27], v[10:11] op_sel:[0,1,0]
	s_waitcnt vmcnt(14)
	v_pk_fma_f32 v[8:9], v[28:29], v[26:27], v[8:9] op_sel_hi:[1,0,1]
	s_nop 0
	v_pk_fma_f32 v[8:9], v[28:29], v[26:27], v[8:9] op_sel:[1,1,0] op_sel_hi:[0,1,1] neg_lo:[1,0,0]
	s_waitcnt vmcnt(12)
	v_pk_fma_f32 v[10:11], v[38:39], v[40:41], v[10:11] op_sel_hi:[1,0,1]
	s_waitcnt vmcnt(10)
	v_pk_fma_f32 v[8:9], v[46:47], v[40:41], v[8:9] op_sel_hi:[1,0,1]
	v_pk_fma_f32 v[10:11], v[38:39], v[40:41], v[10:11] op_sel:[1,1,0] op_sel_hi:[0,1,1] neg_lo:[1,0,0]
	v_pk_fma_f32 v[8:9], v[46:47], v[40:41], v[8:9] op_sel:[1,1,0] op_sel_hi:[0,1,1] neg_lo:[1,0,0]
	s_waitcnt vmcnt(9)
	v_pk_fma_f32 v[10:11], v[44:45], v[48:49], v[10:11] op_sel_hi:[1,0,1]
	s_waitcnt vmcnt(7)
	v_pk_fma_f32 v[8:9], v[52:53], v[48:49], v[8:9] op_sel_hi:[1,0,1]
	v_pk_fma_f32 v[10:11], v[44:45], v[48:49], v[10:11] op_sel:[1,1,0] op_sel_hi:[0,1,1] neg_lo:[1,0,0]
	;; [unrolled: 6-line block ×4, first 2 shown]
	v_pk_fma_f32 v[8:9], v[62:63], v[60:61], v[8:9] op_sel:[1,1,0] op_sel_hi:[0,1,1] neg_lo:[1,0,0]
	s_waitcnt vmcnt(0)
	v_pk_fma_f32 v[10:11], v[42:43], v[64:65], v[10:11] op_sel_hi:[1,0,1]
	v_pk_fma_f32 v[8:9], v[32:33], v[64:65], v[8:9] op_sel_hi:[1,0,1]
	v_pk_fma_f32 v[10:11], v[42:43], v[64:65], v[10:11] op_sel:[1,1,0] op_sel_hi:[0,1,1] neg_lo:[1,0,0]
	v_pk_fma_f32 v[8:9], v[32:33], v[64:65], v[8:9] op_sel:[1,1,0] op_sel_hi:[0,1,1] neg_lo:[1,0,0]
	s_andn2_b64 exec, exec, s[2:3]
	s_cbranch_execnz .LBB178_21
; %bb.22:
	s_or_b64 exec, exec, s[2:3]
.LBB178_23:
	s_or_b64 exec, exec, s[4:5]
.LBB178_24:
	v_mov_b32_dpp v12, v8 row_shr:1 row_mask:0xf bank_mask:0xf
	v_add_f32_e32 v8, v8, v12
	v_mov_b32_dpp v0, v10 row_shr:1 row_mask:0xf bank_mask:0xf
	v_add_f32_e32 v0, v10, v0
	v_mov_b32_dpp v12, v8 row_shr:2 row_mask:0xf bank_mask:0xf
	v_mov_b32_dpp v10, v11 row_shr:1 row_mask:0xf bank_mask:0xf
	v_add_f32_e32 v13, v8, v12
	v_mov_b32_dpp v8, v9 row_shr:1 row_mask:0xf bank_mask:0xf
	v_add_f32_e32 v10, v11, v10
	v_add_f32_e32 v8, v9, v8
	v_mov_b32_dpp v1, v0 row_shr:2 row_mask:0xf bank_mask:0xf
	v_mov_b32_dpp v11, v10 row_shr:2 row_mask:0xf bank_mask:0xf
	;; [unrolled: 1-line block ×3, first 2 shown]
	v_add_f32_e32 v0, v0, v1
	v_add_f32_e32 v10, v10, v11
	;; [unrolled: 1-line block ×3, first 2 shown]
	v_mov_b32_dpp v1, v0 row_shr:4 row_mask:0xf bank_mask:0xe
	v_mov_b32_dpp v11, v10 row_shr:4 row_mask:0xf bank_mask:0xe
	;; [unrolled: 1-line block ×4, first 2 shown]
	v_cmp_eq_u32_e32 vcc, 7, v7
	s_and_b64 exec, exec, vcc
	s_cbranch_execz .LBB178_29
; %bb.25:
	s_load_dwordx2 s[2:3], s[0:1], 0x38
	v_add_f32_e32 v8, v0, v1
	v_and_b32_e32 v1, 0x7fffffff, v4
	v_cmp_eq_u32_e32 vcc, 0, v1
	v_cmp_eq_f32_e64 s[0:1], 0, v5
	v_add_f32_e32 v12, v10, v11
	v_add_f32_e32 v0, v13, v14
	;; [unrolled: 1-line block ×3, first 2 shown]
	s_and_b64 s[0:1], vcc, s[0:1]
	s_and_saveexec_b64 s[4:5], s[0:1]
	s_xor_b64 s[0:1], exec, s[4:5]
	s_cbranch_execz .LBB178_27
; %bb.26:
	v_lshlrev_b32_e32 v4, 1, v6
	v_xor_b32_e32 v14, 0x80000000, v3
	v_ashrrev_i32_e32 v5, 31, v4
	v_mov_b32_e32 v15, v2
	s_waitcnt lgkmcnt(0)
	v_lshl_add_u64 v[16:17], v[4:5], 3, s[2:3]
	v_pk_mul_f32 v[4:5], v[12:13], v[14:15] op_sel_hi:[0,1]
	v_pk_mul_f32 v[6:7], v[10:11], v[14:15] op_sel_hi:[0,1]
	v_pk_fma_f32 v[4:5], v[2:3], v[8:9], v[4:5] op_sel_hi:[1,0,1]
	v_pk_fma_f32 v[6:7], v[2:3], v[0:1], v[6:7] op_sel_hi:[1,0,1]
	global_store_dwordx4 v[16:17], v[4:7], off
                                        ; implicit-def: $vgpr3
                                        ; implicit-def: $vgpr4
                                        ; implicit-def: $vgpr6
                                        ; implicit-def: $vgpr8
                                        ; implicit-def: $vgpr12
                                        ; implicit-def: $vgpr0
                                        ; implicit-def: $vgpr10
.LBB178_27:
	s_andn2_saveexec_b64 s[0:1], s[0:1]
	s_cbranch_execz .LBB178_29
; %bb.28:
	v_lshlrev_b32_e32 v6, 1, v6
	v_ashrrev_i32_e32 v7, 31, v6
	s_waitcnt lgkmcnt(0)
	v_lshl_add_u64 v[6:7], v[6:7], 3, s[2:3]
	global_load_dwordx4 v[14:17], v[6:7], off
	v_xor_b32_e32 v18, 0x80000000, v3
	v_mov_b32_e32 v19, v2
	v_pk_mul_f32 v[12:13], v[12:13], v[18:19] op_sel_hi:[0,1]
	v_pk_mul_f32 v[10:11], v[10:11], v[18:19] op_sel_hi:[0,1]
	v_pk_fma_f32 v[8:9], v[2:3], v[8:9], v[12:13] op_sel_hi:[1,0,1]
	v_pk_fma_f32 v[0:1], v[2:3], v[0:1], v[10:11] op_sel_hi:[1,0,1]
	v_xor_b32_e32 v20, 0x80000000, v5
	v_mov_b32_e32 v21, v4
	s_waitcnt vmcnt(0)
	v_pk_fma_f32 v[2:3], v[4:5], v[14:15], v[8:9] op_sel_hi:[1,0,1]
	v_pk_fma_f32 v[4:5], v[4:5], v[16:17], v[0:1] op_sel_hi:[1,0,1]
	v_mov_b32_e32 v8, v17
	v_pk_fma_f32 v[0:1], v[20:21], v[14:15], v[2:3] op_sel:[0,1,0]
	v_pk_fma_f32 v[2:3], v[20:21], v[8:9], v[4:5] op_sel_hi:[1,0,1]
	global_store_dwordx4 v[6:7], v[0:3], off
.LBB178_29:
	s_endpgm
	.section	.rodata,"a",@progbits
	.p2align	6, 0x0
	.amdhsa_kernel _ZN9rocsparseL19gebsrmvn_2xn_kernelILj128ELj7ELj8E21rocsparse_complex_numIfEEEvi20rocsparse_direction_NS_24const_host_device_scalarIT2_EEPKiS8_PKS5_SA_S6_PS5_21rocsparse_index_base_b
		.amdhsa_group_segment_fixed_size 0
		.amdhsa_private_segment_fixed_size 0
		.amdhsa_kernarg_size 72
		.amdhsa_user_sgpr_count 2
		.amdhsa_user_sgpr_dispatch_ptr 0
		.amdhsa_user_sgpr_queue_ptr 0
		.amdhsa_user_sgpr_kernarg_segment_ptr 1
		.amdhsa_user_sgpr_dispatch_id 0
		.amdhsa_user_sgpr_kernarg_preload_length 0
		.amdhsa_user_sgpr_kernarg_preload_offset 0
		.amdhsa_user_sgpr_private_segment_size 0
		.amdhsa_uses_dynamic_stack 0
		.amdhsa_enable_private_segment 0
		.amdhsa_system_sgpr_workgroup_id_x 1
		.amdhsa_system_sgpr_workgroup_id_y 0
		.amdhsa_system_sgpr_workgroup_id_z 0
		.amdhsa_system_sgpr_workgroup_info 0
		.amdhsa_system_vgpr_workitem_id 0
		.amdhsa_next_free_vgpr 68
		.amdhsa_next_free_sgpr 16
		.amdhsa_accum_offset 68
		.amdhsa_reserve_vcc 1
		.amdhsa_float_round_mode_32 0
		.amdhsa_float_round_mode_16_64 0
		.amdhsa_float_denorm_mode_32 3
		.amdhsa_float_denorm_mode_16_64 3
		.amdhsa_dx10_clamp 1
		.amdhsa_ieee_mode 1
		.amdhsa_fp16_overflow 0
		.amdhsa_tg_split 0
		.amdhsa_exception_fp_ieee_invalid_op 0
		.amdhsa_exception_fp_denorm_src 0
		.amdhsa_exception_fp_ieee_div_zero 0
		.amdhsa_exception_fp_ieee_overflow 0
		.amdhsa_exception_fp_ieee_underflow 0
		.amdhsa_exception_fp_ieee_inexact 0
		.amdhsa_exception_int_div_zero 0
	.end_amdhsa_kernel
	.section	.text._ZN9rocsparseL19gebsrmvn_2xn_kernelILj128ELj7ELj8E21rocsparse_complex_numIfEEEvi20rocsparse_direction_NS_24const_host_device_scalarIT2_EEPKiS8_PKS5_SA_S6_PS5_21rocsparse_index_base_b,"axG",@progbits,_ZN9rocsparseL19gebsrmvn_2xn_kernelILj128ELj7ELj8E21rocsparse_complex_numIfEEEvi20rocsparse_direction_NS_24const_host_device_scalarIT2_EEPKiS8_PKS5_SA_S6_PS5_21rocsparse_index_base_b,comdat
.Lfunc_end178:
	.size	_ZN9rocsparseL19gebsrmvn_2xn_kernelILj128ELj7ELj8E21rocsparse_complex_numIfEEEvi20rocsparse_direction_NS_24const_host_device_scalarIT2_EEPKiS8_PKS5_SA_S6_PS5_21rocsparse_index_base_b, .Lfunc_end178-_ZN9rocsparseL19gebsrmvn_2xn_kernelILj128ELj7ELj8E21rocsparse_complex_numIfEEEvi20rocsparse_direction_NS_24const_host_device_scalarIT2_EEPKiS8_PKS5_SA_S6_PS5_21rocsparse_index_base_b
                                        ; -- End function
	.section	.AMDGPU.csdata,"",@progbits
; Kernel info:
; codeLenInByte = 2384
; NumSgprs: 22
; NumVgprs: 68
; NumAgprs: 0
; TotalNumVgprs: 68
; ScratchSize: 0
; MemoryBound: 0
; FloatMode: 240
; IeeeMode: 1
; LDSByteSize: 0 bytes/workgroup (compile time only)
; SGPRBlocks: 2
; VGPRBlocks: 8
; NumSGPRsForWavesPerEU: 22
; NumVGPRsForWavesPerEU: 68
; AccumOffset: 68
; Occupancy: 7
; WaveLimiterHint : 1
; COMPUTE_PGM_RSRC2:SCRATCH_EN: 0
; COMPUTE_PGM_RSRC2:USER_SGPR: 2
; COMPUTE_PGM_RSRC2:TRAP_HANDLER: 0
; COMPUTE_PGM_RSRC2:TGID_X_EN: 1
; COMPUTE_PGM_RSRC2:TGID_Y_EN: 0
; COMPUTE_PGM_RSRC2:TGID_Z_EN: 0
; COMPUTE_PGM_RSRC2:TIDIG_COMP_CNT: 0
; COMPUTE_PGM_RSRC3_GFX90A:ACCUM_OFFSET: 16
; COMPUTE_PGM_RSRC3_GFX90A:TG_SPLIT: 0
	.section	.text._ZN9rocsparseL19gebsrmvn_2xn_kernelILj128ELj7ELj16E21rocsparse_complex_numIfEEEvi20rocsparse_direction_NS_24const_host_device_scalarIT2_EEPKiS8_PKS5_SA_S6_PS5_21rocsparse_index_base_b,"axG",@progbits,_ZN9rocsparseL19gebsrmvn_2xn_kernelILj128ELj7ELj16E21rocsparse_complex_numIfEEEvi20rocsparse_direction_NS_24const_host_device_scalarIT2_EEPKiS8_PKS5_SA_S6_PS5_21rocsparse_index_base_b,comdat
	.globl	_ZN9rocsparseL19gebsrmvn_2xn_kernelILj128ELj7ELj16E21rocsparse_complex_numIfEEEvi20rocsparse_direction_NS_24const_host_device_scalarIT2_EEPKiS8_PKS5_SA_S6_PS5_21rocsparse_index_base_b ; -- Begin function _ZN9rocsparseL19gebsrmvn_2xn_kernelILj128ELj7ELj16E21rocsparse_complex_numIfEEEvi20rocsparse_direction_NS_24const_host_device_scalarIT2_EEPKiS8_PKS5_SA_S6_PS5_21rocsparse_index_base_b
	.p2align	8
	.type	_ZN9rocsparseL19gebsrmvn_2xn_kernelILj128ELj7ELj16E21rocsparse_complex_numIfEEEvi20rocsparse_direction_NS_24const_host_device_scalarIT2_EEPKiS8_PKS5_SA_S6_PS5_21rocsparse_index_base_b,@function
_ZN9rocsparseL19gebsrmvn_2xn_kernelILj128ELj7ELj16E21rocsparse_complex_numIfEEEvi20rocsparse_direction_NS_24const_host_device_scalarIT2_EEPKiS8_PKS5_SA_S6_PS5_21rocsparse_index_base_b: ; @_ZN9rocsparseL19gebsrmvn_2xn_kernelILj128ELj7ELj16E21rocsparse_complex_numIfEEEvi20rocsparse_direction_NS_24const_host_device_scalarIT2_EEPKiS8_PKS5_SA_S6_PS5_21rocsparse_index_base_b
; %bb.0:
	s_load_dwordx2 s[12:13], s[0:1], 0x40
	s_load_dwordx2 s[8:9], s[0:1], 0x8
	;; [unrolled: 1-line block ×3, first 2 shown]
	s_waitcnt lgkmcnt(0)
	s_bitcmp1_b32 s13, 0
	s_cselect_b64 s[4:5], -1, 0
	s_xor_b64 s[10:11], s[4:5], -1
	s_and_b64 vcc, exec, s[4:5]
	v_mov_b32_e32 v2, s8
	s_cbranch_vccnz .LBB179_2
; %bb.1:
	v_mov_b64_e32 v[2:3], s[8:9]
	flat_load_dword v2, v[2:3]
.LBB179_2:
	v_cndmask_b32_e64 v1, 0, 1, s[10:11]
	v_cmp_ne_u32_e64 s[4:5], 1, v1
	s_andn2_b64 vcc, exec, s[10:11]
	v_mov_b32_e32 v3, s9
	s_cbranch_vccz .LBB179_16
; %bb.3:
	s_and_b64 vcc, exec, s[4:5]
	v_mov_b32_e32 v4, s6
	s_cbranch_vccz .LBB179_17
.LBB179_4:
	s_and_b64 vcc, exec, s[4:5]
	v_mov_b32_e32 v5, s7
	s_cbranch_vccnz .LBB179_6
.LBB179_5:
	v_mov_b64_e32 v[6:7], s[6:7]
	flat_load_dword v5, v[6:7] offset:4
.LBB179_6:
	s_waitcnt vmcnt(0) lgkmcnt(0)
	v_and_b32_e32 v1, 0x7fffffff, v2
	v_cmp_eq_u32_e32 vcc, 0, v1
	v_cmp_eq_f32_e64 s[4:5], 0, v3
	s_and_b64 s[8:9], vcc, s[4:5]
	s_mov_b64 s[4:5], -1
	s_and_saveexec_b64 s[6:7], s[8:9]
; %bb.7:
	v_and_b32_e32 v1, 0x7fffffff, v5
	v_cmp_neq_f32_e32 vcc, 1.0, v4
	v_cmp_ne_u32_e64 s[4:5], 0, v1
	s_or_b64 s[4:5], vcc, s[4:5]
	s_orn2_b64 s[4:5], s[4:5], exec
; %bb.8:
	s_or_b64 exec, exec, s[6:7]
	s_and_saveexec_b64 s[6:7], s[4:5]
	s_cbranch_execz .LBB179_29
; %bb.9:
	s_load_dwordx2 s[14:15], s[0:1], 0x0
	v_lshrrev_b32_e32 v1, 4, v0
	v_lshl_or_b32 v6, s2, 3, v1
	s_waitcnt lgkmcnt(0)
	v_cmp_gt_i32_e32 vcc, s14, v6
	s_and_b64 exec, exec, vcc
	s_cbranch_execz .LBB179_29
; %bb.10:
	s_load_dwordx8 s[4:11], s[0:1], 0x10
	v_ashrrev_i32_e32 v7, 31, v6
	s_cmp_lg_u32 s15, 0
	s_waitcnt lgkmcnt(0)
	v_lshl_add_u64 v[8:9], v[6:7], 2, s[4:5]
	global_load_dwordx2 v[8:9], v[8:9], off
	v_and_b32_e32 v7, 15, v0
	s_waitcnt vmcnt(0)
	v_subrev_u32_e32 v0, s12, v8
	v_subrev_u32_e32 v18, s12, v9
	v_add_u32_e32 v0, v0, v7
	v_cmp_lt_i32_e64 s[2:3], v0, v18
	s_cbranch_scc0 .LBB179_18
; %bb.11:
	v_mov_b32_e32 v11, 0
	v_mov_b32_e32 v10, v11
	;; [unrolled: 1-line block ×4, first 2 shown]
	s_and_saveexec_b64 s[4:5], s[2:3]
	s_cbranch_execz .LBB179_15
; %bb.12:
	v_mad_u64_u32 v[12:13], s[14:15], v0, 14, 12
	v_mov_b32_e32 v15, 0
	s_mov_b64 s[14:15], 0
	v_mov_b32_e32 v16, v0
	v_mov_b32_e32 v8, v15
	v_mov_b32_e32 v9, v15
	v_mov_b32_e32 v10, v15
	v_mov_b32_e32 v11, v15
.LBB179_13:                             ; =>This Inner Loop Header: Depth=1
	v_ashrrev_i32_e32 v17, 31, v16
	v_lshl_add_u64 v[20:21], v[16:17], 2, s[6:7]
	global_load_dword v1, v[20:21], off
	v_add_u32_e32 v14, -12, v12
	v_mov_b32_e32 v49, v15
	v_mov_b32_e32 v13, v15
	v_lshl_add_u64 v[32:33], v[14:15], 3, s[8:9]
	v_add_u32_e32 v14, -10, v12
	v_lshl_add_u64 v[34:35], v[12:13], 3, s[8:9]
	v_lshl_add_u64 v[36:37], v[14:15], 3, s[8:9]
	global_load_dwordx4 v[20:23], v[32:33], off
	global_load_dwordx4 v[24:27], v[34:35], off
	;; [unrolled: 1-line block ×3, first 2 shown]
	v_add_u32_e32 v16, 16, v16
	v_cmp_ge_i32_e32 vcc, v16, v18
	s_or_b64 s[14:15], vcc, s[14:15]
	s_waitcnt vmcnt(3)
	v_subrev_u32_e32 v1, s12, v1
	v_mul_lo_u32 v48, v1, 7
	v_lshl_add_u64 v[32:33], v[48:49], 3, s[10:11]
	v_add_u32_e32 v14, 1, v48
	global_load_dwordx2 v[50:51], v[32:33], off
	v_lshl_add_u64 v[32:33], v[14:15], 3, s[10:11]
	v_add_u32_e32 v14, -8, v12
	global_load_dwordx2 v[52:53], v[32:33], off
	v_lshl_add_u64 v[32:33], v[14:15], 3, s[8:9]
	v_add_u32_e32 v14, 2, v48
	v_lshl_add_u64 v[36:37], v[14:15], 3, s[10:11]
	v_add_u32_e32 v14, -6, v12
	global_load_dwordx4 v[32:35], v[32:33], off
	s_waitcnt vmcnt(5)
	v_xor_b32_e32 v62, 0x80000000, v23
	global_load_dwordx2 v[54:55], v[36:37], off
	v_lshl_add_u64 v[36:37], v[14:15], 3, s[8:9]
	v_add_u32_e32 v14, 3, v48
	v_lshl_add_u64 v[40:41], v[14:15], 3, s[10:11]
	v_add_u32_e32 v14, -4, v12
	global_load_dwordx4 v[36:39], v[36:37], off
	v_mov_b32_e32 v63, v22
	global_load_dwordx2 v[56:57], v[40:41], off
	v_lshl_add_u64 v[40:41], v[14:15], 3, s[8:9]
	v_add_u32_e32 v14, 4, v48
	v_lshl_add_u64 v[44:45], v[14:15], 3, s[10:11]
	v_add_u32_e32 v14, -2, v12
	global_load_dwordx4 v[40:43], v[40:41], off
	s_waitcnt vmcnt(7)
	v_xor_b32_e32 v66, 0x80000000, v31
	global_load_dwordx2 v[58:59], v[44:45], off
	v_lshl_add_u64 v[44:45], v[14:15], 3, s[8:9]
	v_add_u32_e32 v14, 5, v48
	v_lshl_add_u64 v[60:61], v[14:15], 3, s[10:11]
	global_load_dwordx4 v[44:47], v[44:45], off
	v_add_u32_e32 v14, 6, v48
	global_load_dwordx2 v[48:49], v[60:61], off
	v_lshl_add_u64 v[60:61], v[14:15], 3, s[10:11]
	global_load_dwordx2 v[60:61], v[60:61], off
	v_mov_b32_e32 v67, v30
	v_xor_b32_e32 v64, 0x80000000, v27
	v_mov_b32_e32 v65, v26
	v_add_u32_e32 v12, 0xe0, v12
	s_waitcnt vmcnt(10)
	v_pk_fma_f32 v[10:11], v[20:21], v[50:51], v[10:11] op_sel_hi:[1,0,1]
	v_pk_fma_f32 v[8:9], v[22:23], v[50:51], v[8:9] op_sel_hi:[1,0,1]
	v_pk_fma_f32 v[10:11], v[20:21], v[50:51], v[10:11] op_sel:[1,1,0] op_sel_hi:[0,1,1] neg_lo:[1,0,0]
	v_pk_fma_f32 v[8:9], v[62:63], v[50:51], v[8:9] op_sel:[0,1,0]
	s_waitcnt vmcnt(9)
	v_pk_fma_f32 v[10:11], v[28:29], v[52:53], v[10:11] op_sel_hi:[1,0,1]
	v_pk_fma_f32 v[8:9], v[30:31], v[52:53], v[8:9] op_sel_hi:[1,0,1]
	v_pk_fma_f32 v[10:11], v[28:29], v[52:53], v[10:11] op_sel:[1,1,0] op_sel_hi:[0,1,1] neg_lo:[1,0,0]
	v_pk_fma_f32 v[8:9], v[66:67], v[52:53], v[8:9] op_sel:[0,1,0]
	s_waitcnt vmcnt(8)
	v_xor_b32_e32 v20, 0x80000000, v35
	v_mov_b32_e32 v21, v34
	s_waitcnt vmcnt(7)
	v_pk_fma_f32 v[10:11], v[32:33], v[54:55], v[10:11] op_sel_hi:[1,0,1]
	v_pk_fma_f32 v[8:9], v[34:35], v[54:55], v[8:9] op_sel_hi:[1,0,1]
	v_pk_fma_f32 v[10:11], v[32:33], v[54:55], v[10:11] op_sel:[1,1,0] op_sel_hi:[0,1,1] neg_lo:[1,0,0]
	v_pk_fma_f32 v[8:9], v[20:21], v[54:55], v[8:9] op_sel:[0,1,0]
	s_waitcnt vmcnt(6)
	v_xor_b32_e32 v22, 0x80000000, v39
	v_mov_b32_e32 v23, v38
	;; [unrolled: 8-line block ×4, first 2 shown]
	s_waitcnt vmcnt(1)
	v_pk_fma_f32 v[10:11], v[44:45], v[48:49], v[10:11] op_sel_hi:[1,0,1]
	v_pk_fma_f32 v[8:9], v[46:47], v[48:49], v[8:9] op_sel_hi:[1,0,1]
	v_pk_fma_f32 v[10:11], v[44:45], v[48:49], v[10:11] op_sel:[1,1,0] op_sel_hi:[0,1,1] neg_lo:[1,0,0]
	v_pk_fma_f32 v[8:9], v[22:23], v[48:49], v[8:9] op_sel:[0,1,0]
	s_waitcnt vmcnt(0)
	v_pk_fma_f32 v[10:11], v[24:25], v[60:61], v[10:11] op_sel_hi:[1,0,1]
	v_pk_fma_f32 v[8:9], v[26:27], v[60:61], v[8:9] op_sel_hi:[1,0,1]
	v_pk_fma_f32 v[10:11], v[24:25], v[60:61], v[10:11] op_sel:[1,1,0] op_sel_hi:[0,1,1] neg_lo:[1,0,0]
	v_pk_fma_f32 v[8:9], v[64:65], v[60:61], v[8:9] op_sel:[0,1,0]
	s_andn2_b64 exec, exec, s[14:15]
	s_cbranch_execnz .LBB179_13
; %bb.14:
	s_or_b64 exec, exec, s[14:15]
.LBB179_15:
	s_or_b64 exec, exec, s[4:5]
	s_cbranch_execz .LBB179_19
	s_branch .LBB179_24
.LBB179_16:
	v_mov_b64_e32 v[4:5], s[8:9]
	flat_load_dword v3, v[4:5] offset:4
	s_and_b64 vcc, exec, s[4:5]
	v_mov_b32_e32 v4, s6
	s_cbranch_vccnz .LBB179_4
.LBB179_17:
	v_mov_b64_e32 v[4:5], s[6:7]
	flat_load_dword v4, v[4:5]
	s_and_b64 vcc, exec, s[4:5]
	v_mov_b32_e32 v5, s7
	s_cbranch_vccz .LBB179_5
	s_branch .LBB179_6
.LBB179_18:
                                        ; implicit-def: $vgpr11
                                        ; implicit-def: $vgpr9
.LBB179_19:
	v_mov_b32_e32 v11, 0
	v_mov_b32_e32 v10, v11
	v_mov_b32_e32 v9, v11
	v_mov_b32_e32 v8, v11
	s_and_saveexec_b64 s[4:5], s[2:3]
	s_cbranch_execz .LBB179_23
; %bb.20:
	v_mad_u64_u32 v[12:13], s[2:3], v0, 14, 13
	v_mov_b32_e32 v15, 0
	s_mov_b64 s[2:3], 0
	v_mov_b32_e32 v8, v15
	v_mov_b32_e32 v9, v15
	;; [unrolled: 1-line block ×4, first 2 shown]
.LBB179_21:                             ; =>This Inner Loop Header: Depth=1
	v_ashrrev_i32_e32 v1, 31, v0
	v_lshl_add_u64 v[16:17], v[0:1], 2, s[6:7]
	global_load_dword v1, v[16:17], off
	v_add_u32_e32 v14, -13, v12
	v_add_u32_e32 v16, -6, v12
	v_mov_b32_e32 v17, v15
	v_mov_b32_e32 v13, v15
	v_lshl_add_u64 v[26:27], v[14:15], 3, s[8:9]
	v_lshl_add_u64 v[16:17], v[16:17], 3, s[8:9]
	;; [unrolled: 1-line block ×3, first 2 shown]
	global_load_dwordx4 v[20:23], v[26:27], off
	global_load_dwordx2 v[30:31], v[16:17], off
	global_load_dwordx2 v[32:33], v[28:29], off
	v_mov_b32_e32 v25, v15
	v_add_u32_e32 v0, 16, v0
	v_cmp_ge_i32_e32 vcc, v0, v18
	s_or_b64 s[2:3], vcc, s[2:3]
	s_waitcnt vmcnt(3)
	v_subrev_u32_e32 v1, s12, v1
	v_mul_lo_u32 v24, v1, 7
	v_add_u32_e32 v14, 1, v24
	v_lshl_add_u64 v[26:27], v[14:15], 3, s[10:11]
	v_add_u32_e32 v14, -5, v12
	v_lshl_add_u64 v[28:29], v[14:15], 3, s[8:9]
	v_add_u32_e32 v14, -11, v12
	v_lshl_add_u64 v[34:35], v[14:15], 3, s[8:9]
	v_add_u32_e32 v14, 2, v24
	v_lshl_add_u64 v[16:17], v[24:25], 3, s[10:11]
	v_lshl_add_u64 v[36:37], v[14:15], 3, s[10:11]
	v_add_u32_e32 v14, -4, v12
	global_load_dwordx2 v[16:17], v[16:17], off
	s_nop 0
	global_load_dwordx2 v[26:27], v[26:27], off
	s_waitcnt vmcnt(1)
	v_pk_fma_f32 v[10:11], v[20:21], v[16:17], v[10:11] op_sel_hi:[1,0,1]
	global_load_dwordx2 v[28:29], v[28:29], off
	s_nop 0
	global_load_dwordx2 v[38:39], v[34:35], off
	global_load_dwordx2 v[40:41], v[36:37], off
	v_lshl_add_u64 v[34:35], v[14:15], 3, s[8:9]
	v_add_u32_e32 v14, -10, v12
	v_lshl_add_u64 v[36:37], v[14:15], 3, s[8:9]
	v_add_u32_e32 v14, 3, v24
	v_lshl_add_u64 v[42:43], v[14:15], 3, s[10:11]
	v_add_u32_e32 v14, -3, v12
	global_load_dwordx2 v[44:45], v[36:37], off
	global_load_dwordx2 v[46:47], v[34:35], off
	global_load_dwordx2 v[48:49], v[42:43], off
	v_lshl_add_u64 v[34:35], v[14:15], 3, s[8:9]
	v_add_u32_e32 v14, -9, v12
	v_lshl_add_u64 v[36:37], v[14:15], 3, s[8:9]
	v_add_u32_e32 v14, 4, v24
	v_lshl_add_u64 v[42:43], v[14:15], 3, s[10:11]
	v_add_u32_e32 v14, -2, v12
	global_load_dwordx2 v[50:51], v[36:37], off
	;; [unrolled: 9-line block ×3, first 2 shown]
	global_load_dwordx2 v[58:59], v[34:35], off
	global_load_dwordx2 v[60:61], v[42:43], off
	v_lshl_add_u64 v[34:35], v[14:15], 3, s[8:9]
	v_add_u32_e32 v14, -7, v12
	v_lshl_add_u64 v[36:37], v[14:15], 3, s[8:9]
	v_add_u32_e32 v14, 6, v24
	v_lshl_add_u64 v[24:25], v[14:15], 3, s[10:11]
	global_load_dwordx2 v[42:43], v[36:37], off
	global_load_dwordx2 v[62:63], v[34:35], off
	;; [unrolled: 1-line block ×3, first 2 shown]
	v_pk_fma_f32 v[8:9], v[30:31], v[16:17], v[8:9] op_sel_hi:[1,0,1]
	v_pk_fma_f32 v[10:11], v[20:21], v[16:17], v[10:11] op_sel:[1,1,0] op_sel_hi:[0,1,1] neg_lo:[1,0,0]
	v_pk_fma_f32 v[8:9], v[30:31], v[16:17], v[8:9] op_sel:[1,1,0] op_sel_hi:[0,1,1] neg_lo:[1,0,0]
	v_xor_b32_e32 v24, 0x80000000, v23
	v_mov_b32_e32 v25, v22
	s_waitcnt vmcnt(15)
	v_pk_fma_f32 v[10:11], v[22:23], v[26:27], v[10:11] op_sel_hi:[1,0,1]
	v_add_u32_e32 v12, 0xe0, v12
	v_pk_fma_f32 v[10:11], v[24:25], v[26:27], v[10:11] op_sel:[0,1,0]
	s_waitcnt vmcnt(14)
	v_pk_fma_f32 v[8:9], v[28:29], v[26:27], v[8:9] op_sel_hi:[1,0,1]
	s_nop 0
	v_pk_fma_f32 v[8:9], v[28:29], v[26:27], v[8:9] op_sel:[1,1,0] op_sel_hi:[0,1,1] neg_lo:[1,0,0]
	s_waitcnt vmcnt(12)
	v_pk_fma_f32 v[10:11], v[38:39], v[40:41], v[10:11] op_sel_hi:[1,0,1]
	s_waitcnt vmcnt(10)
	v_pk_fma_f32 v[8:9], v[46:47], v[40:41], v[8:9] op_sel_hi:[1,0,1]
	v_pk_fma_f32 v[10:11], v[38:39], v[40:41], v[10:11] op_sel:[1,1,0] op_sel_hi:[0,1,1] neg_lo:[1,0,0]
	v_pk_fma_f32 v[8:9], v[46:47], v[40:41], v[8:9] op_sel:[1,1,0] op_sel_hi:[0,1,1] neg_lo:[1,0,0]
	s_waitcnt vmcnt(9)
	v_pk_fma_f32 v[10:11], v[44:45], v[48:49], v[10:11] op_sel_hi:[1,0,1]
	s_waitcnt vmcnt(7)
	v_pk_fma_f32 v[8:9], v[52:53], v[48:49], v[8:9] op_sel_hi:[1,0,1]
	v_pk_fma_f32 v[10:11], v[44:45], v[48:49], v[10:11] op_sel:[1,1,0] op_sel_hi:[0,1,1] neg_lo:[1,0,0]
	;; [unrolled: 6-line block ×4, first 2 shown]
	v_pk_fma_f32 v[8:9], v[62:63], v[60:61], v[8:9] op_sel:[1,1,0] op_sel_hi:[0,1,1] neg_lo:[1,0,0]
	s_waitcnt vmcnt(0)
	v_pk_fma_f32 v[10:11], v[42:43], v[64:65], v[10:11] op_sel_hi:[1,0,1]
	v_pk_fma_f32 v[8:9], v[32:33], v[64:65], v[8:9] op_sel_hi:[1,0,1]
	v_pk_fma_f32 v[10:11], v[42:43], v[64:65], v[10:11] op_sel:[1,1,0] op_sel_hi:[0,1,1] neg_lo:[1,0,0]
	v_pk_fma_f32 v[8:9], v[32:33], v[64:65], v[8:9] op_sel:[1,1,0] op_sel_hi:[0,1,1] neg_lo:[1,0,0]
	s_andn2_b64 exec, exec, s[2:3]
	s_cbranch_execnz .LBB179_21
; %bb.22:
	s_or_b64 exec, exec, s[2:3]
.LBB179_23:
	s_or_b64 exec, exec, s[4:5]
.LBB179_24:
	v_mov_b32_dpp v12, v8 row_shr:1 row_mask:0xf bank_mask:0xf
	v_add_f32_e32 v8, v8, v12
	v_mov_b32_dpp v0, v10 row_shr:1 row_mask:0xf bank_mask:0xf
	v_add_f32_e32 v0, v10, v0
	;; [unrolled: 2-line block ×6, first 2 shown]
	v_mov_b32_dpp v1, v0 row_shr:2 row_mask:0xf bank_mask:0xf
	v_mov_b32_dpp v11, v10 row_shr:2 row_mask:0xf bank_mask:0xf
	;; [unrolled: 1-line block ×3, first 2 shown]
	v_add_f32_e32 v0, v0, v1
	v_add_f32_e32 v10, v10, v11
	;; [unrolled: 1-line block ×3, first 2 shown]
	v_mov_b32_dpp v1, v0 row_shr:4 row_mask:0xf bank_mask:0xe
	v_mov_b32_dpp v11, v10 row_shr:4 row_mask:0xf bank_mask:0xe
	;; [unrolled: 1-line block ×3, first 2 shown]
	v_add_f32_e32 v0, v0, v1
	v_add_f32_e32 v10, v10, v11
	;; [unrolled: 1-line block ×3, first 2 shown]
	v_mov_b32_dpp v1, v0 row_shr:8 row_mask:0xf bank_mask:0xc
	v_mov_b32_dpp v11, v10 row_shr:8 row_mask:0xf bank_mask:0xc
	;; [unrolled: 1-line block ×4, first 2 shown]
	v_cmp_eq_u32_e32 vcc, 15, v7
	s_and_b64 exec, exec, vcc
	s_cbranch_execz .LBB179_29
; %bb.25:
	s_load_dwordx2 s[2:3], s[0:1], 0x38
	v_add_f32_e32 v8, v0, v1
	v_and_b32_e32 v1, 0x7fffffff, v4
	v_cmp_eq_u32_e32 vcc, 0, v1
	v_cmp_eq_f32_e64 s[0:1], 0, v5
	v_add_f32_e32 v12, v10, v11
	v_add_f32_e32 v0, v13, v14
	;; [unrolled: 1-line block ×3, first 2 shown]
	s_and_b64 s[0:1], vcc, s[0:1]
	s_and_saveexec_b64 s[4:5], s[0:1]
	s_xor_b64 s[0:1], exec, s[4:5]
	s_cbranch_execz .LBB179_27
; %bb.26:
	v_lshlrev_b32_e32 v4, 1, v6
	v_xor_b32_e32 v14, 0x80000000, v3
	v_ashrrev_i32_e32 v5, 31, v4
	v_mov_b32_e32 v15, v2
	s_waitcnt lgkmcnt(0)
	v_lshl_add_u64 v[16:17], v[4:5], 3, s[2:3]
	v_pk_mul_f32 v[4:5], v[12:13], v[14:15] op_sel_hi:[0,1]
	v_pk_mul_f32 v[6:7], v[10:11], v[14:15] op_sel_hi:[0,1]
	v_pk_fma_f32 v[4:5], v[2:3], v[8:9], v[4:5] op_sel_hi:[1,0,1]
	v_pk_fma_f32 v[6:7], v[2:3], v[0:1], v[6:7] op_sel_hi:[1,0,1]
	global_store_dwordx4 v[16:17], v[4:7], off
                                        ; implicit-def: $vgpr3
                                        ; implicit-def: $vgpr4
                                        ; implicit-def: $vgpr6
                                        ; implicit-def: $vgpr8
                                        ; implicit-def: $vgpr12
                                        ; implicit-def: $vgpr0
                                        ; implicit-def: $vgpr10
.LBB179_27:
	s_andn2_saveexec_b64 s[0:1], s[0:1]
	s_cbranch_execz .LBB179_29
; %bb.28:
	v_lshlrev_b32_e32 v6, 1, v6
	v_ashrrev_i32_e32 v7, 31, v6
	s_waitcnt lgkmcnt(0)
	v_lshl_add_u64 v[6:7], v[6:7], 3, s[2:3]
	global_load_dwordx4 v[14:17], v[6:7], off
	v_xor_b32_e32 v18, 0x80000000, v3
	v_mov_b32_e32 v19, v2
	v_pk_mul_f32 v[12:13], v[12:13], v[18:19] op_sel_hi:[0,1]
	v_pk_mul_f32 v[10:11], v[10:11], v[18:19] op_sel_hi:[0,1]
	v_pk_fma_f32 v[8:9], v[2:3], v[8:9], v[12:13] op_sel_hi:[1,0,1]
	v_pk_fma_f32 v[0:1], v[2:3], v[0:1], v[10:11] op_sel_hi:[1,0,1]
	v_xor_b32_e32 v20, 0x80000000, v5
	v_mov_b32_e32 v21, v4
	s_waitcnt vmcnt(0)
	v_pk_fma_f32 v[2:3], v[4:5], v[14:15], v[8:9] op_sel_hi:[1,0,1]
	v_pk_fma_f32 v[4:5], v[4:5], v[16:17], v[0:1] op_sel_hi:[1,0,1]
	v_mov_b32_e32 v8, v17
	v_pk_fma_f32 v[0:1], v[20:21], v[14:15], v[2:3] op_sel:[0,1,0]
	v_pk_fma_f32 v[2:3], v[20:21], v[8:9], v[4:5] op_sel_hi:[1,0,1]
	global_store_dwordx4 v[6:7], v[0:3], off
.LBB179_29:
	s_endpgm
	.section	.rodata,"a",@progbits
	.p2align	6, 0x0
	.amdhsa_kernel _ZN9rocsparseL19gebsrmvn_2xn_kernelILj128ELj7ELj16E21rocsparse_complex_numIfEEEvi20rocsparse_direction_NS_24const_host_device_scalarIT2_EEPKiS8_PKS5_SA_S6_PS5_21rocsparse_index_base_b
		.amdhsa_group_segment_fixed_size 0
		.amdhsa_private_segment_fixed_size 0
		.amdhsa_kernarg_size 72
		.amdhsa_user_sgpr_count 2
		.amdhsa_user_sgpr_dispatch_ptr 0
		.amdhsa_user_sgpr_queue_ptr 0
		.amdhsa_user_sgpr_kernarg_segment_ptr 1
		.amdhsa_user_sgpr_dispatch_id 0
		.amdhsa_user_sgpr_kernarg_preload_length 0
		.amdhsa_user_sgpr_kernarg_preload_offset 0
		.amdhsa_user_sgpr_private_segment_size 0
		.amdhsa_uses_dynamic_stack 0
		.amdhsa_enable_private_segment 0
		.amdhsa_system_sgpr_workgroup_id_x 1
		.amdhsa_system_sgpr_workgroup_id_y 0
		.amdhsa_system_sgpr_workgroup_id_z 0
		.amdhsa_system_sgpr_workgroup_info 0
		.amdhsa_system_vgpr_workitem_id 0
		.amdhsa_next_free_vgpr 68
		.amdhsa_next_free_sgpr 16
		.amdhsa_accum_offset 68
		.amdhsa_reserve_vcc 1
		.amdhsa_float_round_mode_32 0
		.amdhsa_float_round_mode_16_64 0
		.amdhsa_float_denorm_mode_32 3
		.amdhsa_float_denorm_mode_16_64 3
		.amdhsa_dx10_clamp 1
		.amdhsa_ieee_mode 1
		.amdhsa_fp16_overflow 0
		.amdhsa_tg_split 0
		.amdhsa_exception_fp_ieee_invalid_op 0
		.amdhsa_exception_fp_denorm_src 0
		.amdhsa_exception_fp_ieee_div_zero 0
		.amdhsa_exception_fp_ieee_overflow 0
		.amdhsa_exception_fp_ieee_underflow 0
		.amdhsa_exception_fp_ieee_inexact 0
		.amdhsa_exception_int_div_zero 0
	.end_amdhsa_kernel
	.section	.text._ZN9rocsparseL19gebsrmvn_2xn_kernelILj128ELj7ELj16E21rocsparse_complex_numIfEEEvi20rocsparse_direction_NS_24const_host_device_scalarIT2_EEPKiS8_PKS5_SA_S6_PS5_21rocsparse_index_base_b,"axG",@progbits,_ZN9rocsparseL19gebsrmvn_2xn_kernelILj128ELj7ELj16E21rocsparse_complex_numIfEEEvi20rocsparse_direction_NS_24const_host_device_scalarIT2_EEPKiS8_PKS5_SA_S6_PS5_21rocsparse_index_base_b,comdat
.Lfunc_end179:
	.size	_ZN9rocsparseL19gebsrmvn_2xn_kernelILj128ELj7ELj16E21rocsparse_complex_numIfEEEvi20rocsparse_direction_NS_24const_host_device_scalarIT2_EEPKiS8_PKS5_SA_S6_PS5_21rocsparse_index_base_b, .Lfunc_end179-_ZN9rocsparseL19gebsrmvn_2xn_kernelILj128ELj7ELj16E21rocsparse_complex_numIfEEEvi20rocsparse_direction_NS_24const_host_device_scalarIT2_EEPKiS8_PKS5_SA_S6_PS5_21rocsparse_index_base_b
                                        ; -- End function
	.section	.AMDGPU.csdata,"",@progbits
; Kernel info:
; codeLenInByte = 2432
; NumSgprs: 22
; NumVgprs: 68
; NumAgprs: 0
; TotalNumVgprs: 68
; ScratchSize: 0
; MemoryBound: 0
; FloatMode: 240
; IeeeMode: 1
; LDSByteSize: 0 bytes/workgroup (compile time only)
; SGPRBlocks: 2
; VGPRBlocks: 8
; NumSGPRsForWavesPerEU: 22
; NumVGPRsForWavesPerEU: 68
; AccumOffset: 68
; Occupancy: 7
; WaveLimiterHint : 1
; COMPUTE_PGM_RSRC2:SCRATCH_EN: 0
; COMPUTE_PGM_RSRC2:USER_SGPR: 2
; COMPUTE_PGM_RSRC2:TRAP_HANDLER: 0
; COMPUTE_PGM_RSRC2:TGID_X_EN: 1
; COMPUTE_PGM_RSRC2:TGID_Y_EN: 0
; COMPUTE_PGM_RSRC2:TGID_Z_EN: 0
; COMPUTE_PGM_RSRC2:TIDIG_COMP_CNT: 0
; COMPUTE_PGM_RSRC3_GFX90A:ACCUM_OFFSET: 16
; COMPUTE_PGM_RSRC3_GFX90A:TG_SPLIT: 0
	.section	.text._ZN9rocsparseL19gebsrmvn_2xn_kernelILj128ELj7ELj32E21rocsparse_complex_numIfEEEvi20rocsparse_direction_NS_24const_host_device_scalarIT2_EEPKiS8_PKS5_SA_S6_PS5_21rocsparse_index_base_b,"axG",@progbits,_ZN9rocsparseL19gebsrmvn_2xn_kernelILj128ELj7ELj32E21rocsparse_complex_numIfEEEvi20rocsparse_direction_NS_24const_host_device_scalarIT2_EEPKiS8_PKS5_SA_S6_PS5_21rocsparse_index_base_b,comdat
	.globl	_ZN9rocsparseL19gebsrmvn_2xn_kernelILj128ELj7ELj32E21rocsparse_complex_numIfEEEvi20rocsparse_direction_NS_24const_host_device_scalarIT2_EEPKiS8_PKS5_SA_S6_PS5_21rocsparse_index_base_b ; -- Begin function _ZN9rocsparseL19gebsrmvn_2xn_kernelILj128ELj7ELj32E21rocsparse_complex_numIfEEEvi20rocsparse_direction_NS_24const_host_device_scalarIT2_EEPKiS8_PKS5_SA_S6_PS5_21rocsparse_index_base_b
	.p2align	8
	.type	_ZN9rocsparseL19gebsrmvn_2xn_kernelILj128ELj7ELj32E21rocsparse_complex_numIfEEEvi20rocsparse_direction_NS_24const_host_device_scalarIT2_EEPKiS8_PKS5_SA_S6_PS5_21rocsparse_index_base_b,@function
_ZN9rocsparseL19gebsrmvn_2xn_kernelILj128ELj7ELj32E21rocsparse_complex_numIfEEEvi20rocsparse_direction_NS_24const_host_device_scalarIT2_EEPKiS8_PKS5_SA_S6_PS5_21rocsparse_index_base_b: ; @_ZN9rocsparseL19gebsrmvn_2xn_kernelILj128ELj7ELj32E21rocsparse_complex_numIfEEEvi20rocsparse_direction_NS_24const_host_device_scalarIT2_EEPKiS8_PKS5_SA_S6_PS5_21rocsparse_index_base_b
; %bb.0:
	s_load_dwordx2 s[12:13], s[0:1], 0x40
	s_load_dwordx2 s[8:9], s[0:1], 0x8
	;; [unrolled: 1-line block ×3, first 2 shown]
	s_waitcnt lgkmcnt(0)
	s_bitcmp1_b32 s13, 0
	s_cselect_b64 s[4:5], -1, 0
	s_xor_b64 s[10:11], s[4:5], -1
	s_and_b64 vcc, exec, s[4:5]
	v_mov_b32_e32 v2, s8
	s_cbranch_vccnz .LBB180_2
; %bb.1:
	v_mov_b64_e32 v[2:3], s[8:9]
	flat_load_dword v2, v[2:3]
.LBB180_2:
	v_cndmask_b32_e64 v1, 0, 1, s[10:11]
	v_cmp_ne_u32_e64 s[4:5], 1, v1
	s_andn2_b64 vcc, exec, s[10:11]
	v_mov_b32_e32 v3, s9
	s_cbranch_vccz .LBB180_16
; %bb.3:
	s_and_b64 vcc, exec, s[4:5]
	v_mov_b32_e32 v4, s6
	s_cbranch_vccz .LBB180_17
.LBB180_4:
	s_and_b64 vcc, exec, s[4:5]
	v_mov_b32_e32 v5, s7
	s_cbranch_vccnz .LBB180_6
.LBB180_5:
	v_mov_b64_e32 v[6:7], s[6:7]
	flat_load_dword v5, v[6:7] offset:4
.LBB180_6:
	s_waitcnt vmcnt(0) lgkmcnt(0)
	v_and_b32_e32 v1, 0x7fffffff, v2
	v_cmp_eq_u32_e32 vcc, 0, v1
	v_cmp_eq_f32_e64 s[4:5], 0, v3
	s_and_b64 s[8:9], vcc, s[4:5]
	s_mov_b64 s[4:5], -1
	s_and_saveexec_b64 s[6:7], s[8:9]
; %bb.7:
	v_and_b32_e32 v1, 0x7fffffff, v5
	v_cmp_neq_f32_e32 vcc, 1.0, v4
	v_cmp_ne_u32_e64 s[4:5], 0, v1
	s_or_b64 s[4:5], vcc, s[4:5]
	s_orn2_b64 s[4:5], s[4:5], exec
; %bb.8:
	s_or_b64 exec, exec, s[6:7]
	s_and_saveexec_b64 s[6:7], s[4:5]
	s_cbranch_execz .LBB180_29
; %bb.9:
	s_load_dwordx2 s[14:15], s[0:1], 0x0
	v_lshrrev_b32_e32 v1, 5, v0
	v_lshl_or_b32 v6, s2, 2, v1
	s_waitcnt lgkmcnt(0)
	v_cmp_gt_i32_e32 vcc, s14, v6
	s_and_b64 exec, exec, vcc
	s_cbranch_execz .LBB180_29
; %bb.10:
	s_load_dwordx8 s[4:11], s[0:1], 0x10
	v_ashrrev_i32_e32 v7, 31, v6
	s_cmp_lg_u32 s15, 0
	s_waitcnt lgkmcnt(0)
	v_lshl_add_u64 v[8:9], v[6:7], 2, s[4:5]
	global_load_dwordx2 v[8:9], v[8:9], off
	v_and_b32_e32 v7, 31, v0
	s_waitcnt vmcnt(0)
	v_subrev_u32_e32 v0, s12, v8
	v_subrev_u32_e32 v18, s12, v9
	v_add_u32_e32 v0, v0, v7
	v_cmp_lt_i32_e64 s[2:3], v0, v18
	s_cbranch_scc0 .LBB180_18
; %bb.11:
	v_mov_b32_e32 v11, 0
	v_mov_b32_e32 v10, v11
	;; [unrolled: 1-line block ×4, first 2 shown]
	s_and_saveexec_b64 s[4:5], s[2:3]
	s_cbranch_execz .LBB180_15
; %bb.12:
	v_mad_u64_u32 v[12:13], s[14:15], v0, 14, 12
	v_mov_b32_e32 v15, 0
	s_mov_b64 s[14:15], 0
	v_mov_b32_e32 v16, v0
	v_mov_b32_e32 v8, v15
	;; [unrolled: 1-line block ×5, first 2 shown]
.LBB180_13:                             ; =>This Inner Loop Header: Depth=1
	v_ashrrev_i32_e32 v17, 31, v16
	v_lshl_add_u64 v[20:21], v[16:17], 2, s[6:7]
	global_load_dword v1, v[20:21], off
	v_add_u32_e32 v14, -12, v12
	v_mov_b32_e32 v49, v15
	v_mov_b32_e32 v13, v15
	v_lshl_add_u64 v[32:33], v[14:15], 3, s[8:9]
	v_add_u32_e32 v14, -10, v12
	v_lshl_add_u64 v[34:35], v[12:13], 3, s[8:9]
	v_lshl_add_u64 v[36:37], v[14:15], 3, s[8:9]
	global_load_dwordx4 v[20:23], v[32:33], off
	global_load_dwordx4 v[24:27], v[34:35], off
	;; [unrolled: 1-line block ×3, first 2 shown]
	v_add_u32_e32 v16, 32, v16
	v_cmp_ge_i32_e32 vcc, v16, v18
	s_or_b64 s[14:15], vcc, s[14:15]
	s_waitcnt vmcnt(3)
	v_subrev_u32_e32 v1, s12, v1
	v_mul_lo_u32 v48, v1, 7
	v_lshl_add_u64 v[32:33], v[48:49], 3, s[10:11]
	v_add_u32_e32 v14, 1, v48
	global_load_dwordx2 v[50:51], v[32:33], off
	v_lshl_add_u64 v[32:33], v[14:15], 3, s[10:11]
	v_add_u32_e32 v14, -8, v12
	global_load_dwordx2 v[52:53], v[32:33], off
	v_lshl_add_u64 v[32:33], v[14:15], 3, s[8:9]
	v_add_u32_e32 v14, 2, v48
	v_lshl_add_u64 v[36:37], v[14:15], 3, s[10:11]
	v_add_u32_e32 v14, -6, v12
	global_load_dwordx4 v[32:35], v[32:33], off
	s_waitcnt vmcnt(5)
	v_xor_b32_e32 v62, 0x80000000, v23
	global_load_dwordx2 v[54:55], v[36:37], off
	v_lshl_add_u64 v[36:37], v[14:15], 3, s[8:9]
	v_add_u32_e32 v14, 3, v48
	v_lshl_add_u64 v[40:41], v[14:15], 3, s[10:11]
	v_add_u32_e32 v14, -4, v12
	global_load_dwordx4 v[36:39], v[36:37], off
	v_mov_b32_e32 v63, v22
	global_load_dwordx2 v[56:57], v[40:41], off
	v_lshl_add_u64 v[40:41], v[14:15], 3, s[8:9]
	v_add_u32_e32 v14, 4, v48
	v_lshl_add_u64 v[44:45], v[14:15], 3, s[10:11]
	v_add_u32_e32 v14, -2, v12
	global_load_dwordx4 v[40:43], v[40:41], off
	s_waitcnt vmcnt(7)
	v_xor_b32_e32 v66, 0x80000000, v31
	global_load_dwordx2 v[58:59], v[44:45], off
	v_lshl_add_u64 v[44:45], v[14:15], 3, s[8:9]
	v_add_u32_e32 v14, 5, v48
	v_lshl_add_u64 v[60:61], v[14:15], 3, s[10:11]
	global_load_dwordx4 v[44:47], v[44:45], off
	v_add_u32_e32 v14, 6, v48
	global_load_dwordx2 v[48:49], v[60:61], off
	v_lshl_add_u64 v[60:61], v[14:15], 3, s[10:11]
	global_load_dwordx2 v[60:61], v[60:61], off
	v_mov_b32_e32 v67, v30
	v_xor_b32_e32 v64, 0x80000000, v27
	v_mov_b32_e32 v65, v26
	v_add_u32_e32 v12, 0x1c0, v12
	s_waitcnt vmcnt(10)
	v_pk_fma_f32 v[10:11], v[20:21], v[50:51], v[10:11] op_sel_hi:[1,0,1]
	v_pk_fma_f32 v[8:9], v[22:23], v[50:51], v[8:9] op_sel_hi:[1,0,1]
	v_pk_fma_f32 v[10:11], v[20:21], v[50:51], v[10:11] op_sel:[1,1,0] op_sel_hi:[0,1,1] neg_lo:[1,0,0]
	v_pk_fma_f32 v[8:9], v[62:63], v[50:51], v[8:9] op_sel:[0,1,0]
	s_waitcnt vmcnt(9)
	v_pk_fma_f32 v[10:11], v[28:29], v[52:53], v[10:11] op_sel_hi:[1,0,1]
	v_pk_fma_f32 v[8:9], v[30:31], v[52:53], v[8:9] op_sel_hi:[1,0,1]
	v_pk_fma_f32 v[10:11], v[28:29], v[52:53], v[10:11] op_sel:[1,1,0] op_sel_hi:[0,1,1] neg_lo:[1,0,0]
	v_pk_fma_f32 v[8:9], v[66:67], v[52:53], v[8:9] op_sel:[0,1,0]
	s_waitcnt vmcnt(8)
	v_xor_b32_e32 v20, 0x80000000, v35
	v_mov_b32_e32 v21, v34
	s_waitcnt vmcnt(7)
	v_pk_fma_f32 v[10:11], v[32:33], v[54:55], v[10:11] op_sel_hi:[1,0,1]
	v_pk_fma_f32 v[8:9], v[34:35], v[54:55], v[8:9] op_sel_hi:[1,0,1]
	v_pk_fma_f32 v[10:11], v[32:33], v[54:55], v[10:11] op_sel:[1,1,0] op_sel_hi:[0,1,1] neg_lo:[1,0,0]
	v_pk_fma_f32 v[8:9], v[20:21], v[54:55], v[8:9] op_sel:[0,1,0]
	s_waitcnt vmcnt(6)
	v_xor_b32_e32 v22, 0x80000000, v39
	v_mov_b32_e32 v23, v38
	;; [unrolled: 8-line block ×4, first 2 shown]
	s_waitcnt vmcnt(1)
	v_pk_fma_f32 v[10:11], v[44:45], v[48:49], v[10:11] op_sel_hi:[1,0,1]
	v_pk_fma_f32 v[8:9], v[46:47], v[48:49], v[8:9] op_sel_hi:[1,0,1]
	v_pk_fma_f32 v[10:11], v[44:45], v[48:49], v[10:11] op_sel:[1,1,0] op_sel_hi:[0,1,1] neg_lo:[1,0,0]
	v_pk_fma_f32 v[8:9], v[22:23], v[48:49], v[8:9] op_sel:[0,1,0]
	s_waitcnt vmcnt(0)
	v_pk_fma_f32 v[10:11], v[24:25], v[60:61], v[10:11] op_sel_hi:[1,0,1]
	v_pk_fma_f32 v[8:9], v[26:27], v[60:61], v[8:9] op_sel_hi:[1,0,1]
	v_pk_fma_f32 v[10:11], v[24:25], v[60:61], v[10:11] op_sel:[1,1,0] op_sel_hi:[0,1,1] neg_lo:[1,0,0]
	v_pk_fma_f32 v[8:9], v[64:65], v[60:61], v[8:9] op_sel:[0,1,0]
	s_andn2_b64 exec, exec, s[14:15]
	s_cbranch_execnz .LBB180_13
; %bb.14:
	s_or_b64 exec, exec, s[14:15]
.LBB180_15:
	s_or_b64 exec, exec, s[4:5]
	s_cbranch_execz .LBB180_19
	s_branch .LBB180_24
.LBB180_16:
	v_mov_b64_e32 v[4:5], s[8:9]
	flat_load_dword v3, v[4:5] offset:4
	s_and_b64 vcc, exec, s[4:5]
	v_mov_b32_e32 v4, s6
	s_cbranch_vccnz .LBB180_4
.LBB180_17:
	v_mov_b64_e32 v[4:5], s[6:7]
	flat_load_dword v4, v[4:5]
	s_and_b64 vcc, exec, s[4:5]
	v_mov_b32_e32 v5, s7
	s_cbranch_vccz .LBB180_5
	s_branch .LBB180_6
.LBB180_18:
                                        ; implicit-def: $vgpr11
                                        ; implicit-def: $vgpr9
.LBB180_19:
	v_mov_b32_e32 v11, 0
	v_mov_b32_e32 v10, v11
	;; [unrolled: 1-line block ×4, first 2 shown]
	s_and_saveexec_b64 s[4:5], s[2:3]
	s_cbranch_execz .LBB180_23
; %bb.20:
	v_mad_u64_u32 v[12:13], s[2:3], v0, 14, 13
	v_mov_b32_e32 v15, 0
	s_mov_b64 s[2:3], 0
	v_mov_b32_e32 v8, v15
	v_mov_b32_e32 v9, v15
	v_mov_b32_e32 v10, v15
	v_mov_b32_e32 v11, v15
.LBB180_21:                             ; =>This Inner Loop Header: Depth=1
	v_ashrrev_i32_e32 v1, 31, v0
	v_lshl_add_u64 v[16:17], v[0:1], 2, s[6:7]
	global_load_dword v1, v[16:17], off
	v_add_u32_e32 v14, -13, v12
	v_add_u32_e32 v16, -6, v12
	v_mov_b32_e32 v17, v15
	v_mov_b32_e32 v13, v15
	v_lshl_add_u64 v[26:27], v[14:15], 3, s[8:9]
	v_lshl_add_u64 v[16:17], v[16:17], 3, s[8:9]
	;; [unrolled: 1-line block ×3, first 2 shown]
	global_load_dwordx4 v[20:23], v[26:27], off
	global_load_dwordx2 v[30:31], v[16:17], off
	global_load_dwordx2 v[32:33], v[28:29], off
	v_mov_b32_e32 v25, v15
	v_add_u32_e32 v0, 32, v0
	v_cmp_ge_i32_e32 vcc, v0, v18
	s_or_b64 s[2:3], vcc, s[2:3]
	s_waitcnt vmcnt(3)
	v_subrev_u32_e32 v1, s12, v1
	v_mul_lo_u32 v24, v1, 7
	v_add_u32_e32 v14, 1, v24
	v_lshl_add_u64 v[26:27], v[14:15], 3, s[10:11]
	v_add_u32_e32 v14, -5, v12
	v_lshl_add_u64 v[28:29], v[14:15], 3, s[8:9]
	v_add_u32_e32 v14, -11, v12
	v_lshl_add_u64 v[34:35], v[14:15], 3, s[8:9]
	v_add_u32_e32 v14, 2, v24
	v_lshl_add_u64 v[16:17], v[24:25], 3, s[10:11]
	v_lshl_add_u64 v[36:37], v[14:15], 3, s[10:11]
	v_add_u32_e32 v14, -4, v12
	global_load_dwordx2 v[16:17], v[16:17], off
	s_nop 0
	global_load_dwordx2 v[26:27], v[26:27], off
	s_waitcnt vmcnt(1)
	v_pk_fma_f32 v[10:11], v[20:21], v[16:17], v[10:11] op_sel_hi:[1,0,1]
	global_load_dwordx2 v[28:29], v[28:29], off
	s_nop 0
	global_load_dwordx2 v[38:39], v[34:35], off
	global_load_dwordx2 v[40:41], v[36:37], off
	v_lshl_add_u64 v[34:35], v[14:15], 3, s[8:9]
	v_add_u32_e32 v14, -10, v12
	v_lshl_add_u64 v[36:37], v[14:15], 3, s[8:9]
	v_add_u32_e32 v14, 3, v24
	v_lshl_add_u64 v[42:43], v[14:15], 3, s[10:11]
	v_add_u32_e32 v14, -3, v12
	global_load_dwordx2 v[44:45], v[36:37], off
	global_load_dwordx2 v[46:47], v[34:35], off
	global_load_dwordx2 v[48:49], v[42:43], off
	v_lshl_add_u64 v[34:35], v[14:15], 3, s[8:9]
	v_add_u32_e32 v14, -9, v12
	v_lshl_add_u64 v[36:37], v[14:15], 3, s[8:9]
	v_add_u32_e32 v14, 4, v24
	v_lshl_add_u64 v[42:43], v[14:15], 3, s[10:11]
	v_add_u32_e32 v14, -2, v12
	global_load_dwordx2 v[50:51], v[36:37], off
	;; [unrolled: 9-line block ×3, first 2 shown]
	global_load_dwordx2 v[58:59], v[34:35], off
	global_load_dwordx2 v[60:61], v[42:43], off
	v_lshl_add_u64 v[34:35], v[14:15], 3, s[8:9]
	v_add_u32_e32 v14, -7, v12
	v_lshl_add_u64 v[36:37], v[14:15], 3, s[8:9]
	v_add_u32_e32 v14, 6, v24
	v_lshl_add_u64 v[24:25], v[14:15], 3, s[10:11]
	global_load_dwordx2 v[42:43], v[36:37], off
	global_load_dwordx2 v[62:63], v[34:35], off
	;; [unrolled: 1-line block ×3, first 2 shown]
	v_pk_fma_f32 v[8:9], v[30:31], v[16:17], v[8:9] op_sel_hi:[1,0,1]
	v_pk_fma_f32 v[10:11], v[20:21], v[16:17], v[10:11] op_sel:[1,1,0] op_sel_hi:[0,1,1] neg_lo:[1,0,0]
	v_pk_fma_f32 v[8:9], v[30:31], v[16:17], v[8:9] op_sel:[1,1,0] op_sel_hi:[0,1,1] neg_lo:[1,0,0]
	v_xor_b32_e32 v24, 0x80000000, v23
	v_mov_b32_e32 v25, v22
	s_waitcnt vmcnt(15)
	v_pk_fma_f32 v[10:11], v[22:23], v[26:27], v[10:11] op_sel_hi:[1,0,1]
	v_add_u32_e32 v12, 0x1c0, v12
	v_pk_fma_f32 v[10:11], v[24:25], v[26:27], v[10:11] op_sel:[0,1,0]
	s_waitcnt vmcnt(14)
	v_pk_fma_f32 v[8:9], v[28:29], v[26:27], v[8:9] op_sel_hi:[1,0,1]
	s_nop 0
	v_pk_fma_f32 v[8:9], v[28:29], v[26:27], v[8:9] op_sel:[1,1,0] op_sel_hi:[0,1,1] neg_lo:[1,0,0]
	s_waitcnt vmcnt(12)
	v_pk_fma_f32 v[10:11], v[38:39], v[40:41], v[10:11] op_sel_hi:[1,0,1]
	s_waitcnt vmcnt(10)
	v_pk_fma_f32 v[8:9], v[46:47], v[40:41], v[8:9] op_sel_hi:[1,0,1]
	v_pk_fma_f32 v[10:11], v[38:39], v[40:41], v[10:11] op_sel:[1,1,0] op_sel_hi:[0,1,1] neg_lo:[1,0,0]
	v_pk_fma_f32 v[8:9], v[46:47], v[40:41], v[8:9] op_sel:[1,1,0] op_sel_hi:[0,1,1] neg_lo:[1,0,0]
	s_waitcnt vmcnt(9)
	v_pk_fma_f32 v[10:11], v[44:45], v[48:49], v[10:11] op_sel_hi:[1,0,1]
	s_waitcnt vmcnt(7)
	v_pk_fma_f32 v[8:9], v[52:53], v[48:49], v[8:9] op_sel_hi:[1,0,1]
	v_pk_fma_f32 v[10:11], v[44:45], v[48:49], v[10:11] op_sel:[1,1,0] op_sel_hi:[0,1,1] neg_lo:[1,0,0]
	;; [unrolled: 6-line block ×4, first 2 shown]
	v_pk_fma_f32 v[8:9], v[62:63], v[60:61], v[8:9] op_sel:[1,1,0] op_sel_hi:[0,1,1] neg_lo:[1,0,0]
	s_waitcnt vmcnt(0)
	v_pk_fma_f32 v[10:11], v[42:43], v[64:65], v[10:11] op_sel_hi:[1,0,1]
	v_pk_fma_f32 v[8:9], v[32:33], v[64:65], v[8:9] op_sel_hi:[1,0,1]
	v_pk_fma_f32 v[10:11], v[42:43], v[64:65], v[10:11] op_sel:[1,1,0] op_sel_hi:[0,1,1] neg_lo:[1,0,0]
	v_pk_fma_f32 v[8:9], v[32:33], v[64:65], v[8:9] op_sel:[1,1,0] op_sel_hi:[0,1,1] neg_lo:[1,0,0]
	s_andn2_b64 exec, exec, s[2:3]
	s_cbranch_execnz .LBB180_21
; %bb.22:
	s_or_b64 exec, exec, s[2:3]
.LBB180_23:
	s_or_b64 exec, exec, s[4:5]
.LBB180_24:
	v_mov_b32_dpp v12, v8 row_shr:1 row_mask:0xf bank_mask:0xf
	v_add_f32_e32 v8, v8, v12
	v_mov_b32_dpp v0, v10 row_shr:1 row_mask:0xf bank_mask:0xf
	v_add_f32_e32 v0, v10, v0
	;; [unrolled: 2-line block ×5, first 2 shown]
	v_mov_b32_dpp v1, v0 row_shr:2 row_mask:0xf bank_mask:0xf
	v_mov_b32_dpp v11, v10 row_shr:2 row_mask:0xf bank_mask:0xf
	;; [unrolled: 1-line block ×3, first 2 shown]
	v_add_f32_e32 v13, v8, v12
	v_mov_b32_dpp v8, v9 row_shr:1 row_mask:0xf bank_mask:0xf
	v_add_f32_e32 v8, v9, v8
	v_add_f32_e32 v0, v0, v1
	;; [unrolled: 1-line block ×3, first 2 shown]
	v_mov_b32_dpp v9, v8 row_shr:2 row_mask:0xf bank_mask:0xf
	v_add_f32_e32 v8, v8, v9
	v_mov_b32_dpp v1, v0 row_shr:4 row_mask:0xf bank_mask:0xe
	v_mov_b32_dpp v11, v10 row_shr:4 row_mask:0xf bank_mask:0xe
	;; [unrolled: 1-line block ×3, first 2 shown]
	v_add_f32_e32 v0, v0, v1
	v_add_f32_e32 v10, v10, v11
	;; [unrolled: 1-line block ×3, first 2 shown]
	v_mov_b32_dpp v1, v0 row_shr:8 row_mask:0xf bank_mask:0xc
	v_mov_b32_dpp v11, v10 row_shr:8 row_mask:0xf bank_mask:0xc
	;; [unrolled: 1-line block ×3, first 2 shown]
	v_add_f32_e32 v0, v0, v1
	v_add_f32_e32 v10, v10, v11
	;; [unrolled: 1-line block ×3, first 2 shown]
	v_mov_b32_dpp v1, v0 row_bcast:15 row_mask:0xa bank_mask:0xf
	v_mov_b32_dpp v11, v10 row_bcast:15 row_mask:0xa bank_mask:0xf
	;; [unrolled: 1-line block ×4, first 2 shown]
	v_cmp_eq_u32_e32 vcc, 31, v7
	s_and_b64 exec, exec, vcc
	s_cbranch_execz .LBB180_29
; %bb.25:
	s_load_dwordx2 s[2:3], s[0:1], 0x38
	v_add_f32_e32 v8, v0, v1
	v_and_b32_e32 v1, 0x7fffffff, v4
	v_cmp_eq_u32_e32 vcc, 0, v1
	v_cmp_eq_f32_e64 s[0:1], 0, v5
	v_add_f32_e32 v12, v10, v11
	v_add_f32_e32 v0, v13, v14
	;; [unrolled: 1-line block ×3, first 2 shown]
	s_and_b64 s[0:1], vcc, s[0:1]
	s_and_saveexec_b64 s[4:5], s[0:1]
	s_xor_b64 s[0:1], exec, s[4:5]
	s_cbranch_execz .LBB180_27
; %bb.26:
	v_lshlrev_b32_e32 v4, 1, v6
	v_xor_b32_e32 v14, 0x80000000, v3
	v_ashrrev_i32_e32 v5, 31, v4
	v_mov_b32_e32 v15, v2
	s_waitcnt lgkmcnt(0)
	v_lshl_add_u64 v[16:17], v[4:5], 3, s[2:3]
	v_pk_mul_f32 v[4:5], v[12:13], v[14:15] op_sel_hi:[0,1]
	v_pk_mul_f32 v[6:7], v[10:11], v[14:15] op_sel_hi:[0,1]
	v_pk_fma_f32 v[4:5], v[2:3], v[8:9], v[4:5] op_sel_hi:[1,0,1]
	v_pk_fma_f32 v[6:7], v[2:3], v[0:1], v[6:7] op_sel_hi:[1,0,1]
	global_store_dwordx4 v[16:17], v[4:7], off
                                        ; implicit-def: $vgpr3
                                        ; implicit-def: $vgpr4
                                        ; implicit-def: $vgpr6
                                        ; implicit-def: $vgpr8
                                        ; implicit-def: $vgpr12
                                        ; implicit-def: $vgpr0
                                        ; implicit-def: $vgpr10
.LBB180_27:
	s_andn2_saveexec_b64 s[0:1], s[0:1]
	s_cbranch_execz .LBB180_29
; %bb.28:
	v_lshlrev_b32_e32 v6, 1, v6
	v_ashrrev_i32_e32 v7, 31, v6
	s_waitcnt lgkmcnt(0)
	v_lshl_add_u64 v[6:7], v[6:7], 3, s[2:3]
	global_load_dwordx4 v[14:17], v[6:7], off
	v_xor_b32_e32 v18, 0x80000000, v3
	v_mov_b32_e32 v19, v2
	v_pk_mul_f32 v[12:13], v[12:13], v[18:19] op_sel_hi:[0,1]
	v_pk_mul_f32 v[10:11], v[10:11], v[18:19] op_sel_hi:[0,1]
	v_pk_fma_f32 v[8:9], v[2:3], v[8:9], v[12:13] op_sel_hi:[1,0,1]
	v_pk_fma_f32 v[0:1], v[2:3], v[0:1], v[10:11] op_sel_hi:[1,0,1]
	v_xor_b32_e32 v20, 0x80000000, v5
	v_mov_b32_e32 v21, v4
	s_waitcnt vmcnt(0)
	v_pk_fma_f32 v[2:3], v[4:5], v[14:15], v[8:9] op_sel_hi:[1,0,1]
	v_pk_fma_f32 v[4:5], v[4:5], v[16:17], v[0:1] op_sel_hi:[1,0,1]
	v_mov_b32_e32 v8, v17
	v_pk_fma_f32 v[0:1], v[20:21], v[14:15], v[2:3] op_sel:[0,1,0]
	v_pk_fma_f32 v[2:3], v[20:21], v[8:9], v[4:5] op_sel_hi:[1,0,1]
	global_store_dwordx4 v[6:7], v[0:3], off
.LBB180_29:
	s_endpgm
	.section	.rodata,"a",@progbits
	.p2align	6, 0x0
	.amdhsa_kernel _ZN9rocsparseL19gebsrmvn_2xn_kernelILj128ELj7ELj32E21rocsparse_complex_numIfEEEvi20rocsparse_direction_NS_24const_host_device_scalarIT2_EEPKiS8_PKS5_SA_S6_PS5_21rocsparse_index_base_b
		.amdhsa_group_segment_fixed_size 0
		.amdhsa_private_segment_fixed_size 0
		.amdhsa_kernarg_size 72
		.amdhsa_user_sgpr_count 2
		.amdhsa_user_sgpr_dispatch_ptr 0
		.amdhsa_user_sgpr_queue_ptr 0
		.amdhsa_user_sgpr_kernarg_segment_ptr 1
		.amdhsa_user_sgpr_dispatch_id 0
		.amdhsa_user_sgpr_kernarg_preload_length 0
		.amdhsa_user_sgpr_kernarg_preload_offset 0
		.amdhsa_user_sgpr_private_segment_size 0
		.amdhsa_uses_dynamic_stack 0
		.amdhsa_enable_private_segment 0
		.amdhsa_system_sgpr_workgroup_id_x 1
		.amdhsa_system_sgpr_workgroup_id_y 0
		.amdhsa_system_sgpr_workgroup_id_z 0
		.amdhsa_system_sgpr_workgroup_info 0
		.amdhsa_system_vgpr_workitem_id 0
		.amdhsa_next_free_vgpr 68
		.amdhsa_next_free_sgpr 16
		.amdhsa_accum_offset 68
		.amdhsa_reserve_vcc 1
		.amdhsa_float_round_mode_32 0
		.amdhsa_float_round_mode_16_64 0
		.amdhsa_float_denorm_mode_32 3
		.amdhsa_float_denorm_mode_16_64 3
		.amdhsa_dx10_clamp 1
		.amdhsa_ieee_mode 1
		.amdhsa_fp16_overflow 0
		.amdhsa_tg_split 0
		.amdhsa_exception_fp_ieee_invalid_op 0
		.amdhsa_exception_fp_denorm_src 0
		.amdhsa_exception_fp_ieee_div_zero 0
		.amdhsa_exception_fp_ieee_overflow 0
		.amdhsa_exception_fp_ieee_underflow 0
		.amdhsa_exception_fp_ieee_inexact 0
		.amdhsa_exception_int_div_zero 0
	.end_amdhsa_kernel
	.section	.text._ZN9rocsparseL19gebsrmvn_2xn_kernelILj128ELj7ELj32E21rocsparse_complex_numIfEEEvi20rocsparse_direction_NS_24const_host_device_scalarIT2_EEPKiS8_PKS5_SA_S6_PS5_21rocsparse_index_base_b,"axG",@progbits,_ZN9rocsparseL19gebsrmvn_2xn_kernelILj128ELj7ELj32E21rocsparse_complex_numIfEEEvi20rocsparse_direction_NS_24const_host_device_scalarIT2_EEPKiS8_PKS5_SA_S6_PS5_21rocsparse_index_base_b,comdat
.Lfunc_end180:
	.size	_ZN9rocsparseL19gebsrmvn_2xn_kernelILj128ELj7ELj32E21rocsparse_complex_numIfEEEvi20rocsparse_direction_NS_24const_host_device_scalarIT2_EEPKiS8_PKS5_SA_S6_PS5_21rocsparse_index_base_b, .Lfunc_end180-_ZN9rocsparseL19gebsrmvn_2xn_kernelILj128ELj7ELj32E21rocsparse_complex_numIfEEEvi20rocsparse_direction_NS_24const_host_device_scalarIT2_EEPKiS8_PKS5_SA_S6_PS5_21rocsparse_index_base_b
                                        ; -- End function
	.section	.AMDGPU.csdata,"",@progbits
; Kernel info:
; codeLenInByte = 2480
; NumSgprs: 22
; NumVgprs: 68
; NumAgprs: 0
; TotalNumVgprs: 68
; ScratchSize: 0
; MemoryBound: 0
; FloatMode: 240
; IeeeMode: 1
; LDSByteSize: 0 bytes/workgroup (compile time only)
; SGPRBlocks: 2
; VGPRBlocks: 8
; NumSGPRsForWavesPerEU: 22
; NumVGPRsForWavesPerEU: 68
; AccumOffset: 68
; Occupancy: 7
; WaveLimiterHint : 1
; COMPUTE_PGM_RSRC2:SCRATCH_EN: 0
; COMPUTE_PGM_RSRC2:USER_SGPR: 2
; COMPUTE_PGM_RSRC2:TRAP_HANDLER: 0
; COMPUTE_PGM_RSRC2:TGID_X_EN: 1
; COMPUTE_PGM_RSRC2:TGID_Y_EN: 0
; COMPUTE_PGM_RSRC2:TGID_Z_EN: 0
; COMPUTE_PGM_RSRC2:TIDIG_COMP_CNT: 0
; COMPUTE_PGM_RSRC3_GFX90A:ACCUM_OFFSET: 16
; COMPUTE_PGM_RSRC3_GFX90A:TG_SPLIT: 0
	.section	.text._ZN9rocsparseL19gebsrmvn_2xn_kernelILj128ELj7ELj64E21rocsparse_complex_numIfEEEvi20rocsparse_direction_NS_24const_host_device_scalarIT2_EEPKiS8_PKS5_SA_S6_PS5_21rocsparse_index_base_b,"axG",@progbits,_ZN9rocsparseL19gebsrmvn_2xn_kernelILj128ELj7ELj64E21rocsparse_complex_numIfEEEvi20rocsparse_direction_NS_24const_host_device_scalarIT2_EEPKiS8_PKS5_SA_S6_PS5_21rocsparse_index_base_b,comdat
	.globl	_ZN9rocsparseL19gebsrmvn_2xn_kernelILj128ELj7ELj64E21rocsparse_complex_numIfEEEvi20rocsparse_direction_NS_24const_host_device_scalarIT2_EEPKiS8_PKS5_SA_S6_PS5_21rocsparse_index_base_b ; -- Begin function _ZN9rocsparseL19gebsrmvn_2xn_kernelILj128ELj7ELj64E21rocsparse_complex_numIfEEEvi20rocsparse_direction_NS_24const_host_device_scalarIT2_EEPKiS8_PKS5_SA_S6_PS5_21rocsparse_index_base_b
	.p2align	8
	.type	_ZN9rocsparseL19gebsrmvn_2xn_kernelILj128ELj7ELj64E21rocsparse_complex_numIfEEEvi20rocsparse_direction_NS_24const_host_device_scalarIT2_EEPKiS8_PKS5_SA_S6_PS5_21rocsparse_index_base_b,@function
_ZN9rocsparseL19gebsrmvn_2xn_kernelILj128ELj7ELj64E21rocsparse_complex_numIfEEEvi20rocsparse_direction_NS_24const_host_device_scalarIT2_EEPKiS8_PKS5_SA_S6_PS5_21rocsparse_index_base_b: ; @_ZN9rocsparseL19gebsrmvn_2xn_kernelILj128ELj7ELj64E21rocsparse_complex_numIfEEEvi20rocsparse_direction_NS_24const_host_device_scalarIT2_EEPKiS8_PKS5_SA_S6_PS5_21rocsparse_index_base_b
; %bb.0:
	s_load_dwordx2 s[12:13], s[0:1], 0x40
	s_load_dwordx2 s[8:9], s[0:1], 0x8
	;; [unrolled: 1-line block ×3, first 2 shown]
	s_waitcnt lgkmcnt(0)
	s_bitcmp1_b32 s13, 0
	s_cselect_b64 s[4:5], -1, 0
	s_xor_b64 s[10:11], s[4:5], -1
	s_and_b64 vcc, exec, s[4:5]
	v_mov_b32_e32 v2, s8
	s_cbranch_vccnz .LBB181_2
; %bb.1:
	v_mov_b64_e32 v[2:3], s[8:9]
	flat_load_dword v2, v[2:3]
.LBB181_2:
	v_cndmask_b32_e64 v1, 0, 1, s[10:11]
	v_cmp_ne_u32_e64 s[4:5], 1, v1
	s_andn2_b64 vcc, exec, s[10:11]
	v_mov_b32_e32 v3, s9
	s_cbranch_vccz .LBB181_16
; %bb.3:
	s_and_b64 vcc, exec, s[4:5]
	v_mov_b32_e32 v4, s6
	s_cbranch_vccz .LBB181_17
.LBB181_4:
	s_and_b64 vcc, exec, s[4:5]
	v_mov_b32_e32 v5, s7
	s_cbranch_vccnz .LBB181_6
.LBB181_5:
	v_mov_b64_e32 v[6:7], s[6:7]
	flat_load_dword v5, v[6:7] offset:4
.LBB181_6:
	s_waitcnt vmcnt(0) lgkmcnt(0)
	v_and_b32_e32 v1, 0x7fffffff, v2
	v_cmp_eq_u32_e32 vcc, 0, v1
	v_cmp_eq_f32_e64 s[4:5], 0, v3
	s_and_b64 s[8:9], vcc, s[4:5]
	s_mov_b64 s[4:5], -1
	s_and_saveexec_b64 s[6:7], s[8:9]
; %bb.7:
	v_and_b32_e32 v1, 0x7fffffff, v5
	v_cmp_neq_f32_e32 vcc, 1.0, v4
	v_cmp_ne_u32_e64 s[4:5], 0, v1
	s_or_b64 s[4:5], vcc, s[4:5]
	s_orn2_b64 s[4:5], s[4:5], exec
; %bb.8:
	s_or_b64 exec, exec, s[6:7]
	s_and_saveexec_b64 s[6:7], s[4:5]
	s_cbranch_execz .LBB181_29
; %bb.9:
	s_load_dwordx2 s[14:15], s[0:1], 0x0
	v_lshrrev_b32_e32 v1, 6, v0
	v_lshl_or_b32 v6, s2, 1, v1
	s_waitcnt lgkmcnt(0)
	v_cmp_gt_i32_e32 vcc, s14, v6
	s_and_b64 exec, exec, vcc
	s_cbranch_execz .LBB181_29
; %bb.10:
	s_load_dwordx8 s[4:11], s[0:1], 0x10
	v_ashrrev_i32_e32 v7, 31, v6
	s_cmp_lg_u32 s15, 0
	s_waitcnt lgkmcnt(0)
	v_lshl_add_u64 v[8:9], v[6:7], 2, s[4:5]
	global_load_dwordx2 v[8:9], v[8:9], off
	v_and_b32_e32 v7, 63, v0
	s_waitcnt vmcnt(0)
	v_subrev_u32_e32 v0, s12, v8
	v_subrev_u32_e32 v18, s12, v9
	v_add_u32_e32 v0, v0, v7
	v_cmp_lt_i32_e64 s[2:3], v0, v18
	s_cbranch_scc0 .LBB181_18
; %bb.11:
	v_mov_b32_e32 v11, 0
	v_mov_b32_e32 v10, v11
	;; [unrolled: 1-line block ×4, first 2 shown]
	s_and_saveexec_b64 s[4:5], s[2:3]
	s_cbranch_execz .LBB181_15
; %bb.12:
	v_mad_u64_u32 v[12:13], s[14:15], v0, 14, 12
	v_mov_b32_e32 v15, 0
	s_mov_b64 s[14:15], 0
	v_mov_b32_e32 v16, v0
	v_mov_b32_e32 v8, v15
	;; [unrolled: 1-line block ×5, first 2 shown]
.LBB181_13:                             ; =>This Inner Loop Header: Depth=1
	v_ashrrev_i32_e32 v17, 31, v16
	v_lshl_add_u64 v[20:21], v[16:17], 2, s[6:7]
	global_load_dword v1, v[20:21], off
	v_add_u32_e32 v14, -12, v12
	v_mov_b32_e32 v49, v15
	v_mov_b32_e32 v13, v15
	v_lshl_add_u64 v[32:33], v[14:15], 3, s[8:9]
	v_add_u32_e32 v14, -10, v12
	v_lshl_add_u64 v[34:35], v[12:13], 3, s[8:9]
	v_lshl_add_u64 v[36:37], v[14:15], 3, s[8:9]
	global_load_dwordx4 v[20:23], v[32:33], off
	global_load_dwordx4 v[24:27], v[34:35], off
	global_load_dwordx4 v[28:31], v[36:37], off
	v_add_u32_e32 v16, 64, v16
	v_cmp_ge_i32_e32 vcc, v16, v18
	s_or_b64 s[14:15], vcc, s[14:15]
	s_waitcnt vmcnt(3)
	v_subrev_u32_e32 v1, s12, v1
	v_mul_lo_u32 v48, v1, 7
	v_lshl_add_u64 v[32:33], v[48:49], 3, s[10:11]
	v_add_u32_e32 v14, 1, v48
	global_load_dwordx2 v[50:51], v[32:33], off
	v_lshl_add_u64 v[32:33], v[14:15], 3, s[10:11]
	v_add_u32_e32 v14, -8, v12
	global_load_dwordx2 v[52:53], v[32:33], off
	v_lshl_add_u64 v[32:33], v[14:15], 3, s[8:9]
	v_add_u32_e32 v14, 2, v48
	v_lshl_add_u64 v[36:37], v[14:15], 3, s[10:11]
	v_add_u32_e32 v14, -6, v12
	global_load_dwordx4 v[32:35], v[32:33], off
	s_waitcnt vmcnt(5)
	v_xor_b32_e32 v62, 0x80000000, v23
	global_load_dwordx2 v[54:55], v[36:37], off
	v_lshl_add_u64 v[36:37], v[14:15], 3, s[8:9]
	v_add_u32_e32 v14, 3, v48
	v_lshl_add_u64 v[40:41], v[14:15], 3, s[10:11]
	v_add_u32_e32 v14, -4, v12
	global_load_dwordx4 v[36:39], v[36:37], off
	v_mov_b32_e32 v63, v22
	global_load_dwordx2 v[56:57], v[40:41], off
	v_lshl_add_u64 v[40:41], v[14:15], 3, s[8:9]
	v_add_u32_e32 v14, 4, v48
	v_lshl_add_u64 v[44:45], v[14:15], 3, s[10:11]
	v_add_u32_e32 v14, -2, v12
	global_load_dwordx4 v[40:43], v[40:41], off
	s_waitcnt vmcnt(7)
	v_xor_b32_e32 v66, 0x80000000, v31
	global_load_dwordx2 v[58:59], v[44:45], off
	v_lshl_add_u64 v[44:45], v[14:15], 3, s[8:9]
	v_add_u32_e32 v14, 5, v48
	v_lshl_add_u64 v[60:61], v[14:15], 3, s[10:11]
	global_load_dwordx4 v[44:47], v[44:45], off
	v_add_u32_e32 v14, 6, v48
	global_load_dwordx2 v[48:49], v[60:61], off
	v_lshl_add_u64 v[60:61], v[14:15], 3, s[10:11]
	global_load_dwordx2 v[60:61], v[60:61], off
	v_mov_b32_e32 v67, v30
	v_xor_b32_e32 v64, 0x80000000, v27
	v_mov_b32_e32 v65, v26
	v_add_u32_e32 v12, 0x380, v12
	s_waitcnt vmcnt(10)
	v_pk_fma_f32 v[10:11], v[20:21], v[50:51], v[10:11] op_sel_hi:[1,0,1]
	v_pk_fma_f32 v[8:9], v[22:23], v[50:51], v[8:9] op_sel_hi:[1,0,1]
	v_pk_fma_f32 v[10:11], v[20:21], v[50:51], v[10:11] op_sel:[1,1,0] op_sel_hi:[0,1,1] neg_lo:[1,0,0]
	v_pk_fma_f32 v[8:9], v[62:63], v[50:51], v[8:9] op_sel:[0,1,0]
	s_waitcnt vmcnt(9)
	v_pk_fma_f32 v[10:11], v[28:29], v[52:53], v[10:11] op_sel_hi:[1,0,1]
	v_pk_fma_f32 v[8:9], v[30:31], v[52:53], v[8:9] op_sel_hi:[1,0,1]
	v_pk_fma_f32 v[10:11], v[28:29], v[52:53], v[10:11] op_sel:[1,1,0] op_sel_hi:[0,1,1] neg_lo:[1,0,0]
	v_pk_fma_f32 v[8:9], v[66:67], v[52:53], v[8:9] op_sel:[0,1,0]
	s_waitcnt vmcnt(8)
	v_xor_b32_e32 v20, 0x80000000, v35
	v_mov_b32_e32 v21, v34
	s_waitcnt vmcnt(7)
	v_pk_fma_f32 v[10:11], v[32:33], v[54:55], v[10:11] op_sel_hi:[1,0,1]
	v_pk_fma_f32 v[8:9], v[34:35], v[54:55], v[8:9] op_sel_hi:[1,0,1]
	v_pk_fma_f32 v[10:11], v[32:33], v[54:55], v[10:11] op_sel:[1,1,0] op_sel_hi:[0,1,1] neg_lo:[1,0,0]
	v_pk_fma_f32 v[8:9], v[20:21], v[54:55], v[8:9] op_sel:[0,1,0]
	s_waitcnt vmcnt(6)
	v_xor_b32_e32 v22, 0x80000000, v39
	v_mov_b32_e32 v23, v38
	s_waitcnt vmcnt(5)
	v_pk_fma_f32 v[10:11], v[36:37], v[56:57], v[10:11] op_sel_hi:[1,0,1]
	v_pk_fma_f32 v[8:9], v[38:39], v[56:57], v[8:9] op_sel_hi:[1,0,1]
	v_pk_fma_f32 v[10:11], v[36:37], v[56:57], v[10:11] op_sel:[1,1,0] op_sel_hi:[0,1,1] neg_lo:[1,0,0]
	v_pk_fma_f32 v[8:9], v[22:23], v[56:57], v[8:9] op_sel:[0,1,0]
	s_waitcnt vmcnt(4)
	v_xor_b32_e32 v20, 0x80000000, v43
	v_mov_b32_e32 v21, v42
	s_waitcnt vmcnt(3)
	v_pk_fma_f32 v[10:11], v[40:41], v[58:59], v[10:11] op_sel_hi:[1,0,1]
	v_pk_fma_f32 v[8:9], v[42:43], v[58:59], v[8:9] op_sel_hi:[1,0,1]
	v_pk_fma_f32 v[10:11], v[40:41], v[58:59], v[10:11] op_sel:[1,1,0] op_sel_hi:[0,1,1] neg_lo:[1,0,0]
	v_pk_fma_f32 v[8:9], v[20:21], v[58:59], v[8:9] op_sel:[0,1,0]
	s_waitcnt vmcnt(2)
	v_xor_b32_e32 v22, 0x80000000, v47
	v_mov_b32_e32 v23, v46
	s_waitcnt vmcnt(1)
	v_pk_fma_f32 v[10:11], v[44:45], v[48:49], v[10:11] op_sel_hi:[1,0,1]
	v_pk_fma_f32 v[8:9], v[46:47], v[48:49], v[8:9] op_sel_hi:[1,0,1]
	v_pk_fma_f32 v[10:11], v[44:45], v[48:49], v[10:11] op_sel:[1,1,0] op_sel_hi:[0,1,1] neg_lo:[1,0,0]
	v_pk_fma_f32 v[8:9], v[22:23], v[48:49], v[8:9] op_sel:[0,1,0]
	s_waitcnt vmcnt(0)
	v_pk_fma_f32 v[10:11], v[24:25], v[60:61], v[10:11] op_sel_hi:[1,0,1]
	v_pk_fma_f32 v[8:9], v[26:27], v[60:61], v[8:9] op_sel_hi:[1,0,1]
	v_pk_fma_f32 v[10:11], v[24:25], v[60:61], v[10:11] op_sel:[1,1,0] op_sel_hi:[0,1,1] neg_lo:[1,0,0]
	v_pk_fma_f32 v[8:9], v[64:65], v[60:61], v[8:9] op_sel:[0,1,0]
	s_andn2_b64 exec, exec, s[14:15]
	s_cbranch_execnz .LBB181_13
; %bb.14:
	s_or_b64 exec, exec, s[14:15]
.LBB181_15:
	s_or_b64 exec, exec, s[4:5]
	s_cbranch_execz .LBB181_19
	s_branch .LBB181_24
.LBB181_16:
	v_mov_b64_e32 v[4:5], s[8:9]
	flat_load_dword v3, v[4:5] offset:4
	s_and_b64 vcc, exec, s[4:5]
	v_mov_b32_e32 v4, s6
	s_cbranch_vccnz .LBB181_4
.LBB181_17:
	v_mov_b64_e32 v[4:5], s[6:7]
	flat_load_dword v4, v[4:5]
	s_and_b64 vcc, exec, s[4:5]
	v_mov_b32_e32 v5, s7
	s_cbranch_vccz .LBB181_5
	s_branch .LBB181_6
.LBB181_18:
                                        ; implicit-def: $vgpr11
                                        ; implicit-def: $vgpr9
.LBB181_19:
	v_mov_b32_e32 v11, 0
	v_mov_b32_e32 v10, v11
	;; [unrolled: 1-line block ×4, first 2 shown]
	s_and_saveexec_b64 s[4:5], s[2:3]
	s_cbranch_execz .LBB181_23
; %bb.20:
	v_mad_u64_u32 v[12:13], s[2:3], v0, 14, 13
	v_mov_b32_e32 v15, 0
	s_mov_b64 s[2:3], 0
	v_mov_b32_e32 v8, v15
	v_mov_b32_e32 v9, v15
	;; [unrolled: 1-line block ×4, first 2 shown]
.LBB181_21:                             ; =>This Inner Loop Header: Depth=1
	v_ashrrev_i32_e32 v1, 31, v0
	v_lshl_add_u64 v[16:17], v[0:1], 2, s[6:7]
	global_load_dword v1, v[16:17], off
	v_add_u32_e32 v14, -13, v12
	v_add_u32_e32 v16, -6, v12
	v_mov_b32_e32 v17, v15
	v_mov_b32_e32 v13, v15
	v_lshl_add_u64 v[26:27], v[14:15], 3, s[8:9]
	v_lshl_add_u64 v[16:17], v[16:17], 3, s[8:9]
	v_lshl_add_u64 v[28:29], v[12:13], 3, s[8:9]
	global_load_dwordx4 v[20:23], v[26:27], off
	global_load_dwordx2 v[30:31], v[16:17], off
	global_load_dwordx2 v[32:33], v[28:29], off
	v_mov_b32_e32 v25, v15
	v_add_u32_e32 v0, 64, v0
	v_cmp_ge_i32_e32 vcc, v0, v18
	s_or_b64 s[2:3], vcc, s[2:3]
	s_waitcnt vmcnt(3)
	v_subrev_u32_e32 v1, s12, v1
	v_mul_lo_u32 v24, v1, 7
	v_add_u32_e32 v14, 1, v24
	v_lshl_add_u64 v[26:27], v[14:15], 3, s[10:11]
	v_add_u32_e32 v14, -5, v12
	v_lshl_add_u64 v[28:29], v[14:15], 3, s[8:9]
	v_add_u32_e32 v14, -11, v12
	v_lshl_add_u64 v[34:35], v[14:15], 3, s[8:9]
	v_add_u32_e32 v14, 2, v24
	v_lshl_add_u64 v[16:17], v[24:25], 3, s[10:11]
	v_lshl_add_u64 v[36:37], v[14:15], 3, s[10:11]
	v_add_u32_e32 v14, -4, v12
	global_load_dwordx2 v[16:17], v[16:17], off
	s_nop 0
	global_load_dwordx2 v[26:27], v[26:27], off
	s_waitcnt vmcnt(1)
	v_pk_fma_f32 v[10:11], v[20:21], v[16:17], v[10:11] op_sel_hi:[1,0,1]
	global_load_dwordx2 v[28:29], v[28:29], off
	s_nop 0
	global_load_dwordx2 v[38:39], v[34:35], off
	global_load_dwordx2 v[40:41], v[36:37], off
	v_lshl_add_u64 v[34:35], v[14:15], 3, s[8:9]
	v_add_u32_e32 v14, -10, v12
	v_lshl_add_u64 v[36:37], v[14:15], 3, s[8:9]
	v_add_u32_e32 v14, 3, v24
	v_lshl_add_u64 v[42:43], v[14:15], 3, s[10:11]
	v_add_u32_e32 v14, -3, v12
	global_load_dwordx2 v[44:45], v[36:37], off
	global_load_dwordx2 v[46:47], v[34:35], off
	global_load_dwordx2 v[48:49], v[42:43], off
	v_lshl_add_u64 v[34:35], v[14:15], 3, s[8:9]
	v_add_u32_e32 v14, -9, v12
	v_lshl_add_u64 v[36:37], v[14:15], 3, s[8:9]
	v_add_u32_e32 v14, 4, v24
	v_lshl_add_u64 v[42:43], v[14:15], 3, s[10:11]
	v_add_u32_e32 v14, -2, v12
	global_load_dwordx2 v[50:51], v[36:37], off
	;; [unrolled: 9-line block ×3, first 2 shown]
	global_load_dwordx2 v[58:59], v[34:35], off
	global_load_dwordx2 v[60:61], v[42:43], off
	v_lshl_add_u64 v[34:35], v[14:15], 3, s[8:9]
	v_add_u32_e32 v14, -7, v12
	v_lshl_add_u64 v[36:37], v[14:15], 3, s[8:9]
	v_add_u32_e32 v14, 6, v24
	v_lshl_add_u64 v[24:25], v[14:15], 3, s[10:11]
	global_load_dwordx2 v[42:43], v[36:37], off
	global_load_dwordx2 v[62:63], v[34:35], off
	;; [unrolled: 1-line block ×3, first 2 shown]
	v_pk_fma_f32 v[8:9], v[30:31], v[16:17], v[8:9] op_sel_hi:[1,0,1]
	v_pk_fma_f32 v[10:11], v[20:21], v[16:17], v[10:11] op_sel:[1,1,0] op_sel_hi:[0,1,1] neg_lo:[1,0,0]
	v_pk_fma_f32 v[8:9], v[30:31], v[16:17], v[8:9] op_sel:[1,1,0] op_sel_hi:[0,1,1] neg_lo:[1,0,0]
	v_xor_b32_e32 v24, 0x80000000, v23
	v_mov_b32_e32 v25, v22
	s_waitcnt vmcnt(15)
	v_pk_fma_f32 v[10:11], v[22:23], v[26:27], v[10:11] op_sel_hi:[1,0,1]
	v_add_u32_e32 v12, 0x380, v12
	v_pk_fma_f32 v[10:11], v[24:25], v[26:27], v[10:11] op_sel:[0,1,0]
	s_waitcnt vmcnt(14)
	v_pk_fma_f32 v[8:9], v[28:29], v[26:27], v[8:9] op_sel_hi:[1,0,1]
	s_nop 0
	v_pk_fma_f32 v[8:9], v[28:29], v[26:27], v[8:9] op_sel:[1,1,0] op_sel_hi:[0,1,1] neg_lo:[1,0,0]
	s_waitcnt vmcnt(12)
	v_pk_fma_f32 v[10:11], v[38:39], v[40:41], v[10:11] op_sel_hi:[1,0,1]
	s_waitcnt vmcnt(10)
	v_pk_fma_f32 v[8:9], v[46:47], v[40:41], v[8:9] op_sel_hi:[1,0,1]
	v_pk_fma_f32 v[10:11], v[38:39], v[40:41], v[10:11] op_sel:[1,1,0] op_sel_hi:[0,1,1] neg_lo:[1,0,0]
	v_pk_fma_f32 v[8:9], v[46:47], v[40:41], v[8:9] op_sel:[1,1,0] op_sel_hi:[0,1,1] neg_lo:[1,0,0]
	s_waitcnt vmcnt(9)
	v_pk_fma_f32 v[10:11], v[44:45], v[48:49], v[10:11] op_sel_hi:[1,0,1]
	s_waitcnt vmcnt(7)
	v_pk_fma_f32 v[8:9], v[52:53], v[48:49], v[8:9] op_sel_hi:[1,0,1]
	v_pk_fma_f32 v[10:11], v[44:45], v[48:49], v[10:11] op_sel:[1,1,0] op_sel_hi:[0,1,1] neg_lo:[1,0,0]
	;; [unrolled: 6-line block ×4, first 2 shown]
	v_pk_fma_f32 v[8:9], v[62:63], v[60:61], v[8:9] op_sel:[1,1,0] op_sel_hi:[0,1,1] neg_lo:[1,0,0]
	s_waitcnt vmcnt(0)
	v_pk_fma_f32 v[10:11], v[42:43], v[64:65], v[10:11] op_sel_hi:[1,0,1]
	v_pk_fma_f32 v[8:9], v[32:33], v[64:65], v[8:9] op_sel_hi:[1,0,1]
	v_pk_fma_f32 v[10:11], v[42:43], v[64:65], v[10:11] op_sel:[1,1,0] op_sel_hi:[0,1,1] neg_lo:[1,0,0]
	v_pk_fma_f32 v[8:9], v[32:33], v[64:65], v[8:9] op_sel:[1,1,0] op_sel_hi:[0,1,1] neg_lo:[1,0,0]
	s_andn2_b64 exec, exec, s[2:3]
	s_cbranch_execnz .LBB181_21
; %bb.22:
	s_or_b64 exec, exec, s[2:3]
.LBB181_23:
	s_or_b64 exec, exec, s[4:5]
.LBB181_24:
	v_mov_b32_dpp v12, v8 row_shr:1 row_mask:0xf bank_mask:0xf
	v_add_f32_e32 v8, v8, v12
	v_mov_b32_dpp v0, v10 row_shr:1 row_mask:0xf bank_mask:0xf
	v_add_f32_e32 v0, v10, v0
	;; [unrolled: 2-line block ×5, first 2 shown]
	v_mov_b32_dpp v1, v0 row_shr:2 row_mask:0xf bank_mask:0xf
	v_mov_b32_dpp v11, v10 row_shr:2 row_mask:0xf bank_mask:0xf
	;; [unrolled: 1-line block ×3, first 2 shown]
	v_add_f32_e32 v8, v8, v12
	v_add_f32_e32 v0, v0, v1
	;; [unrolled: 1-line block ×3, first 2 shown]
	v_mov_b32_dpp v12, v8 row_bcast:15 row_mask:0xa bank_mask:0xf
	v_add_f32_e32 v13, v8, v12
	v_mov_b32_dpp v8, v9 row_shr:1 row_mask:0xf bank_mask:0xf
	v_add_f32_e32 v8, v9, v8
	v_mov_b32_dpp v1, v0 row_shr:4 row_mask:0xf bank_mask:0xe
	v_mov_b32_dpp v11, v10 row_shr:4 row_mask:0xf bank_mask:0xe
	;; [unrolled: 1-line block ×3, first 2 shown]
	v_add_f32_e32 v8, v8, v9
	v_add_f32_e32 v0, v0, v1
	;; [unrolled: 1-line block ×3, first 2 shown]
	v_mov_b32_dpp v9, v8 row_shr:4 row_mask:0xf bank_mask:0xe
	v_add_f32_e32 v8, v8, v9
	v_mov_b32_dpp v1, v0 row_shr:8 row_mask:0xf bank_mask:0xc
	v_mov_b32_dpp v11, v10 row_shr:8 row_mask:0xf bank_mask:0xc
	;; [unrolled: 1-line block ×3, first 2 shown]
	v_add_f32_e32 v0, v0, v1
	v_add_f32_e32 v10, v10, v11
	;; [unrolled: 1-line block ×3, first 2 shown]
	v_mov_b32_dpp v1, v0 row_bcast:15 row_mask:0xa bank_mask:0xf
	v_mov_b32_dpp v11, v10 row_bcast:15 row_mask:0xa bank_mask:0xf
	;; [unrolled: 1-line block ×3, first 2 shown]
	v_add_f32_e32 v0, v0, v1
	v_add_f32_e32 v10, v10, v11
	;; [unrolled: 1-line block ×3, first 2 shown]
	v_mov_b32_dpp v1, v0 row_bcast:31 row_mask:0xc bank_mask:0xf
	v_mov_b32_dpp v11, v10 row_bcast:31 row_mask:0xc bank_mask:0xf
	;; [unrolled: 1-line block ×4, first 2 shown]
	v_cmp_eq_u32_e32 vcc, 63, v7
	s_and_b64 exec, exec, vcc
	s_cbranch_execz .LBB181_29
; %bb.25:
	s_load_dwordx2 s[2:3], s[0:1], 0x38
	v_add_f32_e32 v8, v0, v1
	v_and_b32_e32 v1, 0x7fffffff, v4
	v_cmp_eq_u32_e32 vcc, 0, v1
	v_cmp_eq_f32_e64 s[0:1], 0, v5
	v_add_f32_e32 v12, v10, v11
	v_add_f32_e32 v0, v13, v14
	;; [unrolled: 1-line block ×3, first 2 shown]
	s_and_b64 s[0:1], vcc, s[0:1]
	s_and_saveexec_b64 s[4:5], s[0:1]
	s_xor_b64 s[0:1], exec, s[4:5]
	s_cbranch_execz .LBB181_27
; %bb.26:
	v_lshlrev_b32_e32 v4, 1, v6
	v_xor_b32_e32 v14, 0x80000000, v3
	v_ashrrev_i32_e32 v5, 31, v4
	v_mov_b32_e32 v15, v2
	s_waitcnt lgkmcnt(0)
	v_lshl_add_u64 v[16:17], v[4:5], 3, s[2:3]
	v_pk_mul_f32 v[4:5], v[12:13], v[14:15] op_sel_hi:[0,1]
	v_pk_mul_f32 v[6:7], v[10:11], v[14:15] op_sel_hi:[0,1]
	v_pk_fma_f32 v[4:5], v[2:3], v[8:9], v[4:5] op_sel_hi:[1,0,1]
	v_pk_fma_f32 v[6:7], v[2:3], v[0:1], v[6:7] op_sel_hi:[1,0,1]
	global_store_dwordx4 v[16:17], v[4:7], off
                                        ; implicit-def: $vgpr3
                                        ; implicit-def: $vgpr4
                                        ; implicit-def: $vgpr6
                                        ; implicit-def: $vgpr8
                                        ; implicit-def: $vgpr12
                                        ; implicit-def: $vgpr0
                                        ; implicit-def: $vgpr10
.LBB181_27:
	s_andn2_saveexec_b64 s[0:1], s[0:1]
	s_cbranch_execz .LBB181_29
; %bb.28:
	v_lshlrev_b32_e32 v6, 1, v6
	v_ashrrev_i32_e32 v7, 31, v6
	s_waitcnt lgkmcnt(0)
	v_lshl_add_u64 v[6:7], v[6:7], 3, s[2:3]
	global_load_dwordx4 v[14:17], v[6:7], off
	v_xor_b32_e32 v18, 0x80000000, v3
	v_mov_b32_e32 v19, v2
	v_pk_mul_f32 v[12:13], v[12:13], v[18:19] op_sel_hi:[0,1]
	v_pk_mul_f32 v[10:11], v[10:11], v[18:19] op_sel_hi:[0,1]
	v_pk_fma_f32 v[8:9], v[2:3], v[8:9], v[12:13] op_sel_hi:[1,0,1]
	v_pk_fma_f32 v[0:1], v[2:3], v[0:1], v[10:11] op_sel_hi:[1,0,1]
	v_xor_b32_e32 v20, 0x80000000, v5
	v_mov_b32_e32 v21, v4
	s_waitcnt vmcnt(0)
	v_pk_fma_f32 v[2:3], v[4:5], v[14:15], v[8:9] op_sel_hi:[1,0,1]
	v_pk_fma_f32 v[4:5], v[4:5], v[16:17], v[0:1] op_sel_hi:[1,0,1]
	v_mov_b32_e32 v8, v17
	v_pk_fma_f32 v[0:1], v[20:21], v[14:15], v[2:3] op_sel:[0,1,0]
	v_pk_fma_f32 v[2:3], v[20:21], v[8:9], v[4:5] op_sel_hi:[1,0,1]
	global_store_dwordx4 v[6:7], v[0:3], off
.LBB181_29:
	s_endpgm
	.section	.rodata,"a",@progbits
	.p2align	6, 0x0
	.amdhsa_kernel _ZN9rocsparseL19gebsrmvn_2xn_kernelILj128ELj7ELj64E21rocsparse_complex_numIfEEEvi20rocsparse_direction_NS_24const_host_device_scalarIT2_EEPKiS8_PKS5_SA_S6_PS5_21rocsparse_index_base_b
		.amdhsa_group_segment_fixed_size 0
		.amdhsa_private_segment_fixed_size 0
		.amdhsa_kernarg_size 72
		.amdhsa_user_sgpr_count 2
		.amdhsa_user_sgpr_dispatch_ptr 0
		.amdhsa_user_sgpr_queue_ptr 0
		.amdhsa_user_sgpr_kernarg_segment_ptr 1
		.amdhsa_user_sgpr_dispatch_id 0
		.amdhsa_user_sgpr_kernarg_preload_length 0
		.amdhsa_user_sgpr_kernarg_preload_offset 0
		.amdhsa_user_sgpr_private_segment_size 0
		.amdhsa_uses_dynamic_stack 0
		.amdhsa_enable_private_segment 0
		.amdhsa_system_sgpr_workgroup_id_x 1
		.amdhsa_system_sgpr_workgroup_id_y 0
		.amdhsa_system_sgpr_workgroup_id_z 0
		.amdhsa_system_sgpr_workgroup_info 0
		.amdhsa_system_vgpr_workitem_id 0
		.amdhsa_next_free_vgpr 68
		.amdhsa_next_free_sgpr 16
		.amdhsa_accum_offset 68
		.amdhsa_reserve_vcc 1
		.amdhsa_float_round_mode_32 0
		.amdhsa_float_round_mode_16_64 0
		.amdhsa_float_denorm_mode_32 3
		.amdhsa_float_denorm_mode_16_64 3
		.amdhsa_dx10_clamp 1
		.amdhsa_ieee_mode 1
		.amdhsa_fp16_overflow 0
		.amdhsa_tg_split 0
		.amdhsa_exception_fp_ieee_invalid_op 0
		.amdhsa_exception_fp_denorm_src 0
		.amdhsa_exception_fp_ieee_div_zero 0
		.amdhsa_exception_fp_ieee_overflow 0
		.amdhsa_exception_fp_ieee_underflow 0
		.amdhsa_exception_fp_ieee_inexact 0
		.amdhsa_exception_int_div_zero 0
	.end_amdhsa_kernel
	.section	.text._ZN9rocsparseL19gebsrmvn_2xn_kernelILj128ELj7ELj64E21rocsparse_complex_numIfEEEvi20rocsparse_direction_NS_24const_host_device_scalarIT2_EEPKiS8_PKS5_SA_S6_PS5_21rocsparse_index_base_b,"axG",@progbits,_ZN9rocsparseL19gebsrmvn_2xn_kernelILj128ELj7ELj64E21rocsparse_complex_numIfEEEvi20rocsparse_direction_NS_24const_host_device_scalarIT2_EEPKiS8_PKS5_SA_S6_PS5_21rocsparse_index_base_b,comdat
.Lfunc_end181:
	.size	_ZN9rocsparseL19gebsrmvn_2xn_kernelILj128ELj7ELj64E21rocsparse_complex_numIfEEEvi20rocsparse_direction_NS_24const_host_device_scalarIT2_EEPKiS8_PKS5_SA_S6_PS5_21rocsparse_index_base_b, .Lfunc_end181-_ZN9rocsparseL19gebsrmvn_2xn_kernelILj128ELj7ELj64E21rocsparse_complex_numIfEEEvi20rocsparse_direction_NS_24const_host_device_scalarIT2_EEPKiS8_PKS5_SA_S6_PS5_21rocsparse_index_base_b
                                        ; -- End function
	.section	.AMDGPU.csdata,"",@progbits
; Kernel info:
; codeLenInByte = 2528
; NumSgprs: 22
; NumVgprs: 68
; NumAgprs: 0
; TotalNumVgprs: 68
; ScratchSize: 0
; MemoryBound: 0
; FloatMode: 240
; IeeeMode: 1
; LDSByteSize: 0 bytes/workgroup (compile time only)
; SGPRBlocks: 2
; VGPRBlocks: 8
; NumSGPRsForWavesPerEU: 22
; NumVGPRsForWavesPerEU: 68
; AccumOffset: 68
; Occupancy: 7
; WaveLimiterHint : 1
; COMPUTE_PGM_RSRC2:SCRATCH_EN: 0
; COMPUTE_PGM_RSRC2:USER_SGPR: 2
; COMPUTE_PGM_RSRC2:TRAP_HANDLER: 0
; COMPUTE_PGM_RSRC2:TGID_X_EN: 1
; COMPUTE_PGM_RSRC2:TGID_Y_EN: 0
; COMPUTE_PGM_RSRC2:TGID_Z_EN: 0
; COMPUTE_PGM_RSRC2:TIDIG_COMP_CNT: 0
; COMPUTE_PGM_RSRC3_GFX90A:ACCUM_OFFSET: 16
; COMPUTE_PGM_RSRC3_GFX90A:TG_SPLIT: 0
	.section	.text._ZN9rocsparseL19gebsrmvn_2xn_kernelILj128ELj8ELj4E21rocsparse_complex_numIfEEEvi20rocsparse_direction_NS_24const_host_device_scalarIT2_EEPKiS8_PKS5_SA_S6_PS5_21rocsparse_index_base_b,"axG",@progbits,_ZN9rocsparseL19gebsrmvn_2xn_kernelILj128ELj8ELj4E21rocsparse_complex_numIfEEEvi20rocsparse_direction_NS_24const_host_device_scalarIT2_EEPKiS8_PKS5_SA_S6_PS5_21rocsparse_index_base_b,comdat
	.globl	_ZN9rocsparseL19gebsrmvn_2xn_kernelILj128ELj8ELj4E21rocsparse_complex_numIfEEEvi20rocsparse_direction_NS_24const_host_device_scalarIT2_EEPKiS8_PKS5_SA_S6_PS5_21rocsparse_index_base_b ; -- Begin function _ZN9rocsparseL19gebsrmvn_2xn_kernelILj128ELj8ELj4E21rocsparse_complex_numIfEEEvi20rocsparse_direction_NS_24const_host_device_scalarIT2_EEPKiS8_PKS5_SA_S6_PS5_21rocsparse_index_base_b
	.p2align	8
	.type	_ZN9rocsparseL19gebsrmvn_2xn_kernelILj128ELj8ELj4E21rocsparse_complex_numIfEEEvi20rocsparse_direction_NS_24const_host_device_scalarIT2_EEPKiS8_PKS5_SA_S6_PS5_21rocsparse_index_base_b,@function
_ZN9rocsparseL19gebsrmvn_2xn_kernelILj128ELj8ELj4E21rocsparse_complex_numIfEEEvi20rocsparse_direction_NS_24const_host_device_scalarIT2_EEPKiS8_PKS5_SA_S6_PS5_21rocsparse_index_base_b: ; @_ZN9rocsparseL19gebsrmvn_2xn_kernelILj128ELj8ELj4E21rocsparse_complex_numIfEEEvi20rocsparse_direction_NS_24const_host_device_scalarIT2_EEPKiS8_PKS5_SA_S6_PS5_21rocsparse_index_base_b
; %bb.0:
	s_load_dwordx2 s[12:13], s[0:1], 0x40
	s_load_dwordx2 s[8:9], s[0:1], 0x8
	;; [unrolled: 1-line block ×3, first 2 shown]
	s_waitcnt lgkmcnt(0)
	s_bitcmp1_b32 s13, 0
	s_cselect_b64 s[4:5], -1, 0
	s_xor_b64 s[10:11], s[4:5], -1
	s_and_b64 vcc, exec, s[4:5]
	v_mov_b32_e32 v2, s8
	s_cbranch_vccnz .LBB182_2
; %bb.1:
	v_mov_b64_e32 v[2:3], s[8:9]
	flat_load_dword v2, v[2:3]
.LBB182_2:
	v_cndmask_b32_e64 v1, 0, 1, s[10:11]
	v_cmp_ne_u32_e64 s[4:5], 1, v1
	s_andn2_b64 vcc, exec, s[10:11]
	v_mov_b32_e32 v3, s9
	s_cbranch_vccz .LBB182_16
; %bb.3:
	s_and_b64 vcc, exec, s[4:5]
	v_mov_b32_e32 v4, s6
	s_cbranch_vccz .LBB182_17
.LBB182_4:
	s_and_b64 vcc, exec, s[4:5]
	v_mov_b32_e32 v5, s7
	s_cbranch_vccnz .LBB182_6
.LBB182_5:
	v_mov_b64_e32 v[6:7], s[6:7]
	flat_load_dword v5, v[6:7] offset:4
.LBB182_6:
	s_waitcnt vmcnt(0) lgkmcnt(0)
	v_and_b32_e32 v1, 0x7fffffff, v2
	v_cmp_eq_u32_e32 vcc, 0, v1
	v_cmp_eq_f32_e64 s[4:5], 0, v3
	s_and_b64 s[8:9], vcc, s[4:5]
	s_mov_b64 s[4:5], -1
	s_and_saveexec_b64 s[6:7], s[8:9]
; %bb.7:
	v_and_b32_e32 v1, 0x7fffffff, v5
	v_cmp_neq_f32_e32 vcc, 1.0, v4
	v_cmp_ne_u32_e64 s[4:5], 0, v1
	s_or_b64 s[4:5], vcc, s[4:5]
	s_orn2_b64 s[4:5], s[4:5], exec
; %bb.8:
	s_or_b64 exec, exec, s[6:7]
	s_and_saveexec_b64 s[6:7], s[4:5]
	s_cbranch_execz .LBB182_29
; %bb.9:
	s_load_dwordx2 s[14:15], s[0:1], 0x0
	v_lshrrev_b32_e32 v1, 2, v0
	v_lshl_or_b32 v6, s2, 5, v1
	s_waitcnt lgkmcnt(0)
	v_cmp_gt_i32_e32 vcc, s14, v6
	s_and_b64 exec, exec, vcc
	s_cbranch_execz .LBB182_29
; %bb.10:
	s_load_dwordx8 s[4:11], s[0:1], 0x10
	v_ashrrev_i32_e32 v7, 31, v6
	s_cmp_lg_u32 s15, 0
	s_waitcnt lgkmcnt(0)
	v_lshl_add_u64 v[8:9], v[6:7], 2, s[4:5]
	global_load_dwordx2 v[8:9], v[8:9], off
	v_and_b32_e32 v7, 3, v0
	s_waitcnt vmcnt(0)
	v_subrev_u32_e32 v0, s12, v8
	v_subrev_u32_e32 v16, s12, v9
	v_add_u32_e32 v0, v0, v7
	v_cmp_lt_i32_e64 s[2:3], v0, v16
	s_cbranch_scc0 .LBB182_18
; %bb.11:
	v_mov_b32_e32 v11, 0
	v_mov_b32_e32 v10, v11
	;; [unrolled: 1-line block ×4, first 2 shown]
	s_and_saveexec_b64 s[4:5], s[2:3]
	s_cbranch_execz .LBB182_15
; %bb.12:
	v_mov_b32_e32 v13, 0
	v_lshlrev_b32_e32 v12, 4, v0
	s_mov_b64 s[14:15], 0
	v_mov_b32_e32 v14, v0
	v_mov_b32_e32 v8, v13
	;; [unrolled: 1-line block ×5, first 2 shown]
.LBB182_13:                             ; =>This Inner Loop Header: Depth=1
	v_ashrrev_i32_e32 v15, 31, v14
	v_lshl_add_u64 v[18:19], v[14:15], 2, s[6:7]
	global_load_dword v1, v[18:19], off
	v_mov_b32_e32 v47, v13
	v_lshl_add_u64 v[66:67], v[12:13], 3, s[8:9]
	global_load_dwordx4 v[18:21], v[66:67], off
	global_load_dwordx4 v[22:25], v[66:67], off offset:16
	global_load_dwordx4 v[26:29], v[66:67], off offset:48
	;; [unrolled: 1-line block ×6, first 2 shown]
	v_add_u32_e32 v14, 4, v14
	v_cmp_ge_i32_e32 vcc, v14, v16
	v_add_u32_e32 v12, 64, v12
	s_or_b64 s[14:15], vcc, s[14:15]
	s_waitcnt vmcnt(4)
	v_xor_b32_e32 v72, 0x80000000, v29
	v_subrev_u32_e32 v1, s12, v1
	v_lshlrev_b32_e32 v46, 3, v1
	v_lshl_add_u64 v[68:69], v[46:47], 3, s[10:11]
	global_load_dwordx4 v[46:49], v[68:69], off
	global_load_dwordx4 v[50:53], v[68:69], off offset:16
	global_load_dwordx4 v[54:57], v[68:69], off offset:48
	;; [unrolled: 1-line block ×4, first 2 shown]
	v_xor_b32_e32 v66, 0x80000000, v21
	v_mov_b32_e32 v67, v20
	v_xor_b32_e32 v68, 0x80000000, v25
	v_mov_b32_e32 v69, v24
	s_waitcnt vmcnt(8)
	v_xor_b32_e32 v70, 0x80000000, v33
	v_mov_b32_e32 v71, v32
	v_mov_b32_e32 v73, v28
	s_waitcnt vmcnt(5)
	v_xor_b32_e32 v74, 0x80000000, v45
	v_mov_b32_e32 v75, v44
	v_xor_b32_e32 v76, 0x80000000, v41
	v_mov_b32_e32 v77, v40
	;; [unrolled: 2-line block ×3, first 2 shown]
	s_waitcnt vmcnt(4)
	v_pk_fma_f32 v[10:11], v[18:19], v[46:47], v[10:11] op_sel_hi:[1,0,1]
	v_pk_fma_f32 v[8:9], v[20:21], v[46:47], v[8:9] op_sel_hi:[1,0,1]
	v_pk_fma_f32 v[10:11], v[18:19], v[46:47], v[10:11] op_sel:[1,1,0] op_sel_hi:[0,1,1] neg_lo:[1,0,0]
	v_pk_fma_f32 v[8:9], v[66:67], v[46:47], v[8:9] op_sel:[0,1,0]
	v_mov_b32_e32 v20, v49
	v_pk_fma_f32 v[10:11], v[22:23], v[48:49], v[10:11] op_sel_hi:[1,0,1]
	v_pk_fma_f32 v[8:9], v[24:25], v[48:49], v[8:9] op_sel_hi:[1,0,1]
	v_pk_fma_f32 v[10:11], v[22:23], v[20:21], v[10:11] op_sel:[1,0,0] op_sel_hi:[0,0,1] neg_lo:[1,0,0]
	v_pk_fma_f32 v[8:9], v[68:69], v[20:21], v[8:9] op_sel_hi:[1,0,1]
	s_waitcnt vmcnt(3)
	v_pk_fma_f32 v[10:11], v[30:31], v[50:51], v[10:11] op_sel_hi:[1,0,1]
	v_pk_fma_f32 v[8:9], v[32:33], v[50:51], v[8:9] op_sel_hi:[1,0,1]
	v_pk_fma_f32 v[10:11], v[30:31], v[50:51], v[10:11] op_sel:[1,1,0] op_sel_hi:[0,1,1] neg_lo:[1,0,0]
	v_pk_fma_f32 v[8:9], v[70:71], v[50:51], v[8:9] op_sel:[0,1,0]
	v_mov_b32_e32 v18, v53
	v_pk_fma_f32 v[10:11], v[26:27], v[52:53], v[10:11] op_sel_hi:[1,0,1]
	v_pk_fma_f32 v[8:9], v[28:29], v[52:53], v[8:9] op_sel_hi:[1,0,1]
	v_pk_fma_f32 v[10:11], v[26:27], v[18:19], v[10:11] op_sel:[1,0,0] op_sel_hi:[0,0,1] neg_lo:[1,0,0]
	v_pk_fma_f32 v[8:9], v[72:73], v[18:19], v[8:9] op_sel_hi:[1,0,1]
	;; [unrolled: 10-line block ×3, first 2 shown]
	v_pk_fma_f32 v[10:11], v[34:35], v[54:55], v[10:11] op_sel_hi:[1,0,1]
	v_pk_fma_f32 v[8:9], v[36:37], v[54:55], v[8:9] op_sel_hi:[1,0,1]
	v_pk_fma_f32 v[10:11], v[34:35], v[54:55], v[10:11] op_sel:[1,1,0] op_sel_hi:[0,1,1] neg_lo:[1,0,0]
	v_pk_fma_f32 v[8:9], v[78:79], v[54:55], v[8:9] op_sel:[0,1,0]
	s_waitcnt vmcnt(0)
	v_xor_b32_e32 v80, 0x80000000, v65
	v_mov_b32_e32 v81, v64
	v_mov_b32_e32 v46, v57
	v_pk_fma_f32 v[10:11], v[62:63], v[56:57], v[10:11] op_sel_hi:[1,0,1]
	v_pk_fma_f32 v[8:9], v[64:65], v[56:57], v[8:9] op_sel_hi:[1,0,1]
	v_pk_fma_f32 v[10:11], v[62:63], v[46:47], v[10:11] op_sel:[1,0,0] op_sel_hi:[0,0,1] neg_lo:[1,0,0]
	v_pk_fma_f32 v[8:9], v[80:81], v[46:47], v[8:9] op_sel_hi:[1,0,1]
	s_andn2_b64 exec, exec, s[14:15]
	s_cbranch_execnz .LBB182_13
; %bb.14:
	s_or_b64 exec, exec, s[14:15]
.LBB182_15:
	s_or_b64 exec, exec, s[4:5]
	s_cbranch_execz .LBB182_19
	s_branch .LBB182_24
.LBB182_16:
	v_mov_b64_e32 v[4:5], s[8:9]
	flat_load_dword v3, v[4:5] offset:4
	s_and_b64 vcc, exec, s[4:5]
	v_mov_b32_e32 v4, s6
	s_cbranch_vccnz .LBB182_4
.LBB182_17:
	v_mov_b64_e32 v[4:5], s[6:7]
	flat_load_dword v4, v[4:5]
	s_and_b64 vcc, exec, s[4:5]
	v_mov_b32_e32 v5, s7
	s_cbranch_vccz .LBB182_5
	s_branch .LBB182_6
.LBB182_18:
                                        ; implicit-def: $vgpr11
                                        ; implicit-def: $vgpr9
.LBB182_19:
	v_mov_b32_e32 v11, 0
	v_mov_b32_e32 v10, v11
	;; [unrolled: 1-line block ×4, first 2 shown]
	s_and_saveexec_b64 s[4:5], s[2:3]
	s_cbranch_execz .LBB182_23
; %bb.20:
	v_mov_b32_e32 v13, 0
	v_lshlrev_b32_e32 v12, 4, v0
	s_mov_b64 s[2:3], 0
	v_mov_b32_e32 v8, v13
	v_mov_b32_e32 v9, v13
	v_mov_b32_e32 v10, v13
	v_mov_b32_e32 v11, v13
.LBB182_21:                             ; =>This Inner Loop Header: Depth=1
	v_ashrrev_i32_e32 v1, 31, v0
	v_lshl_add_u64 v[14:15], v[0:1], 2, s[6:7]
	global_load_dword v1, v[14:15], off
	v_lshl_add_u64 v[14:15], v[12:13], 3, s[8:9]
	v_mov_b32_e32 v51, v13
	global_load_dwordx4 v[18:21], v[14:15], off offset:16
	global_load_dwordx4 v[22:25], v[14:15], off
	global_load_dwordx4 v[26:29], v[14:15], off offset:80
	global_load_dwordx4 v[30:33], v[14:15], off offset:64
	;; [unrolled: 1-line block ×6, first 2 shown]
	v_add_u32_e32 v0, 4, v0
	v_cmp_ge_i32_e32 vcc, v0, v16
	v_add_u32_e32 v12, 64, v12
	s_or_b64 s[2:3], vcc, s[2:3]
	s_waitcnt vmcnt(7)
	v_xor_b32_e32 v68, 0x80000000, v21
	v_mov_b32_e32 v69, v20
	s_waitcnt vmcnt(4)
	v_xor_b32_e32 v66, 0x80000000, v33
	v_subrev_u32_e32 v1, s12, v1
	v_lshlrev_b32_e32 v50, 3, v1
	v_lshl_add_u64 v[14:15], v[50:51], 3, s[10:11]
	global_load_dwordx4 v[50:53], v[14:15], off
	global_load_dwordx4 v[54:57], v[14:15], off offset:16
	global_load_dwordx4 v[58:61], v[14:15], off offset:32
	;; [unrolled: 1-line block ×3, first 2 shown]
	v_xor_b32_e32 v14, 0x80000000, v25
	v_mov_b32_e32 v15, v24
	v_mov_b32_e32 v67, v32
	s_waitcnt vmcnt(6)
	v_xor_b32_e32 v70, 0x80000000, v41
	v_mov_b32_e32 v71, v40
	v_xor_b32_e32 v72, 0x80000000, v37
	v_mov_b32_e32 v73, v36
	s_waitcnt vmcnt(3)
	v_pk_fma_f32 v[10:11], v[22:23], v[50:51], v[10:11] op_sel_hi:[1,0,1]
	v_pk_fma_f32 v[8:9], v[30:31], v[50:51], v[8:9] op_sel_hi:[1,0,1]
	v_pk_fma_f32 v[10:11], v[22:23], v[50:51], v[10:11] op_sel:[1,1,0] op_sel_hi:[0,1,1] neg_lo:[1,0,0]
	v_pk_fma_f32 v[8:9], v[30:31], v[50:51], v[8:9] op_sel:[1,1,0] op_sel_hi:[0,1,1] neg_lo:[1,0,0]
	v_pk_fma_f32 v[10:11], v[24:25], v[52:53], v[10:11] op_sel_hi:[1,0,1]
	v_pk_fma_f32 v[8:9], v[32:33], v[52:53], v[8:9] op_sel_hi:[1,0,1]
	v_mov_b32_e32 v32, v53
	v_pk_fma_f32 v[10:11], v[14:15], v[32:33], v[10:11] op_sel_hi:[1,0,1]
	v_pk_fma_f32 v[8:9], v[66:67], v[32:33], v[8:9] op_sel_hi:[1,0,1]
	s_waitcnt vmcnt(2)
	v_pk_fma_f32 v[10:11], v[18:19], v[54:55], v[10:11] op_sel_hi:[1,0,1]
	v_pk_fma_f32 v[8:9], v[26:27], v[54:55], v[8:9] op_sel_hi:[1,0,1]
	v_pk_fma_f32 v[10:11], v[18:19], v[54:55], v[10:11] op_sel:[1,1,0] op_sel_hi:[0,1,1] neg_lo:[1,0,0]
	v_pk_fma_f32 v[8:9], v[26:27], v[54:55], v[8:9] op_sel:[1,1,0] op_sel_hi:[0,1,1] neg_lo:[1,0,0]
	v_xor_b32_e32 v22, 0x80000000, v29
	v_mov_b32_e32 v23, v28
	v_mov_b32_e32 v50, v57
	v_pk_fma_f32 v[10:11], v[20:21], v[56:57], v[10:11] op_sel_hi:[1,0,1]
	v_pk_fma_f32 v[8:9], v[28:29], v[56:57], v[8:9] op_sel_hi:[1,0,1]
	v_pk_fma_f32 v[10:11], v[68:69], v[50:51], v[10:11] op_sel_hi:[1,0,1]
	v_pk_fma_f32 v[8:9], v[22:23], v[50:51], v[8:9] op_sel_hi:[1,0,1]
	s_waitcnt vmcnt(1)
	v_pk_fma_f32 v[10:11], v[38:39], v[58:59], v[10:11] op_sel_hi:[1,0,1]
	v_pk_fma_f32 v[8:9], v[46:47], v[58:59], v[8:9] op_sel_hi:[1,0,1]
	v_pk_fma_f32 v[10:11], v[38:39], v[58:59], v[10:11] op_sel:[1,1,0] op_sel_hi:[0,1,1] neg_lo:[1,0,0]
	v_pk_fma_f32 v[8:9], v[46:47], v[58:59], v[8:9] op_sel:[1,1,0] op_sel_hi:[0,1,1] neg_lo:[1,0,0]
	v_xor_b32_e32 v24, 0x80000000, v49
	v_mov_b32_e32 v25, v48
	v_mov_b32_e32 v52, v61
	v_pk_fma_f32 v[10:11], v[40:41], v[60:61], v[10:11] op_sel_hi:[1,0,1]
	v_pk_fma_f32 v[8:9], v[48:49], v[60:61], v[8:9] op_sel_hi:[1,0,1]
	;; [unrolled: 12-line block ×3, first 2 shown]
	v_pk_fma_f32 v[10:11], v[72:73], v[14:15], v[10:11] op_sel_hi:[1,0,1]
	v_pk_fma_f32 v[8:9], v[30:31], v[14:15], v[8:9] op_sel_hi:[1,0,1]
	s_andn2_b64 exec, exec, s[2:3]
	s_cbranch_execnz .LBB182_21
; %bb.22:
	s_or_b64 exec, exec, s[2:3]
.LBB182_23:
	s_or_b64 exec, exec, s[4:5]
.LBB182_24:
	v_mov_b32_dpp v0, v10 row_shr:1 row_mask:0xf bank_mask:0xf
	v_mov_b32_dpp v12, v8 row_shr:1 row_mask:0xf bank_mask:0xf
	v_add_f32_e32 v0, v10, v0
	v_mov_b32_dpp v10, v11 row_shr:1 row_mask:0xf bank_mask:0xf
	v_add_f32_e32 v13, v8, v12
	;; [unrolled: 2-line block ×3, first 2 shown]
	v_add_f32_e32 v9, v9, v8
	v_mov_b32_dpp v1, v0 row_shr:2 row_mask:0xf bank_mask:0xf
	v_mov_b32_dpp v11, v10 row_shr:2 row_mask:0xf bank_mask:0xf
	v_mov_b32_dpp v14, v13 row_shr:2 row_mask:0xf bank_mask:0xf
	v_mov_b32_dpp v15, v9 row_shr:2 row_mask:0xf bank_mask:0xf
	v_cmp_eq_u32_e32 vcc, 3, v7
	s_and_b64 exec, exec, vcc
	s_cbranch_execz .LBB182_29
; %bb.25:
	s_load_dwordx2 s[2:3], s[0:1], 0x38
	v_add_f32_e32 v8, v0, v1
	v_and_b32_e32 v1, 0x7fffffff, v4
	v_cmp_eq_u32_e32 vcc, 0, v1
	v_cmp_eq_f32_e64 s[0:1], 0, v5
	v_add_f32_e32 v12, v10, v11
	v_add_f32_e32 v0, v13, v14
	;; [unrolled: 1-line block ×3, first 2 shown]
	s_and_b64 s[0:1], vcc, s[0:1]
	s_and_saveexec_b64 s[4:5], s[0:1]
	s_xor_b64 s[0:1], exec, s[4:5]
	s_cbranch_execz .LBB182_27
; %bb.26:
	v_lshlrev_b32_e32 v4, 1, v6
	v_xor_b32_e32 v14, 0x80000000, v3
	v_ashrrev_i32_e32 v5, 31, v4
	v_mov_b32_e32 v15, v2
	s_waitcnt lgkmcnt(0)
	v_lshl_add_u64 v[16:17], v[4:5], 3, s[2:3]
	v_pk_mul_f32 v[4:5], v[12:13], v[14:15] op_sel_hi:[0,1]
	v_pk_mul_f32 v[6:7], v[10:11], v[14:15] op_sel_hi:[0,1]
	v_pk_fma_f32 v[4:5], v[2:3], v[8:9], v[4:5] op_sel_hi:[1,0,1]
	v_pk_fma_f32 v[6:7], v[2:3], v[0:1], v[6:7] op_sel_hi:[1,0,1]
	global_store_dwordx4 v[16:17], v[4:7], off
                                        ; implicit-def: $vgpr3
                                        ; implicit-def: $vgpr4
                                        ; implicit-def: $vgpr6
                                        ; implicit-def: $vgpr8
                                        ; implicit-def: $vgpr12
                                        ; implicit-def: $vgpr0
                                        ; implicit-def: $vgpr10
.LBB182_27:
	s_andn2_saveexec_b64 s[0:1], s[0:1]
	s_cbranch_execz .LBB182_29
; %bb.28:
	v_lshlrev_b32_e32 v6, 1, v6
	v_ashrrev_i32_e32 v7, 31, v6
	s_waitcnt lgkmcnt(0)
	v_lshl_add_u64 v[6:7], v[6:7], 3, s[2:3]
	global_load_dwordx4 v[14:17], v[6:7], off
	v_xor_b32_e32 v18, 0x80000000, v3
	v_mov_b32_e32 v19, v2
	v_pk_mul_f32 v[12:13], v[12:13], v[18:19] op_sel_hi:[0,1]
	v_pk_mul_f32 v[10:11], v[10:11], v[18:19] op_sel_hi:[0,1]
	v_pk_fma_f32 v[8:9], v[2:3], v[8:9], v[12:13] op_sel_hi:[1,0,1]
	v_pk_fma_f32 v[0:1], v[2:3], v[0:1], v[10:11] op_sel_hi:[1,0,1]
	v_xor_b32_e32 v20, 0x80000000, v5
	v_mov_b32_e32 v21, v4
	s_waitcnt vmcnt(0)
	v_pk_fma_f32 v[2:3], v[4:5], v[14:15], v[8:9] op_sel_hi:[1,0,1]
	v_pk_fma_f32 v[4:5], v[4:5], v[16:17], v[0:1] op_sel_hi:[1,0,1]
	v_mov_b32_e32 v8, v17
	v_pk_fma_f32 v[0:1], v[20:21], v[14:15], v[2:3] op_sel:[0,1,0]
	v_pk_fma_f32 v[2:3], v[20:21], v[8:9], v[4:5] op_sel_hi:[1,0,1]
	global_store_dwordx4 v[6:7], v[0:3], off
.LBB182_29:
	s_endpgm
	.section	.rodata,"a",@progbits
	.p2align	6, 0x0
	.amdhsa_kernel _ZN9rocsparseL19gebsrmvn_2xn_kernelILj128ELj8ELj4E21rocsparse_complex_numIfEEEvi20rocsparse_direction_NS_24const_host_device_scalarIT2_EEPKiS8_PKS5_SA_S6_PS5_21rocsparse_index_base_b
		.amdhsa_group_segment_fixed_size 0
		.amdhsa_private_segment_fixed_size 0
		.amdhsa_kernarg_size 72
		.amdhsa_user_sgpr_count 2
		.amdhsa_user_sgpr_dispatch_ptr 0
		.amdhsa_user_sgpr_queue_ptr 0
		.amdhsa_user_sgpr_kernarg_segment_ptr 1
		.amdhsa_user_sgpr_dispatch_id 0
		.amdhsa_user_sgpr_kernarg_preload_length 0
		.amdhsa_user_sgpr_kernarg_preload_offset 0
		.amdhsa_user_sgpr_private_segment_size 0
		.amdhsa_uses_dynamic_stack 0
		.amdhsa_enable_private_segment 0
		.amdhsa_system_sgpr_workgroup_id_x 1
		.amdhsa_system_sgpr_workgroup_id_y 0
		.amdhsa_system_sgpr_workgroup_id_z 0
		.amdhsa_system_sgpr_workgroup_info 0
		.amdhsa_system_vgpr_workitem_id 0
		.amdhsa_next_free_vgpr 84
		.amdhsa_next_free_sgpr 16
		.amdhsa_accum_offset 84
		.amdhsa_reserve_vcc 1
		.amdhsa_float_round_mode_32 0
		.amdhsa_float_round_mode_16_64 0
		.amdhsa_float_denorm_mode_32 3
		.amdhsa_float_denorm_mode_16_64 3
		.amdhsa_dx10_clamp 1
		.amdhsa_ieee_mode 1
		.amdhsa_fp16_overflow 0
		.amdhsa_tg_split 0
		.amdhsa_exception_fp_ieee_invalid_op 0
		.amdhsa_exception_fp_denorm_src 0
		.amdhsa_exception_fp_ieee_div_zero 0
		.amdhsa_exception_fp_ieee_overflow 0
		.amdhsa_exception_fp_ieee_underflow 0
		.amdhsa_exception_fp_ieee_inexact 0
		.amdhsa_exception_int_div_zero 0
	.end_amdhsa_kernel
	.section	.text._ZN9rocsparseL19gebsrmvn_2xn_kernelILj128ELj8ELj4E21rocsparse_complex_numIfEEEvi20rocsparse_direction_NS_24const_host_device_scalarIT2_EEPKiS8_PKS5_SA_S6_PS5_21rocsparse_index_base_b,"axG",@progbits,_ZN9rocsparseL19gebsrmvn_2xn_kernelILj128ELj8ELj4E21rocsparse_complex_numIfEEEvi20rocsparse_direction_NS_24const_host_device_scalarIT2_EEPKiS8_PKS5_SA_S6_PS5_21rocsparse_index_base_b,comdat
.Lfunc_end182:
	.size	_ZN9rocsparseL19gebsrmvn_2xn_kernelILj128ELj8ELj4E21rocsparse_complex_numIfEEEvi20rocsparse_direction_NS_24const_host_device_scalarIT2_EEPKiS8_PKS5_SA_S6_PS5_21rocsparse_index_base_b, .Lfunc_end182-_ZN9rocsparseL19gebsrmvn_2xn_kernelILj128ELj8ELj4E21rocsparse_complex_numIfEEEvi20rocsparse_direction_NS_24const_host_device_scalarIT2_EEPKiS8_PKS5_SA_S6_PS5_21rocsparse_index_base_b
                                        ; -- End function
	.section	.AMDGPU.csdata,"",@progbits
; Kernel info:
; codeLenInByte = 1988
; NumSgprs: 22
; NumVgprs: 84
; NumAgprs: 0
; TotalNumVgprs: 84
; ScratchSize: 0
; MemoryBound: 0
; FloatMode: 240
; IeeeMode: 1
; LDSByteSize: 0 bytes/workgroup (compile time only)
; SGPRBlocks: 2
; VGPRBlocks: 10
; NumSGPRsForWavesPerEU: 22
; NumVGPRsForWavesPerEU: 84
; AccumOffset: 84
; Occupancy: 5
; WaveLimiterHint : 1
; COMPUTE_PGM_RSRC2:SCRATCH_EN: 0
; COMPUTE_PGM_RSRC2:USER_SGPR: 2
; COMPUTE_PGM_RSRC2:TRAP_HANDLER: 0
; COMPUTE_PGM_RSRC2:TGID_X_EN: 1
; COMPUTE_PGM_RSRC2:TGID_Y_EN: 0
; COMPUTE_PGM_RSRC2:TGID_Z_EN: 0
; COMPUTE_PGM_RSRC2:TIDIG_COMP_CNT: 0
; COMPUTE_PGM_RSRC3_GFX90A:ACCUM_OFFSET: 20
; COMPUTE_PGM_RSRC3_GFX90A:TG_SPLIT: 0
	.section	.text._ZN9rocsparseL19gebsrmvn_2xn_kernelILj128ELj8ELj8E21rocsparse_complex_numIfEEEvi20rocsparse_direction_NS_24const_host_device_scalarIT2_EEPKiS8_PKS5_SA_S6_PS5_21rocsparse_index_base_b,"axG",@progbits,_ZN9rocsparseL19gebsrmvn_2xn_kernelILj128ELj8ELj8E21rocsparse_complex_numIfEEEvi20rocsparse_direction_NS_24const_host_device_scalarIT2_EEPKiS8_PKS5_SA_S6_PS5_21rocsparse_index_base_b,comdat
	.globl	_ZN9rocsparseL19gebsrmvn_2xn_kernelILj128ELj8ELj8E21rocsparse_complex_numIfEEEvi20rocsparse_direction_NS_24const_host_device_scalarIT2_EEPKiS8_PKS5_SA_S6_PS5_21rocsparse_index_base_b ; -- Begin function _ZN9rocsparseL19gebsrmvn_2xn_kernelILj128ELj8ELj8E21rocsparse_complex_numIfEEEvi20rocsparse_direction_NS_24const_host_device_scalarIT2_EEPKiS8_PKS5_SA_S6_PS5_21rocsparse_index_base_b
	.p2align	8
	.type	_ZN9rocsparseL19gebsrmvn_2xn_kernelILj128ELj8ELj8E21rocsparse_complex_numIfEEEvi20rocsparse_direction_NS_24const_host_device_scalarIT2_EEPKiS8_PKS5_SA_S6_PS5_21rocsparse_index_base_b,@function
_ZN9rocsparseL19gebsrmvn_2xn_kernelILj128ELj8ELj8E21rocsparse_complex_numIfEEEvi20rocsparse_direction_NS_24const_host_device_scalarIT2_EEPKiS8_PKS5_SA_S6_PS5_21rocsparse_index_base_b: ; @_ZN9rocsparseL19gebsrmvn_2xn_kernelILj128ELj8ELj8E21rocsparse_complex_numIfEEEvi20rocsparse_direction_NS_24const_host_device_scalarIT2_EEPKiS8_PKS5_SA_S6_PS5_21rocsparse_index_base_b
; %bb.0:
	s_load_dwordx2 s[12:13], s[0:1], 0x40
	s_load_dwordx2 s[8:9], s[0:1], 0x8
	;; [unrolled: 1-line block ×3, first 2 shown]
	s_waitcnt lgkmcnt(0)
	s_bitcmp1_b32 s13, 0
	s_cselect_b64 s[4:5], -1, 0
	s_xor_b64 s[10:11], s[4:5], -1
	s_and_b64 vcc, exec, s[4:5]
	v_mov_b32_e32 v2, s8
	s_cbranch_vccnz .LBB183_2
; %bb.1:
	v_mov_b64_e32 v[2:3], s[8:9]
	flat_load_dword v2, v[2:3]
.LBB183_2:
	v_cndmask_b32_e64 v1, 0, 1, s[10:11]
	v_cmp_ne_u32_e64 s[4:5], 1, v1
	s_andn2_b64 vcc, exec, s[10:11]
	v_mov_b32_e32 v3, s9
	s_cbranch_vccz .LBB183_16
; %bb.3:
	s_and_b64 vcc, exec, s[4:5]
	v_mov_b32_e32 v4, s6
	s_cbranch_vccz .LBB183_17
.LBB183_4:
	s_and_b64 vcc, exec, s[4:5]
	v_mov_b32_e32 v5, s7
	s_cbranch_vccnz .LBB183_6
.LBB183_5:
	v_mov_b64_e32 v[6:7], s[6:7]
	flat_load_dword v5, v[6:7] offset:4
.LBB183_6:
	s_waitcnt vmcnt(0) lgkmcnt(0)
	v_and_b32_e32 v1, 0x7fffffff, v2
	v_cmp_eq_u32_e32 vcc, 0, v1
	v_cmp_eq_f32_e64 s[4:5], 0, v3
	s_and_b64 s[8:9], vcc, s[4:5]
	s_mov_b64 s[4:5], -1
	s_and_saveexec_b64 s[6:7], s[8:9]
; %bb.7:
	v_and_b32_e32 v1, 0x7fffffff, v5
	v_cmp_neq_f32_e32 vcc, 1.0, v4
	v_cmp_ne_u32_e64 s[4:5], 0, v1
	s_or_b64 s[4:5], vcc, s[4:5]
	s_orn2_b64 s[4:5], s[4:5], exec
; %bb.8:
	s_or_b64 exec, exec, s[6:7]
	s_and_saveexec_b64 s[6:7], s[4:5]
	s_cbranch_execz .LBB183_29
; %bb.9:
	s_load_dwordx2 s[14:15], s[0:1], 0x0
	v_lshrrev_b32_e32 v1, 3, v0
	v_lshl_or_b32 v6, s2, 4, v1
	s_waitcnt lgkmcnt(0)
	v_cmp_gt_i32_e32 vcc, s14, v6
	s_and_b64 exec, exec, vcc
	s_cbranch_execz .LBB183_29
; %bb.10:
	s_load_dwordx8 s[4:11], s[0:1], 0x10
	v_ashrrev_i32_e32 v7, 31, v6
	s_cmp_lg_u32 s15, 0
	s_waitcnt lgkmcnt(0)
	v_lshl_add_u64 v[8:9], v[6:7], 2, s[4:5]
	global_load_dwordx2 v[8:9], v[8:9], off
	v_and_b32_e32 v7, 7, v0
	s_waitcnt vmcnt(0)
	v_subrev_u32_e32 v0, s12, v8
	v_subrev_u32_e32 v16, s12, v9
	v_add_u32_e32 v0, v0, v7
	v_cmp_lt_i32_e64 s[2:3], v0, v16
	s_cbranch_scc0 .LBB183_18
; %bb.11:
	v_mov_b32_e32 v11, 0
	v_mov_b32_e32 v10, v11
	;; [unrolled: 1-line block ×4, first 2 shown]
	s_and_saveexec_b64 s[4:5], s[2:3]
	s_cbranch_execz .LBB183_15
; %bb.12:
	v_mov_b32_e32 v13, 0
	v_lshlrev_b32_e32 v12, 4, v0
	s_mov_b64 s[14:15], 0
	v_mov_b32_e32 v14, v0
	v_mov_b32_e32 v8, v13
	;; [unrolled: 1-line block ×5, first 2 shown]
.LBB183_13:                             ; =>This Inner Loop Header: Depth=1
	v_ashrrev_i32_e32 v15, 31, v14
	v_lshl_add_u64 v[18:19], v[14:15], 2, s[6:7]
	global_load_dword v1, v[18:19], off
	v_mov_b32_e32 v47, v13
	v_lshl_add_u64 v[66:67], v[12:13], 3, s[8:9]
	global_load_dwordx4 v[18:21], v[66:67], off
	global_load_dwordx4 v[22:25], v[66:67], off offset:16
	global_load_dwordx4 v[26:29], v[66:67], off offset:48
	;; [unrolled: 1-line block ×6, first 2 shown]
	v_add_u32_e32 v14, 8, v14
	v_cmp_ge_i32_e32 vcc, v14, v16
	v_add_u32_e32 v12, 0x80, v12
	s_or_b64 s[14:15], vcc, s[14:15]
	s_waitcnt vmcnt(4)
	v_xor_b32_e32 v72, 0x80000000, v29
	v_subrev_u32_e32 v1, s12, v1
	v_lshlrev_b32_e32 v46, 3, v1
	v_lshl_add_u64 v[68:69], v[46:47], 3, s[10:11]
	global_load_dwordx4 v[46:49], v[68:69], off
	global_load_dwordx4 v[50:53], v[68:69], off offset:16
	global_load_dwordx4 v[54:57], v[68:69], off offset:48
	;; [unrolled: 1-line block ×4, first 2 shown]
	v_xor_b32_e32 v66, 0x80000000, v21
	v_mov_b32_e32 v67, v20
	v_xor_b32_e32 v68, 0x80000000, v25
	v_mov_b32_e32 v69, v24
	s_waitcnt vmcnt(8)
	v_xor_b32_e32 v70, 0x80000000, v33
	v_mov_b32_e32 v71, v32
	v_mov_b32_e32 v73, v28
	s_waitcnt vmcnt(5)
	v_xor_b32_e32 v74, 0x80000000, v45
	v_mov_b32_e32 v75, v44
	v_xor_b32_e32 v76, 0x80000000, v41
	v_mov_b32_e32 v77, v40
	v_xor_b32_e32 v78, 0x80000000, v37
	v_mov_b32_e32 v79, v36
	s_waitcnt vmcnt(4)
	v_pk_fma_f32 v[10:11], v[18:19], v[46:47], v[10:11] op_sel_hi:[1,0,1]
	v_pk_fma_f32 v[8:9], v[20:21], v[46:47], v[8:9] op_sel_hi:[1,0,1]
	v_pk_fma_f32 v[10:11], v[18:19], v[46:47], v[10:11] op_sel:[1,1,0] op_sel_hi:[0,1,1] neg_lo:[1,0,0]
	v_pk_fma_f32 v[8:9], v[66:67], v[46:47], v[8:9] op_sel:[0,1,0]
	v_mov_b32_e32 v20, v49
	v_pk_fma_f32 v[10:11], v[22:23], v[48:49], v[10:11] op_sel_hi:[1,0,1]
	v_pk_fma_f32 v[8:9], v[24:25], v[48:49], v[8:9] op_sel_hi:[1,0,1]
	v_pk_fma_f32 v[10:11], v[22:23], v[20:21], v[10:11] op_sel:[1,0,0] op_sel_hi:[0,0,1] neg_lo:[1,0,0]
	v_pk_fma_f32 v[8:9], v[68:69], v[20:21], v[8:9] op_sel_hi:[1,0,1]
	s_waitcnt vmcnt(3)
	v_pk_fma_f32 v[10:11], v[30:31], v[50:51], v[10:11] op_sel_hi:[1,0,1]
	v_pk_fma_f32 v[8:9], v[32:33], v[50:51], v[8:9] op_sel_hi:[1,0,1]
	v_pk_fma_f32 v[10:11], v[30:31], v[50:51], v[10:11] op_sel:[1,1,0] op_sel_hi:[0,1,1] neg_lo:[1,0,0]
	v_pk_fma_f32 v[8:9], v[70:71], v[50:51], v[8:9] op_sel:[0,1,0]
	v_mov_b32_e32 v18, v53
	v_pk_fma_f32 v[10:11], v[26:27], v[52:53], v[10:11] op_sel_hi:[1,0,1]
	v_pk_fma_f32 v[8:9], v[28:29], v[52:53], v[8:9] op_sel_hi:[1,0,1]
	v_pk_fma_f32 v[10:11], v[26:27], v[18:19], v[10:11] op_sel:[1,0,0] op_sel_hi:[0,0,1] neg_lo:[1,0,0]
	v_pk_fma_f32 v[8:9], v[72:73], v[18:19], v[8:9] op_sel_hi:[1,0,1]
	;; [unrolled: 10-line block ×3, first 2 shown]
	v_pk_fma_f32 v[10:11], v[34:35], v[54:55], v[10:11] op_sel_hi:[1,0,1]
	v_pk_fma_f32 v[8:9], v[36:37], v[54:55], v[8:9] op_sel_hi:[1,0,1]
	v_pk_fma_f32 v[10:11], v[34:35], v[54:55], v[10:11] op_sel:[1,1,0] op_sel_hi:[0,1,1] neg_lo:[1,0,0]
	v_pk_fma_f32 v[8:9], v[78:79], v[54:55], v[8:9] op_sel:[0,1,0]
	s_waitcnt vmcnt(0)
	v_xor_b32_e32 v80, 0x80000000, v65
	v_mov_b32_e32 v81, v64
	v_mov_b32_e32 v46, v57
	v_pk_fma_f32 v[10:11], v[62:63], v[56:57], v[10:11] op_sel_hi:[1,0,1]
	v_pk_fma_f32 v[8:9], v[64:65], v[56:57], v[8:9] op_sel_hi:[1,0,1]
	v_pk_fma_f32 v[10:11], v[62:63], v[46:47], v[10:11] op_sel:[1,0,0] op_sel_hi:[0,0,1] neg_lo:[1,0,0]
	v_pk_fma_f32 v[8:9], v[80:81], v[46:47], v[8:9] op_sel_hi:[1,0,1]
	s_andn2_b64 exec, exec, s[14:15]
	s_cbranch_execnz .LBB183_13
; %bb.14:
	s_or_b64 exec, exec, s[14:15]
.LBB183_15:
	s_or_b64 exec, exec, s[4:5]
	s_cbranch_execz .LBB183_19
	s_branch .LBB183_24
.LBB183_16:
	v_mov_b64_e32 v[4:5], s[8:9]
	flat_load_dword v3, v[4:5] offset:4
	s_and_b64 vcc, exec, s[4:5]
	v_mov_b32_e32 v4, s6
	s_cbranch_vccnz .LBB183_4
.LBB183_17:
	v_mov_b64_e32 v[4:5], s[6:7]
	flat_load_dword v4, v[4:5]
	s_and_b64 vcc, exec, s[4:5]
	v_mov_b32_e32 v5, s7
	s_cbranch_vccz .LBB183_5
	s_branch .LBB183_6
.LBB183_18:
                                        ; implicit-def: $vgpr11
                                        ; implicit-def: $vgpr9
.LBB183_19:
	v_mov_b32_e32 v11, 0
	v_mov_b32_e32 v10, v11
	v_mov_b32_e32 v9, v11
	v_mov_b32_e32 v8, v11
	s_and_saveexec_b64 s[4:5], s[2:3]
	s_cbranch_execz .LBB183_23
; %bb.20:
	v_mov_b32_e32 v13, 0
	v_lshlrev_b32_e32 v12, 4, v0
	s_mov_b64 s[2:3], 0
	v_mov_b32_e32 v8, v13
	v_mov_b32_e32 v9, v13
	v_mov_b32_e32 v10, v13
	v_mov_b32_e32 v11, v13
.LBB183_21:                             ; =>This Inner Loop Header: Depth=1
	v_ashrrev_i32_e32 v1, 31, v0
	v_lshl_add_u64 v[14:15], v[0:1], 2, s[6:7]
	global_load_dword v1, v[14:15], off
	v_lshl_add_u64 v[14:15], v[12:13], 3, s[8:9]
	v_mov_b32_e32 v51, v13
	global_load_dwordx4 v[18:21], v[14:15], off offset:16
	global_load_dwordx4 v[22:25], v[14:15], off
	global_load_dwordx4 v[26:29], v[14:15], off offset:80
	global_load_dwordx4 v[30:33], v[14:15], off offset:64
	;; [unrolled: 1-line block ×6, first 2 shown]
	v_add_u32_e32 v0, 8, v0
	v_cmp_ge_i32_e32 vcc, v0, v16
	v_add_u32_e32 v12, 0x80, v12
	s_or_b64 s[2:3], vcc, s[2:3]
	s_waitcnt vmcnt(7)
	v_xor_b32_e32 v68, 0x80000000, v21
	v_mov_b32_e32 v69, v20
	s_waitcnt vmcnt(4)
	v_xor_b32_e32 v66, 0x80000000, v33
	v_subrev_u32_e32 v1, s12, v1
	v_lshlrev_b32_e32 v50, 3, v1
	v_lshl_add_u64 v[14:15], v[50:51], 3, s[10:11]
	global_load_dwordx4 v[50:53], v[14:15], off
	global_load_dwordx4 v[54:57], v[14:15], off offset:16
	global_load_dwordx4 v[58:61], v[14:15], off offset:32
	;; [unrolled: 1-line block ×3, first 2 shown]
	v_xor_b32_e32 v14, 0x80000000, v25
	v_mov_b32_e32 v15, v24
	v_mov_b32_e32 v67, v32
	s_waitcnt vmcnt(6)
	v_xor_b32_e32 v70, 0x80000000, v41
	v_mov_b32_e32 v71, v40
	v_xor_b32_e32 v72, 0x80000000, v37
	v_mov_b32_e32 v73, v36
	s_waitcnt vmcnt(3)
	v_pk_fma_f32 v[10:11], v[22:23], v[50:51], v[10:11] op_sel_hi:[1,0,1]
	v_pk_fma_f32 v[8:9], v[30:31], v[50:51], v[8:9] op_sel_hi:[1,0,1]
	v_pk_fma_f32 v[10:11], v[22:23], v[50:51], v[10:11] op_sel:[1,1,0] op_sel_hi:[0,1,1] neg_lo:[1,0,0]
	v_pk_fma_f32 v[8:9], v[30:31], v[50:51], v[8:9] op_sel:[1,1,0] op_sel_hi:[0,1,1] neg_lo:[1,0,0]
	v_pk_fma_f32 v[10:11], v[24:25], v[52:53], v[10:11] op_sel_hi:[1,0,1]
	v_pk_fma_f32 v[8:9], v[32:33], v[52:53], v[8:9] op_sel_hi:[1,0,1]
	v_mov_b32_e32 v32, v53
	v_pk_fma_f32 v[10:11], v[14:15], v[32:33], v[10:11] op_sel_hi:[1,0,1]
	v_pk_fma_f32 v[8:9], v[66:67], v[32:33], v[8:9] op_sel_hi:[1,0,1]
	s_waitcnt vmcnt(2)
	v_pk_fma_f32 v[10:11], v[18:19], v[54:55], v[10:11] op_sel_hi:[1,0,1]
	v_pk_fma_f32 v[8:9], v[26:27], v[54:55], v[8:9] op_sel_hi:[1,0,1]
	v_pk_fma_f32 v[10:11], v[18:19], v[54:55], v[10:11] op_sel:[1,1,0] op_sel_hi:[0,1,1] neg_lo:[1,0,0]
	v_pk_fma_f32 v[8:9], v[26:27], v[54:55], v[8:9] op_sel:[1,1,0] op_sel_hi:[0,1,1] neg_lo:[1,0,0]
	v_xor_b32_e32 v22, 0x80000000, v29
	v_mov_b32_e32 v23, v28
	v_mov_b32_e32 v50, v57
	v_pk_fma_f32 v[10:11], v[20:21], v[56:57], v[10:11] op_sel_hi:[1,0,1]
	v_pk_fma_f32 v[8:9], v[28:29], v[56:57], v[8:9] op_sel_hi:[1,0,1]
	v_pk_fma_f32 v[10:11], v[68:69], v[50:51], v[10:11] op_sel_hi:[1,0,1]
	v_pk_fma_f32 v[8:9], v[22:23], v[50:51], v[8:9] op_sel_hi:[1,0,1]
	s_waitcnt vmcnt(1)
	v_pk_fma_f32 v[10:11], v[38:39], v[58:59], v[10:11] op_sel_hi:[1,0,1]
	v_pk_fma_f32 v[8:9], v[46:47], v[58:59], v[8:9] op_sel_hi:[1,0,1]
	v_pk_fma_f32 v[10:11], v[38:39], v[58:59], v[10:11] op_sel:[1,1,0] op_sel_hi:[0,1,1] neg_lo:[1,0,0]
	v_pk_fma_f32 v[8:9], v[46:47], v[58:59], v[8:9] op_sel:[1,1,0] op_sel_hi:[0,1,1] neg_lo:[1,0,0]
	v_xor_b32_e32 v24, 0x80000000, v49
	v_mov_b32_e32 v25, v48
	v_mov_b32_e32 v52, v61
	v_pk_fma_f32 v[10:11], v[40:41], v[60:61], v[10:11] op_sel_hi:[1,0,1]
	v_pk_fma_f32 v[8:9], v[48:49], v[60:61], v[8:9] op_sel_hi:[1,0,1]
	;; [unrolled: 12-line block ×3, first 2 shown]
	v_pk_fma_f32 v[10:11], v[72:73], v[14:15], v[10:11] op_sel_hi:[1,0,1]
	v_pk_fma_f32 v[8:9], v[30:31], v[14:15], v[8:9] op_sel_hi:[1,0,1]
	s_andn2_b64 exec, exec, s[2:3]
	s_cbranch_execnz .LBB183_21
; %bb.22:
	s_or_b64 exec, exec, s[2:3]
.LBB183_23:
	s_or_b64 exec, exec, s[4:5]
.LBB183_24:
	v_mov_b32_dpp v12, v8 row_shr:1 row_mask:0xf bank_mask:0xf
	v_add_f32_e32 v8, v8, v12
	v_mov_b32_dpp v0, v10 row_shr:1 row_mask:0xf bank_mask:0xf
	v_add_f32_e32 v0, v10, v0
	v_mov_b32_dpp v12, v8 row_shr:2 row_mask:0xf bank_mask:0xf
	v_mov_b32_dpp v10, v11 row_shr:1 row_mask:0xf bank_mask:0xf
	v_add_f32_e32 v13, v8, v12
	v_mov_b32_dpp v8, v9 row_shr:1 row_mask:0xf bank_mask:0xf
	v_add_f32_e32 v10, v11, v10
	v_add_f32_e32 v8, v9, v8
	v_mov_b32_dpp v1, v0 row_shr:2 row_mask:0xf bank_mask:0xf
	v_mov_b32_dpp v11, v10 row_shr:2 row_mask:0xf bank_mask:0xf
	v_mov_b32_dpp v9, v8 row_shr:2 row_mask:0xf bank_mask:0xf
	v_add_f32_e32 v0, v0, v1
	v_add_f32_e32 v10, v10, v11
	;; [unrolled: 1-line block ×3, first 2 shown]
	v_mov_b32_dpp v1, v0 row_shr:4 row_mask:0xf bank_mask:0xe
	v_mov_b32_dpp v11, v10 row_shr:4 row_mask:0xf bank_mask:0xe
	;; [unrolled: 1-line block ×4, first 2 shown]
	v_cmp_eq_u32_e32 vcc, 7, v7
	s_and_b64 exec, exec, vcc
	s_cbranch_execz .LBB183_29
; %bb.25:
	s_load_dwordx2 s[2:3], s[0:1], 0x38
	v_add_f32_e32 v8, v0, v1
	v_and_b32_e32 v1, 0x7fffffff, v4
	v_cmp_eq_u32_e32 vcc, 0, v1
	v_cmp_eq_f32_e64 s[0:1], 0, v5
	v_add_f32_e32 v12, v10, v11
	v_add_f32_e32 v0, v13, v14
	;; [unrolled: 1-line block ×3, first 2 shown]
	s_and_b64 s[0:1], vcc, s[0:1]
	s_and_saveexec_b64 s[4:5], s[0:1]
	s_xor_b64 s[0:1], exec, s[4:5]
	s_cbranch_execz .LBB183_27
; %bb.26:
	v_lshlrev_b32_e32 v4, 1, v6
	v_xor_b32_e32 v14, 0x80000000, v3
	v_ashrrev_i32_e32 v5, 31, v4
	v_mov_b32_e32 v15, v2
	s_waitcnt lgkmcnt(0)
	v_lshl_add_u64 v[16:17], v[4:5], 3, s[2:3]
	v_pk_mul_f32 v[4:5], v[12:13], v[14:15] op_sel_hi:[0,1]
	v_pk_mul_f32 v[6:7], v[10:11], v[14:15] op_sel_hi:[0,1]
	v_pk_fma_f32 v[4:5], v[2:3], v[8:9], v[4:5] op_sel_hi:[1,0,1]
	v_pk_fma_f32 v[6:7], v[2:3], v[0:1], v[6:7] op_sel_hi:[1,0,1]
	global_store_dwordx4 v[16:17], v[4:7], off
                                        ; implicit-def: $vgpr3
                                        ; implicit-def: $vgpr4
                                        ; implicit-def: $vgpr6
                                        ; implicit-def: $vgpr8
                                        ; implicit-def: $vgpr12
                                        ; implicit-def: $vgpr0
                                        ; implicit-def: $vgpr10
.LBB183_27:
	s_andn2_saveexec_b64 s[0:1], s[0:1]
	s_cbranch_execz .LBB183_29
; %bb.28:
	v_lshlrev_b32_e32 v6, 1, v6
	v_ashrrev_i32_e32 v7, 31, v6
	s_waitcnt lgkmcnt(0)
	v_lshl_add_u64 v[6:7], v[6:7], 3, s[2:3]
	global_load_dwordx4 v[14:17], v[6:7], off
	v_xor_b32_e32 v18, 0x80000000, v3
	v_mov_b32_e32 v19, v2
	v_pk_mul_f32 v[12:13], v[12:13], v[18:19] op_sel_hi:[0,1]
	v_pk_mul_f32 v[10:11], v[10:11], v[18:19] op_sel_hi:[0,1]
	v_pk_fma_f32 v[8:9], v[2:3], v[8:9], v[12:13] op_sel_hi:[1,0,1]
	v_pk_fma_f32 v[0:1], v[2:3], v[0:1], v[10:11] op_sel_hi:[1,0,1]
	v_xor_b32_e32 v20, 0x80000000, v5
	v_mov_b32_e32 v21, v4
	s_waitcnt vmcnt(0)
	v_pk_fma_f32 v[2:3], v[4:5], v[14:15], v[8:9] op_sel_hi:[1,0,1]
	v_pk_fma_f32 v[4:5], v[4:5], v[16:17], v[0:1] op_sel_hi:[1,0,1]
	v_mov_b32_e32 v8, v17
	v_pk_fma_f32 v[0:1], v[20:21], v[14:15], v[2:3] op_sel:[0,1,0]
	v_pk_fma_f32 v[2:3], v[20:21], v[8:9], v[4:5] op_sel_hi:[1,0,1]
	global_store_dwordx4 v[6:7], v[0:3], off
.LBB183_29:
	s_endpgm
	.section	.rodata,"a",@progbits
	.p2align	6, 0x0
	.amdhsa_kernel _ZN9rocsparseL19gebsrmvn_2xn_kernelILj128ELj8ELj8E21rocsparse_complex_numIfEEEvi20rocsparse_direction_NS_24const_host_device_scalarIT2_EEPKiS8_PKS5_SA_S6_PS5_21rocsparse_index_base_b
		.amdhsa_group_segment_fixed_size 0
		.amdhsa_private_segment_fixed_size 0
		.amdhsa_kernarg_size 72
		.amdhsa_user_sgpr_count 2
		.amdhsa_user_sgpr_dispatch_ptr 0
		.amdhsa_user_sgpr_queue_ptr 0
		.amdhsa_user_sgpr_kernarg_segment_ptr 1
		.amdhsa_user_sgpr_dispatch_id 0
		.amdhsa_user_sgpr_kernarg_preload_length 0
		.amdhsa_user_sgpr_kernarg_preload_offset 0
		.amdhsa_user_sgpr_private_segment_size 0
		.amdhsa_uses_dynamic_stack 0
		.amdhsa_enable_private_segment 0
		.amdhsa_system_sgpr_workgroup_id_x 1
		.amdhsa_system_sgpr_workgroup_id_y 0
		.amdhsa_system_sgpr_workgroup_id_z 0
		.amdhsa_system_sgpr_workgroup_info 0
		.amdhsa_system_vgpr_workitem_id 0
		.amdhsa_next_free_vgpr 84
		.amdhsa_next_free_sgpr 16
		.amdhsa_accum_offset 84
		.amdhsa_reserve_vcc 1
		.amdhsa_float_round_mode_32 0
		.amdhsa_float_round_mode_16_64 0
		.amdhsa_float_denorm_mode_32 3
		.amdhsa_float_denorm_mode_16_64 3
		.amdhsa_dx10_clamp 1
		.amdhsa_ieee_mode 1
		.amdhsa_fp16_overflow 0
		.amdhsa_tg_split 0
		.amdhsa_exception_fp_ieee_invalid_op 0
		.amdhsa_exception_fp_denorm_src 0
		.amdhsa_exception_fp_ieee_div_zero 0
		.amdhsa_exception_fp_ieee_overflow 0
		.amdhsa_exception_fp_ieee_underflow 0
		.amdhsa_exception_fp_ieee_inexact 0
		.amdhsa_exception_int_div_zero 0
	.end_amdhsa_kernel
	.section	.text._ZN9rocsparseL19gebsrmvn_2xn_kernelILj128ELj8ELj8E21rocsparse_complex_numIfEEEvi20rocsparse_direction_NS_24const_host_device_scalarIT2_EEPKiS8_PKS5_SA_S6_PS5_21rocsparse_index_base_b,"axG",@progbits,_ZN9rocsparseL19gebsrmvn_2xn_kernelILj128ELj8ELj8E21rocsparse_complex_numIfEEEvi20rocsparse_direction_NS_24const_host_device_scalarIT2_EEPKiS8_PKS5_SA_S6_PS5_21rocsparse_index_base_b,comdat
.Lfunc_end183:
	.size	_ZN9rocsparseL19gebsrmvn_2xn_kernelILj128ELj8ELj8E21rocsparse_complex_numIfEEEvi20rocsparse_direction_NS_24const_host_device_scalarIT2_EEPKiS8_PKS5_SA_S6_PS5_21rocsparse_index_base_b, .Lfunc_end183-_ZN9rocsparseL19gebsrmvn_2xn_kernelILj128ELj8ELj8E21rocsparse_complex_numIfEEEvi20rocsparse_direction_NS_24const_host_device_scalarIT2_EEPKiS8_PKS5_SA_S6_PS5_21rocsparse_index_base_b
                                        ; -- End function
	.section	.AMDGPU.csdata,"",@progbits
; Kernel info:
; codeLenInByte = 2044
; NumSgprs: 22
; NumVgprs: 84
; NumAgprs: 0
; TotalNumVgprs: 84
; ScratchSize: 0
; MemoryBound: 0
; FloatMode: 240
; IeeeMode: 1
; LDSByteSize: 0 bytes/workgroup (compile time only)
; SGPRBlocks: 2
; VGPRBlocks: 10
; NumSGPRsForWavesPerEU: 22
; NumVGPRsForWavesPerEU: 84
; AccumOffset: 84
; Occupancy: 5
; WaveLimiterHint : 1
; COMPUTE_PGM_RSRC2:SCRATCH_EN: 0
; COMPUTE_PGM_RSRC2:USER_SGPR: 2
; COMPUTE_PGM_RSRC2:TRAP_HANDLER: 0
; COMPUTE_PGM_RSRC2:TGID_X_EN: 1
; COMPUTE_PGM_RSRC2:TGID_Y_EN: 0
; COMPUTE_PGM_RSRC2:TGID_Z_EN: 0
; COMPUTE_PGM_RSRC2:TIDIG_COMP_CNT: 0
; COMPUTE_PGM_RSRC3_GFX90A:ACCUM_OFFSET: 20
; COMPUTE_PGM_RSRC3_GFX90A:TG_SPLIT: 0
	.section	.text._ZN9rocsparseL19gebsrmvn_2xn_kernelILj128ELj8ELj16E21rocsparse_complex_numIfEEEvi20rocsparse_direction_NS_24const_host_device_scalarIT2_EEPKiS8_PKS5_SA_S6_PS5_21rocsparse_index_base_b,"axG",@progbits,_ZN9rocsparseL19gebsrmvn_2xn_kernelILj128ELj8ELj16E21rocsparse_complex_numIfEEEvi20rocsparse_direction_NS_24const_host_device_scalarIT2_EEPKiS8_PKS5_SA_S6_PS5_21rocsparse_index_base_b,comdat
	.globl	_ZN9rocsparseL19gebsrmvn_2xn_kernelILj128ELj8ELj16E21rocsparse_complex_numIfEEEvi20rocsparse_direction_NS_24const_host_device_scalarIT2_EEPKiS8_PKS5_SA_S6_PS5_21rocsparse_index_base_b ; -- Begin function _ZN9rocsparseL19gebsrmvn_2xn_kernelILj128ELj8ELj16E21rocsparse_complex_numIfEEEvi20rocsparse_direction_NS_24const_host_device_scalarIT2_EEPKiS8_PKS5_SA_S6_PS5_21rocsparse_index_base_b
	.p2align	8
	.type	_ZN9rocsparseL19gebsrmvn_2xn_kernelILj128ELj8ELj16E21rocsparse_complex_numIfEEEvi20rocsparse_direction_NS_24const_host_device_scalarIT2_EEPKiS8_PKS5_SA_S6_PS5_21rocsparse_index_base_b,@function
_ZN9rocsparseL19gebsrmvn_2xn_kernelILj128ELj8ELj16E21rocsparse_complex_numIfEEEvi20rocsparse_direction_NS_24const_host_device_scalarIT2_EEPKiS8_PKS5_SA_S6_PS5_21rocsparse_index_base_b: ; @_ZN9rocsparseL19gebsrmvn_2xn_kernelILj128ELj8ELj16E21rocsparse_complex_numIfEEEvi20rocsparse_direction_NS_24const_host_device_scalarIT2_EEPKiS8_PKS5_SA_S6_PS5_21rocsparse_index_base_b
; %bb.0:
	s_load_dwordx2 s[12:13], s[0:1], 0x40
	s_load_dwordx2 s[8:9], s[0:1], 0x8
	;; [unrolled: 1-line block ×3, first 2 shown]
	s_waitcnt lgkmcnt(0)
	s_bitcmp1_b32 s13, 0
	s_cselect_b64 s[4:5], -1, 0
	s_xor_b64 s[10:11], s[4:5], -1
	s_and_b64 vcc, exec, s[4:5]
	v_mov_b32_e32 v2, s8
	s_cbranch_vccnz .LBB184_2
; %bb.1:
	v_mov_b64_e32 v[2:3], s[8:9]
	flat_load_dword v2, v[2:3]
.LBB184_2:
	v_cndmask_b32_e64 v1, 0, 1, s[10:11]
	v_cmp_ne_u32_e64 s[4:5], 1, v1
	s_andn2_b64 vcc, exec, s[10:11]
	v_mov_b32_e32 v3, s9
	s_cbranch_vccz .LBB184_16
; %bb.3:
	s_and_b64 vcc, exec, s[4:5]
	v_mov_b32_e32 v4, s6
	s_cbranch_vccz .LBB184_17
.LBB184_4:
	s_and_b64 vcc, exec, s[4:5]
	v_mov_b32_e32 v5, s7
	s_cbranch_vccnz .LBB184_6
.LBB184_5:
	v_mov_b64_e32 v[6:7], s[6:7]
	flat_load_dword v5, v[6:7] offset:4
.LBB184_6:
	s_waitcnt vmcnt(0) lgkmcnt(0)
	v_and_b32_e32 v1, 0x7fffffff, v2
	v_cmp_eq_u32_e32 vcc, 0, v1
	v_cmp_eq_f32_e64 s[4:5], 0, v3
	s_and_b64 s[8:9], vcc, s[4:5]
	s_mov_b64 s[4:5], -1
	s_and_saveexec_b64 s[6:7], s[8:9]
; %bb.7:
	v_and_b32_e32 v1, 0x7fffffff, v5
	v_cmp_neq_f32_e32 vcc, 1.0, v4
	v_cmp_ne_u32_e64 s[4:5], 0, v1
	s_or_b64 s[4:5], vcc, s[4:5]
	s_orn2_b64 s[4:5], s[4:5], exec
; %bb.8:
	s_or_b64 exec, exec, s[6:7]
	s_and_saveexec_b64 s[6:7], s[4:5]
	s_cbranch_execz .LBB184_29
; %bb.9:
	s_load_dwordx2 s[14:15], s[0:1], 0x0
	v_lshrrev_b32_e32 v1, 4, v0
	v_lshl_or_b32 v6, s2, 3, v1
	s_waitcnt lgkmcnt(0)
	v_cmp_gt_i32_e32 vcc, s14, v6
	s_and_b64 exec, exec, vcc
	s_cbranch_execz .LBB184_29
; %bb.10:
	s_load_dwordx8 s[4:11], s[0:1], 0x10
	v_ashrrev_i32_e32 v7, 31, v6
	s_cmp_lg_u32 s15, 0
	s_waitcnt lgkmcnt(0)
	v_lshl_add_u64 v[8:9], v[6:7], 2, s[4:5]
	global_load_dwordx2 v[8:9], v[8:9], off
	v_and_b32_e32 v7, 15, v0
	s_waitcnt vmcnt(0)
	v_subrev_u32_e32 v0, s12, v8
	v_subrev_u32_e32 v16, s12, v9
	v_add_u32_e32 v0, v0, v7
	v_cmp_lt_i32_e64 s[2:3], v0, v16
	s_cbranch_scc0 .LBB184_18
; %bb.11:
	v_mov_b32_e32 v11, 0
	v_mov_b32_e32 v10, v11
	;; [unrolled: 1-line block ×4, first 2 shown]
	s_and_saveexec_b64 s[4:5], s[2:3]
	s_cbranch_execz .LBB184_15
; %bb.12:
	v_mov_b32_e32 v13, 0
	v_lshlrev_b32_e32 v12, 4, v0
	s_mov_b64 s[14:15], 0
	v_mov_b32_e32 v14, v0
	v_mov_b32_e32 v8, v13
	;; [unrolled: 1-line block ×5, first 2 shown]
.LBB184_13:                             ; =>This Inner Loop Header: Depth=1
	v_ashrrev_i32_e32 v15, 31, v14
	v_lshl_add_u64 v[18:19], v[14:15], 2, s[6:7]
	global_load_dword v1, v[18:19], off
	v_mov_b32_e32 v47, v13
	v_lshl_add_u64 v[66:67], v[12:13], 3, s[8:9]
	global_load_dwordx4 v[18:21], v[66:67], off
	global_load_dwordx4 v[22:25], v[66:67], off offset:16
	global_load_dwordx4 v[26:29], v[66:67], off offset:48
	;; [unrolled: 1-line block ×6, first 2 shown]
	v_add_u32_e32 v14, 16, v14
	v_cmp_ge_i32_e32 vcc, v14, v16
	v_add_u32_e32 v12, 0x100, v12
	s_or_b64 s[14:15], vcc, s[14:15]
	s_waitcnt vmcnt(4)
	v_xor_b32_e32 v72, 0x80000000, v29
	v_subrev_u32_e32 v1, s12, v1
	v_lshlrev_b32_e32 v46, 3, v1
	v_lshl_add_u64 v[68:69], v[46:47], 3, s[10:11]
	global_load_dwordx4 v[46:49], v[68:69], off
	global_load_dwordx4 v[50:53], v[68:69], off offset:16
	global_load_dwordx4 v[54:57], v[68:69], off offset:48
	global_load_dwordx4 v[58:61], v[68:69], off offset:32
	global_load_dwordx4 v[62:65], v[66:67], off offset:112
	v_xor_b32_e32 v66, 0x80000000, v21
	v_mov_b32_e32 v67, v20
	v_xor_b32_e32 v68, 0x80000000, v25
	v_mov_b32_e32 v69, v24
	s_waitcnt vmcnt(8)
	v_xor_b32_e32 v70, 0x80000000, v33
	v_mov_b32_e32 v71, v32
	v_mov_b32_e32 v73, v28
	s_waitcnt vmcnt(5)
	v_xor_b32_e32 v74, 0x80000000, v45
	v_mov_b32_e32 v75, v44
	v_xor_b32_e32 v76, 0x80000000, v41
	v_mov_b32_e32 v77, v40
	;; [unrolled: 2-line block ×3, first 2 shown]
	s_waitcnt vmcnt(4)
	v_pk_fma_f32 v[10:11], v[18:19], v[46:47], v[10:11] op_sel_hi:[1,0,1]
	v_pk_fma_f32 v[8:9], v[20:21], v[46:47], v[8:9] op_sel_hi:[1,0,1]
	v_pk_fma_f32 v[10:11], v[18:19], v[46:47], v[10:11] op_sel:[1,1,0] op_sel_hi:[0,1,1] neg_lo:[1,0,0]
	v_pk_fma_f32 v[8:9], v[66:67], v[46:47], v[8:9] op_sel:[0,1,0]
	v_mov_b32_e32 v20, v49
	v_pk_fma_f32 v[10:11], v[22:23], v[48:49], v[10:11] op_sel_hi:[1,0,1]
	v_pk_fma_f32 v[8:9], v[24:25], v[48:49], v[8:9] op_sel_hi:[1,0,1]
	v_pk_fma_f32 v[10:11], v[22:23], v[20:21], v[10:11] op_sel:[1,0,0] op_sel_hi:[0,0,1] neg_lo:[1,0,0]
	v_pk_fma_f32 v[8:9], v[68:69], v[20:21], v[8:9] op_sel_hi:[1,0,1]
	s_waitcnt vmcnt(3)
	v_pk_fma_f32 v[10:11], v[30:31], v[50:51], v[10:11] op_sel_hi:[1,0,1]
	v_pk_fma_f32 v[8:9], v[32:33], v[50:51], v[8:9] op_sel_hi:[1,0,1]
	v_pk_fma_f32 v[10:11], v[30:31], v[50:51], v[10:11] op_sel:[1,1,0] op_sel_hi:[0,1,1] neg_lo:[1,0,0]
	v_pk_fma_f32 v[8:9], v[70:71], v[50:51], v[8:9] op_sel:[0,1,0]
	v_mov_b32_e32 v18, v53
	v_pk_fma_f32 v[10:11], v[26:27], v[52:53], v[10:11] op_sel_hi:[1,0,1]
	v_pk_fma_f32 v[8:9], v[28:29], v[52:53], v[8:9] op_sel_hi:[1,0,1]
	v_pk_fma_f32 v[10:11], v[26:27], v[18:19], v[10:11] op_sel:[1,0,0] op_sel_hi:[0,0,1] neg_lo:[1,0,0]
	v_pk_fma_f32 v[8:9], v[72:73], v[18:19], v[8:9] op_sel_hi:[1,0,1]
	;; [unrolled: 10-line block ×3, first 2 shown]
	v_pk_fma_f32 v[10:11], v[34:35], v[54:55], v[10:11] op_sel_hi:[1,0,1]
	v_pk_fma_f32 v[8:9], v[36:37], v[54:55], v[8:9] op_sel_hi:[1,0,1]
	v_pk_fma_f32 v[10:11], v[34:35], v[54:55], v[10:11] op_sel:[1,1,0] op_sel_hi:[0,1,1] neg_lo:[1,0,0]
	v_pk_fma_f32 v[8:9], v[78:79], v[54:55], v[8:9] op_sel:[0,1,0]
	s_waitcnt vmcnt(0)
	v_xor_b32_e32 v80, 0x80000000, v65
	v_mov_b32_e32 v81, v64
	v_mov_b32_e32 v46, v57
	v_pk_fma_f32 v[10:11], v[62:63], v[56:57], v[10:11] op_sel_hi:[1,0,1]
	v_pk_fma_f32 v[8:9], v[64:65], v[56:57], v[8:9] op_sel_hi:[1,0,1]
	v_pk_fma_f32 v[10:11], v[62:63], v[46:47], v[10:11] op_sel:[1,0,0] op_sel_hi:[0,0,1] neg_lo:[1,0,0]
	v_pk_fma_f32 v[8:9], v[80:81], v[46:47], v[8:9] op_sel_hi:[1,0,1]
	s_andn2_b64 exec, exec, s[14:15]
	s_cbranch_execnz .LBB184_13
; %bb.14:
	s_or_b64 exec, exec, s[14:15]
.LBB184_15:
	s_or_b64 exec, exec, s[4:5]
	s_cbranch_execz .LBB184_19
	s_branch .LBB184_24
.LBB184_16:
	v_mov_b64_e32 v[4:5], s[8:9]
	flat_load_dword v3, v[4:5] offset:4
	s_and_b64 vcc, exec, s[4:5]
	v_mov_b32_e32 v4, s6
	s_cbranch_vccnz .LBB184_4
.LBB184_17:
	v_mov_b64_e32 v[4:5], s[6:7]
	flat_load_dword v4, v[4:5]
	s_and_b64 vcc, exec, s[4:5]
	v_mov_b32_e32 v5, s7
	s_cbranch_vccz .LBB184_5
	s_branch .LBB184_6
.LBB184_18:
                                        ; implicit-def: $vgpr11
                                        ; implicit-def: $vgpr9
.LBB184_19:
	v_mov_b32_e32 v11, 0
	v_mov_b32_e32 v10, v11
	v_mov_b32_e32 v9, v11
	v_mov_b32_e32 v8, v11
	s_and_saveexec_b64 s[4:5], s[2:3]
	s_cbranch_execz .LBB184_23
; %bb.20:
	v_mov_b32_e32 v13, 0
	v_lshlrev_b32_e32 v12, 4, v0
	s_mov_b64 s[2:3], 0
	v_mov_b32_e32 v8, v13
	v_mov_b32_e32 v9, v13
	;; [unrolled: 1-line block ×4, first 2 shown]
.LBB184_21:                             ; =>This Inner Loop Header: Depth=1
	v_ashrrev_i32_e32 v1, 31, v0
	v_lshl_add_u64 v[14:15], v[0:1], 2, s[6:7]
	global_load_dword v1, v[14:15], off
	v_lshl_add_u64 v[14:15], v[12:13], 3, s[8:9]
	v_mov_b32_e32 v51, v13
	global_load_dwordx4 v[18:21], v[14:15], off offset:16
	global_load_dwordx4 v[22:25], v[14:15], off
	global_load_dwordx4 v[26:29], v[14:15], off offset:80
	global_load_dwordx4 v[30:33], v[14:15], off offset:64
	;; [unrolled: 1-line block ×6, first 2 shown]
	v_add_u32_e32 v0, 16, v0
	v_cmp_ge_i32_e32 vcc, v0, v16
	v_add_u32_e32 v12, 0x100, v12
	s_or_b64 s[2:3], vcc, s[2:3]
	s_waitcnt vmcnt(7)
	v_xor_b32_e32 v68, 0x80000000, v21
	v_mov_b32_e32 v69, v20
	s_waitcnt vmcnt(4)
	v_xor_b32_e32 v66, 0x80000000, v33
	v_subrev_u32_e32 v1, s12, v1
	v_lshlrev_b32_e32 v50, 3, v1
	v_lshl_add_u64 v[14:15], v[50:51], 3, s[10:11]
	global_load_dwordx4 v[50:53], v[14:15], off
	global_load_dwordx4 v[54:57], v[14:15], off offset:16
	global_load_dwordx4 v[58:61], v[14:15], off offset:32
	;; [unrolled: 1-line block ×3, first 2 shown]
	v_xor_b32_e32 v14, 0x80000000, v25
	v_mov_b32_e32 v15, v24
	v_mov_b32_e32 v67, v32
	s_waitcnt vmcnt(6)
	v_xor_b32_e32 v70, 0x80000000, v41
	v_mov_b32_e32 v71, v40
	v_xor_b32_e32 v72, 0x80000000, v37
	v_mov_b32_e32 v73, v36
	s_waitcnt vmcnt(3)
	v_pk_fma_f32 v[10:11], v[22:23], v[50:51], v[10:11] op_sel_hi:[1,0,1]
	v_pk_fma_f32 v[8:9], v[30:31], v[50:51], v[8:9] op_sel_hi:[1,0,1]
	v_pk_fma_f32 v[10:11], v[22:23], v[50:51], v[10:11] op_sel:[1,1,0] op_sel_hi:[0,1,1] neg_lo:[1,0,0]
	v_pk_fma_f32 v[8:9], v[30:31], v[50:51], v[8:9] op_sel:[1,1,0] op_sel_hi:[0,1,1] neg_lo:[1,0,0]
	v_pk_fma_f32 v[10:11], v[24:25], v[52:53], v[10:11] op_sel_hi:[1,0,1]
	v_pk_fma_f32 v[8:9], v[32:33], v[52:53], v[8:9] op_sel_hi:[1,0,1]
	v_mov_b32_e32 v32, v53
	v_pk_fma_f32 v[10:11], v[14:15], v[32:33], v[10:11] op_sel_hi:[1,0,1]
	v_pk_fma_f32 v[8:9], v[66:67], v[32:33], v[8:9] op_sel_hi:[1,0,1]
	s_waitcnt vmcnt(2)
	v_pk_fma_f32 v[10:11], v[18:19], v[54:55], v[10:11] op_sel_hi:[1,0,1]
	v_pk_fma_f32 v[8:9], v[26:27], v[54:55], v[8:9] op_sel_hi:[1,0,1]
	v_pk_fma_f32 v[10:11], v[18:19], v[54:55], v[10:11] op_sel:[1,1,0] op_sel_hi:[0,1,1] neg_lo:[1,0,0]
	v_pk_fma_f32 v[8:9], v[26:27], v[54:55], v[8:9] op_sel:[1,1,0] op_sel_hi:[0,1,1] neg_lo:[1,0,0]
	v_xor_b32_e32 v22, 0x80000000, v29
	v_mov_b32_e32 v23, v28
	v_mov_b32_e32 v50, v57
	v_pk_fma_f32 v[10:11], v[20:21], v[56:57], v[10:11] op_sel_hi:[1,0,1]
	v_pk_fma_f32 v[8:9], v[28:29], v[56:57], v[8:9] op_sel_hi:[1,0,1]
	v_pk_fma_f32 v[10:11], v[68:69], v[50:51], v[10:11] op_sel_hi:[1,0,1]
	v_pk_fma_f32 v[8:9], v[22:23], v[50:51], v[8:9] op_sel_hi:[1,0,1]
	s_waitcnt vmcnt(1)
	v_pk_fma_f32 v[10:11], v[38:39], v[58:59], v[10:11] op_sel_hi:[1,0,1]
	v_pk_fma_f32 v[8:9], v[46:47], v[58:59], v[8:9] op_sel_hi:[1,0,1]
	v_pk_fma_f32 v[10:11], v[38:39], v[58:59], v[10:11] op_sel:[1,1,0] op_sel_hi:[0,1,1] neg_lo:[1,0,0]
	v_pk_fma_f32 v[8:9], v[46:47], v[58:59], v[8:9] op_sel:[1,1,0] op_sel_hi:[0,1,1] neg_lo:[1,0,0]
	v_xor_b32_e32 v24, 0x80000000, v49
	v_mov_b32_e32 v25, v48
	v_mov_b32_e32 v52, v61
	v_pk_fma_f32 v[10:11], v[40:41], v[60:61], v[10:11] op_sel_hi:[1,0,1]
	v_pk_fma_f32 v[8:9], v[48:49], v[60:61], v[8:9] op_sel_hi:[1,0,1]
	;; [unrolled: 12-line block ×3, first 2 shown]
	v_pk_fma_f32 v[10:11], v[72:73], v[14:15], v[10:11] op_sel_hi:[1,0,1]
	v_pk_fma_f32 v[8:9], v[30:31], v[14:15], v[8:9] op_sel_hi:[1,0,1]
	s_andn2_b64 exec, exec, s[2:3]
	s_cbranch_execnz .LBB184_21
; %bb.22:
	s_or_b64 exec, exec, s[2:3]
.LBB184_23:
	s_or_b64 exec, exec, s[4:5]
.LBB184_24:
	v_mov_b32_dpp v12, v8 row_shr:1 row_mask:0xf bank_mask:0xf
	v_add_f32_e32 v8, v8, v12
	v_mov_b32_dpp v0, v10 row_shr:1 row_mask:0xf bank_mask:0xf
	v_add_f32_e32 v0, v10, v0
	;; [unrolled: 2-line block ×6, first 2 shown]
	v_mov_b32_dpp v1, v0 row_shr:2 row_mask:0xf bank_mask:0xf
	v_mov_b32_dpp v11, v10 row_shr:2 row_mask:0xf bank_mask:0xf
	;; [unrolled: 1-line block ×3, first 2 shown]
	v_add_f32_e32 v0, v0, v1
	v_add_f32_e32 v10, v10, v11
	;; [unrolled: 1-line block ×3, first 2 shown]
	v_mov_b32_dpp v1, v0 row_shr:4 row_mask:0xf bank_mask:0xe
	v_mov_b32_dpp v11, v10 row_shr:4 row_mask:0xf bank_mask:0xe
	;; [unrolled: 1-line block ×3, first 2 shown]
	v_add_f32_e32 v0, v0, v1
	v_add_f32_e32 v10, v10, v11
	;; [unrolled: 1-line block ×3, first 2 shown]
	v_mov_b32_dpp v1, v0 row_shr:8 row_mask:0xf bank_mask:0xc
	v_mov_b32_dpp v11, v10 row_shr:8 row_mask:0xf bank_mask:0xc
	;; [unrolled: 1-line block ×4, first 2 shown]
	v_cmp_eq_u32_e32 vcc, 15, v7
	s_and_b64 exec, exec, vcc
	s_cbranch_execz .LBB184_29
; %bb.25:
	s_load_dwordx2 s[2:3], s[0:1], 0x38
	v_add_f32_e32 v8, v0, v1
	v_and_b32_e32 v1, 0x7fffffff, v4
	v_cmp_eq_u32_e32 vcc, 0, v1
	v_cmp_eq_f32_e64 s[0:1], 0, v5
	v_add_f32_e32 v12, v10, v11
	v_add_f32_e32 v0, v13, v14
	;; [unrolled: 1-line block ×3, first 2 shown]
	s_and_b64 s[0:1], vcc, s[0:1]
	s_and_saveexec_b64 s[4:5], s[0:1]
	s_xor_b64 s[0:1], exec, s[4:5]
	s_cbranch_execz .LBB184_27
; %bb.26:
	v_lshlrev_b32_e32 v4, 1, v6
	v_xor_b32_e32 v14, 0x80000000, v3
	v_ashrrev_i32_e32 v5, 31, v4
	v_mov_b32_e32 v15, v2
	s_waitcnt lgkmcnt(0)
	v_lshl_add_u64 v[16:17], v[4:5], 3, s[2:3]
	v_pk_mul_f32 v[4:5], v[12:13], v[14:15] op_sel_hi:[0,1]
	v_pk_mul_f32 v[6:7], v[10:11], v[14:15] op_sel_hi:[0,1]
	v_pk_fma_f32 v[4:5], v[2:3], v[8:9], v[4:5] op_sel_hi:[1,0,1]
	v_pk_fma_f32 v[6:7], v[2:3], v[0:1], v[6:7] op_sel_hi:[1,0,1]
	global_store_dwordx4 v[16:17], v[4:7], off
                                        ; implicit-def: $vgpr3
                                        ; implicit-def: $vgpr4
                                        ; implicit-def: $vgpr6
                                        ; implicit-def: $vgpr8
                                        ; implicit-def: $vgpr12
                                        ; implicit-def: $vgpr0
                                        ; implicit-def: $vgpr10
.LBB184_27:
	s_andn2_saveexec_b64 s[0:1], s[0:1]
	s_cbranch_execz .LBB184_29
; %bb.28:
	v_lshlrev_b32_e32 v6, 1, v6
	v_ashrrev_i32_e32 v7, 31, v6
	s_waitcnt lgkmcnt(0)
	v_lshl_add_u64 v[6:7], v[6:7], 3, s[2:3]
	global_load_dwordx4 v[14:17], v[6:7], off
	v_xor_b32_e32 v18, 0x80000000, v3
	v_mov_b32_e32 v19, v2
	v_pk_mul_f32 v[12:13], v[12:13], v[18:19] op_sel_hi:[0,1]
	v_pk_mul_f32 v[10:11], v[10:11], v[18:19] op_sel_hi:[0,1]
	v_pk_fma_f32 v[8:9], v[2:3], v[8:9], v[12:13] op_sel_hi:[1,0,1]
	v_pk_fma_f32 v[0:1], v[2:3], v[0:1], v[10:11] op_sel_hi:[1,0,1]
	v_xor_b32_e32 v20, 0x80000000, v5
	v_mov_b32_e32 v21, v4
	s_waitcnt vmcnt(0)
	v_pk_fma_f32 v[2:3], v[4:5], v[14:15], v[8:9] op_sel_hi:[1,0,1]
	v_pk_fma_f32 v[4:5], v[4:5], v[16:17], v[0:1] op_sel_hi:[1,0,1]
	v_mov_b32_e32 v8, v17
	v_pk_fma_f32 v[0:1], v[20:21], v[14:15], v[2:3] op_sel:[0,1,0]
	v_pk_fma_f32 v[2:3], v[20:21], v[8:9], v[4:5] op_sel_hi:[1,0,1]
	global_store_dwordx4 v[6:7], v[0:3], off
.LBB184_29:
	s_endpgm
	.section	.rodata,"a",@progbits
	.p2align	6, 0x0
	.amdhsa_kernel _ZN9rocsparseL19gebsrmvn_2xn_kernelILj128ELj8ELj16E21rocsparse_complex_numIfEEEvi20rocsparse_direction_NS_24const_host_device_scalarIT2_EEPKiS8_PKS5_SA_S6_PS5_21rocsparse_index_base_b
		.amdhsa_group_segment_fixed_size 0
		.amdhsa_private_segment_fixed_size 0
		.amdhsa_kernarg_size 72
		.amdhsa_user_sgpr_count 2
		.amdhsa_user_sgpr_dispatch_ptr 0
		.amdhsa_user_sgpr_queue_ptr 0
		.amdhsa_user_sgpr_kernarg_segment_ptr 1
		.amdhsa_user_sgpr_dispatch_id 0
		.amdhsa_user_sgpr_kernarg_preload_length 0
		.amdhsa_user_sgpr_kernarg_preload_offset 0
		.amdhsa_user_sgpr_private_segment_size 0
		.amdhsa_uses_dynamic_stack 0
		.amdhsa_enable_private_segment 0
		.amdhsa_system_sgpr_workgroup_id_x 1
		.amdhsa_system_sgpr_workgroup_id_y 0
		.amdhsa_system_sgpr_workgroup_id_z 0
		.amdhsa_system_sgpr_workgroup_info 0
		.amdhsa_system_vgpr_workitem_id 0
		.amdhsa_next_free_vgpr 84
		.amdhsa_next_free_sgpr 16
		.amdhsa_accum_offset 84
		.amdhsa_reserve_vcc 1
		.amdhsa_float_round_mode_32 0
		.amdhsa_float_round_mode_16_64 0
		.amdhsa_float_denorm_mode_32 3
		.amdhsa_float_denorm_mode_16_64 3
		.amdhsa_dx10_clamp 1
		.amdhsa_ieee_mode 1
		.amdhsa_fp16_overflow 0
		.amdhsa_tg_split 0
		.amdhsa_exception_fp_ieee_invalid_op 0
		.amdhsa_exception_fp_denorm_src 0
		.amdhsa_exception_fp_ieee_div_zero 0
		.amdhsa_exception_fp_ieee_overflow 0
		.amdhsa_exception_fp_ieee_underflow 0
		.amdhsa_exception_fp_ieee_inexact 0
		.amdhsa_exception_int_div_zero 0
	.end_amdhsa_kernel
	.section	.text._ZN9rocsparseL19gebsrmvn_2xn_kernelILj128ELj8ELj16E21rocsparse_complex_numIfEEEvi20rocsparse_direction_NS_24const_host_device_scalarIT2_EEPKiS8_PKS5_SA_S6_PS5_21rocsparse_index_base_b,"axG",@progbits,_ZN9rocsparseL19gebsrmvn_2xn_kernelILj128ELj8ELj16E21rocsparse_complex_numIfEEEvi20rocsparse_direction_NS_24const_host_device_scalarIT2_EEPKiS8_PKS5_SA_S6_PS5_21rocsparse_index_base_b,comdat
.Lfunc_end184:
	.size	_ZN9rocsparseL19gebsrmvn_2xn_kernelILj128ELj8ELj16E21rocsparse_complex_numIfEEEvi20rocsparse_direction_NS_24const_host_device_scalarIT2_EEPKiS8_PKS5_SA_S6_PS5_21rocsparse_index_base_b, .Lfunc_end184-_ZN9rocsparseL19gebsrmvn_2xn_kernelILj128ELj8ELj16E21rocsparse_complex_numIfEEEvi20rocsparse_direction_NS_24const_host_device_scalarIT2_EEPKiS8_PKS5_SA_S6_PS5_21rocsparse_index_base_b
                                        ; -- End function
	.section	.AMDGPU.csdata,"",@progbits
; Kernel info:
; codeLenInByte = 2092
; NumSgprs: 22
; NumVgprs: 84
; NumAgprs: 0
; TotalNumVgprs: 84
; ScratchSize: 0
; MemoryBound: 0
; FloatMode: 240
; IeeeMode: 1
; LDSByteSize: 0 bytes/workgroup (compile time only)
; SGPRBlocks: 2
; VGPRBlocks: 10
; NumSGPRsForWavesPerEU: 22
; NumVGPRsForWavesPerEU: 84
; AccumOffset: 84
; Occupancy: 5
; WaveLimiterHint : 1
; COMPUTE_PGM_RSRC2:SCRATCH_EN: 0
; COMPUTE_PGM_RSRC2:USER_SGPR: 2
; COMPUTE_PGM_RSRC2:TRAP_HANDLER: 0
; COMPUTE_PGM_RSRC2:TGID_X_EN: 1
; COMPUTE_PGM_RSRC2:TGID_Y_EN: 0
; COMPUTE_PGM_RSRC2:TGID_Z_EN: 0
; COMPUTE_PGM_RSRC2:TIDIG_COMP_CNT: 0
; COMPUTE_PGM_RSRC3_GFX90A:ACCUM_OFFSET: 20
; COMPUTE_PGM_RSRC3_GFX90A:TG_SPLIT: 0
	.section	.text._ZN9rocsparseL19gebsrmvn_2xn_kernelILj128ELj8ELj32E21rocsparse_complex_numIfEEEvi20rocsparse_direction_NS_24const_host_device_scalarIT2_EEPKiS8_PKS5_SA_S6_PS5_21rocsparse_index_base_b,"axG",@progbits,_ZN9rocsparseL19gebsrmvn_2xn_kernelILj128ELj8ELj32E21rocsparse_complex_numIfEEEvi20rocsparse_direction_NS_24const_host_device_scalarIT2_EEPKiS8_PKS5_SA_S6_PS5_21rocsparse_index_base_b,comdat
	.globl	_ZN9rocsparseL19gebsrmvn_2xn_kernelILj128ELj8ELj32E21rocsparse_complex_numIfEEEvi20rocsparse_direction_NS_24const_host_device_scalarIT2_EEPKiS8_PKS5_SA_S6_PS5_21rocsparse_index_base_b ; -- Begin function _ZN9rocsparseL19gebsrmvn_2xn_kernelILj128ELj8ELj32E21rocsparse_complex_numIfEEEvi20rocsparse_direction_NS_24const_host_device_scalarIT2_EEPKiS8_PKS5_SA_S6_PS5_21rocsparse_index_base_b
	.p2align	8
	.type	_ZN9rocsparseL19gebsrmvn_2xn_kernelILj128ELj8ELj32E21rocsparse_complex_numIfEEEvi20rocsparse_direction_NS_24const_host_device_scalarIT2_EEPKiS8_PKS5_SA_S6_PS5_21rocsparse_index_base_b,@function
_ZN9rocsparseL19gebsrmvn_2xn_kernelILj128ELj8ELj32E21rocsparse_complex_numIfEEEvi20rocsparse_direction_NS_24const_host_device_scalarIT2_EEPKiS8_PKS5_SA_S6_PS5_21rocsparse_index_base_b: ; @_ZN9rocsparseL19gebsrmvn_2xn_kernelILj128ELj8ELj32E21rocsparse_complex_numIfEEEvi20rocsparse_direction_NS_24const_host_device_scalarIT2_EEPKiS8_PKS5_SA_S6_PS5_21rocsparse_index_base_b
; %bb.0:
	s_load_dwordx2 s[12:13], s[0:1], 0x40
	s_load_dwordx2 s[8:9], s[0:1], 0x8
	;; [unrolled: 1-line block ×3, first 2 shown]
	s_waitcnt lgkmcnt(0)
	s_bitcmp1_b32 s13, 0
	s_cselect_b64 s[4:5], -1, 0
	s_xor_b64 s[10:11], s[4:5], -1
	s_and_b64 vcc, exec, s[4:5]
	v_mov_b32_e32 v2, s8
	s_cbranch_vccnz .LBB185_2
; %bb.1:
	v_mov_b64_e32 v[2:3], s[8:9]
	flat_load_dword v2, v[2:3]
.LBB185_2:
	v_cndmask_b32_e64 v1, 0, 1, s[10:11]
	v_cmp_ne_u32_e64 s[4:5], 1, v1
	s_andn2_b64 vcc, exec, s[10:11]
	v_mov_b32_e32 v3, s9
	s_cbranch_vccz .LBB185_16
; %bb.3:
	s_and_b64 vcc, exec, s[4:5]
	v_mov_b32_e32 v4, s6
	s_cbranch_vccz .LBB185_17
.LBB185_4:
	s_and_b64 vcc, exec, s[4:5]
	v_mov_b32_e32 v5, s7
	s_cbranch_vccnz .LBB185_6
.LBB185_5:
	v_mov_b64_e32 v[6:7], s[6:7]
	flat_load_dword v5, v[6:7] offset:4
.LBB185_6:
	s_waitcnt vmcnt(0) lgkmcnt(0)
	v_and_b32_e32 v1, 0x7fffffff, v2
	v_cmp_eq_u32_e32 vcc, 0, v1
	v_cmp_eq_f32_e64 s[4:5], 0, v3
	s_and_b64 s[8:9], vcc, s[4:5]
	s_mov_b64 s[4:5], -1
	s_and_saveexec_b64 s[6:7], s[8:9]
; %bb.7:
	v_and_b32_e32 v1, 0x7fffffff, v5
	v_cmp_neq_f32_e32 vcc, 1.0, v4
	v_cmp_ne_u32_e64 s[4:5], 0, v1
	s_or_b64 s[4:5], vcc, s[4:5]
	s_orn2_b64 s[4:5], s[4:5], exec
; %bb.8:
	s_or_b64 exec, exec, s[6:7]
	s_and_saveexec_b64 s[6:7], s[4:5]
	s_cbranch_execz .LBB185_29
; %bb.9:
	s_load_dwordx2 s[14:15], s[0:1], 0x0
	v_lshrrev_b32_e32 v1, 5, v0
	v_lshl_or_b32 v6, s2, 2, v1
	s_waitcnt lgkmcnt(0)
	v_cmp_gt_i32_e32 vcc, s14, v6
	s_and_b64 exec, exec, vcc
	s_cbranch_execz .LBB185_29
; %bb.10:
	s_load_dwordx8 s[4:11], s[0:1], 0x10
	v_ashrrev_i32_e32 v7, 31, v6
	s_cmp_lg_u32 s15, 0
	s_waitcnt lgkmcnt(0)
	v_lshl_add_u64 v[8:9], v[6:7], 2, s[4:5]
	global_load_dwordx2 v[8:9], v[8:9], off
	v_and_b32_e32 v7, 31, v0
	s_waitcnt vmcnt(0)
	v_subrev_u32_e32 v0, s12, v8
	v_subrev_u32_e32 v16, s12, v9
	v_add_u32_e32 v0, v0, v7
	v_cmp_lt_i32_e64 s[2:3], v0, v16
	s_cbranch_scc0 .LBB185_18
; %bb.11:
	v_mov_b32_e32 v11, 0
	v_mov_b32_e32 v10, v11
	v_mov_b32_e32 v9, v11
	v_mov_b32_e32 v8, v11
	s_and_saveexec_b64 s[4:5], s[2:3]
	s_cbranch_execz .LBB185_15
; %bb.12:
	v_mov_b32_e32 v13, 0
	v_lshlrev_b32_e32 v12, 4, v0
	s_mov_b64 s[14:15], 0
	v_mov_b32_e32 v14, v0
	v_mov_b32_e32 v8, v13
	;; [unrolled: 1-line block ×5, first 2 shown]
.LBB185_13:                             ; =>This Inner Loop Header: Depth=1
	v_ashrrev_i32_e32 v15, 31, v14
	v_lshl_add_u64 v[18:19], v[14:15], 2, s[6:7]
	global_load_dword v1, v[18:19], off
	v_mov_b32_e32 v47, v13
	v_lshl_add_u64 v[66:67], v[12:13], 3, s[8:9]
	global_load_dwordx4 v[18:21], v[66:67], off
	global_load_dwordx4 v[22:25], v[66:67], off offset:16
	global_load_dwordx4 v[26:29], v[66:67], off offset:48
	;; [unrolled: 1-line block ×6, first 2 shown]
	v_add_u32_e32 v14, 32, v14
	v_cmp_ge_i32_e32 vcc, v14, v16
	v_add_u32_e32 v12, 0x200, v12
	s_or_b64 s[14:15], vcc, s[14:15]
	s_waitcnt vmcnt(4)
	v_xor_b32_e32 v72, 0x80000000, v29
	v_subrev_u32_e32 v1, s12, v1
	v_lshlrev_b32_e32 v46, 3, v1
	v_lshl_add_u64 v[68:69], v[46:47], 3, s[10:11]
	global_load_dwordx4 v[46:49], v[68:69], off
	global_load_dwordx4 v[50:53], v[68:69], off offset:16
	global_load_dwordx4 v[54:57], v[68:69], off offset:48
	;; [unrolled: 1-line block ×4, first 2 shown]
	v_xor_b32_e32 v66, 0x80000000, v21
	v_mov_b32_e32 v67, v20
	v_xor_b32_e32 v68, 0x80000000, v25
	v_mov_b32_e32 v69, v24
	s_waitcnt vmcnt(8)
	v_xor_b32_e32 v70, 0x80000000, v33
	v_mov_b32_e32 v71, v32
	v_mov_b32_e32 v73, v28
	s_waitcnt vmcnt(5)
	v_xor_b32_e32 v74, 0x80000000, v45
	v_mov_b32_e32 v75, v44
	v_xor_b32_e32 v76, 0x80000000, v41
	v_mov_b32_e32 v77, v40
	;; [unrolled: 2-line block ×3, first 2 shown]
	s_waitcnt vmcnt(4)
	v_pk_fma_f32 v[10:11], v[18:19], v[46:47], v[10:11] op_sel_hi:[1,0,1]
	v_pk_fma_f32 v[8:9], v[20:21], v[46:47], v[8:9] op_sel_hi:[1,0,1]
	v_pk_fma_f32 v[10:11], v[18:19], v[46:47], v[10:11] op_sel:[1,1,0] op_sel_hi:[0,1,1] neg_lo:[1,0,0]
	v_pk_fma_f32 v[8:9], v[66:67], v[46:47], v[8:9] op_sel:[0,1,0]
	v_mov_b32_e32 v20, v49
	v_pk_fma_f32 v[10:11], v[22:23], v[48:49], v[10:11] op_sel_hi:[1,0,1]
	v_pk_fma_f32 v[8:9], v[24:25], v[48:49], v[8:9] op_sel_hi:[1,0,1]
	v_pk_fma_f32 v[10:11], v[22:23], v[20:21], v[10:11] op_sel:[1,0,0] op_sel_hi:[0,0,1] neg_lo:[1,0,0]
	v_pk_fma_f32 v[8:9], v[68:69], v[20:21], v[8:9] op_sel_hi:[1,0,1]
	s_waitcnt vmcnt(3)
	v_pk_fma_f32 v[10:11], v[30:31], v[50:51], v[10:11] op_sel_hi:[1,0,1]
	v_pk_fma_f32 v[8:9], v[32:33], v[50:51], v[8:9] op_sel_hi:[1,0,1]
	v_pk_fma_f32 v[10:11], v[30:31], v[50:51], v[10:11] op_sel:[1,1,0] op_sel_hi:[0,1,1] neg_lo:[1,0,0]
	v_pk_fma_f32 v[8:9], v[70:71], v[50:51], v[8:9] op_sel:[0,1,0]
	v_mov_b32_e32 v18, v53
	v_pk_fma_f32 v[10:11], v[26:27], v[52:53], v[10:11] op_sel_hi:[1,0,1]
	v_pk_fma_f32 v[8:9], v[28:29], v[52:53], v[8:9] op_sel_hi:[1,0,1]
	v_pk_fma_f32 v[10:11], v[26:27], v[18:19], v[10:11] op_sel:[1,0,0] op_sel_hi:[0,0,1] neg_lo:[1,0,0]
	v_pk_fma_f32 v[8:9], v[72:73], v[18:19], v[8:9] op_sel_hi:[1,0,1]
	;; [unrolled: 10-line block ×3, first 2 shown]
	v_pk_fma_f32 v[10:11], v[34:35], v[54:55], v[10:11] op_sel_hi:[1,0,1]
	v_pk_fma_f32 v[8:9], v[36:37], v[54:55], v[8:9] op_sel_hi:[1,0,1]
	v_pk_fma_f32 v[10:11], v[34:35], v[54:55], v[10:11] op_sel:[1,1,0] op_sel_hi:[0,1,1] neg_lo:[1,0,0]
	v_pk_fma_f32 v[8:9], v[78:79], v[54:55], v[8:9] op_sel:[0,1,0]
	s_waitcnt vmcnt(0)
	v_xor_b32_e32 v80, 0x80000000, v65
	v_mov_b32_e32 v81, v64
	v_mov_b32_e32 v46, v57
	v_pk_fma_f32 v[10:11], v[62:63], v[56:57], v[10:11] op_sel_hi:[1,0,1]
	v_pk_fma_f32 v[8:9], v[64:65], v[56:57], v[8:9] op_sel_hi:[1,0,1]
	v_pk_fma_f32 v[10:11], v[62:63], v[46:47], v[10:11] op_sel:[1,0,0] op_sel_hi:[0,0,1] neg_lo:[1,0,0]
	v_pk_fma_f32 v[8:9], v[80:81], v[46:47], v[8:9] op_sel_hi:[1,0,1]
	s_andn2_b64 exec, exec, s[14:15]
	s_cbranch_execnz .LBB185_13
; %bb.14:
	s_or_b64 exec, exec, s[14:15]
.LBB185_15:
	s_or_b64 exec, exec, s[4:5]
	s_cbranch_execz .LBB185_19
	s_branch .LBB185_24
.LBB185_16:
	v_mov_b64_e32 v[4:5], s[8:9]
	flat_load_dword v3, v[4:5] offset:4
	s_and_b64 vcc, exec, s[4:5]
	v_mov_b32_e32 v4, s6
	s_cbranch_vccnz .LBB185_4
.LBB185_17:
	v_mov_b64_e32 v[4:5], s[6:7]
	flat_load_dword v4, v[4:5]
	s_and_b64 vcc, exec, s[4:5]
	v_mov_b32_e32 v5, s7
	s_cbranch_vccz .LBB185_5
	s_branch .LBB185_6
.LBB185_18:
                                        ; implicit-def: $vgpr11
                                        ; implicit-def: $vgpr9
.LBB185_19:
	v_mov_b32_e32 v11, 0
	v_mov_b32_e32 v10, v11
	;; [unrolled: 1-line block ×4, first 2 shown]
	s_and_saveexec_b64 s[4:5], s[2:3]
	s_cbranch_execz .LBB185_23
; %bb.20:
	v_mov_b32_e32 v13, 0
	v_lshlrev_b32_e32 v12, 4, v0
	s_mov_b64 s[2:3], 0
	v_mov_b32_e32 v8, v13
	v_mov_b32_e32 v9, v13
	;; [unrolled: 1-line block ×4, first 2 shown]
.LBB185_21:                             ; =>This Inner Loop Header: Depth=1
	v_ashrrev_i32_e32 v1, 31, v0
	v_lshl_add_u64 v[14:15], v[0:1], 2, s[6:7]
	global_load_dword v1, v[14:15], off
	v_lshl_add_u64 v[14:15], v[12:13], 3, s[8:9]
	v_mov_b32_e32 v51, v13
	global_load_dwordx4 v[18:21], v[14:15], off offset:16
	global_load_dwordx4 v[22:25], v[14:15], off
	global_load_dwordx4 v[26:29], v[14:15], off offset:80
	global_load_dwordx4 v[30:33], v[14:15], off offset:64
	;; [unrolled: 1-line block ×6, first 2 shown]
	v_add_u32_e32 v0, 32, v0
	v_cmp_ge_i32_e32 vcc, v0, v16
	v_add_u32_e32 v12, 0x200, v12
	s_or_b64 s[2:3], vcc, s[2:3]
	s_waitcnt vmcnt(7)
	v_xor_b32_e32 v68, 0x80000000, v21
	v_mov_b32_e32 v69, v20
	s_waitcnt vmcnt(4)
	v_xor_b32_e32 v66, 0x80000000, v33
	v_subrev_u32_e32 v1, s12, v1
	v_lshlrev_b32_e32 v50, 3, v1
	v_lshl_add_u64 v[14:15], v[50:51], 3, s[10:11]
	global_load_dwordx4 v[50:53], v[14:15], off
	global_load_dwordx4 v[54:57], v[14:15], off offset:16
	global_load_dwordx4 v[58:61], v[14:15], off offset:32
	;; [unrolled: 1-line block ×3, first 2 shown]
	v_xor_b32_e32 v14, 0x80000000, v25
	v_mov_b32_e32 v15, v24
	v_mov_b32_e32 v67, v32
	s_waitcnt vmcnt(6)
	v_xor_b32_e32 v70, 0x80000000, v41
	v_mov_b32_e32 v71, v40
	v_xor_b32_e32 v72, 0x80000000, v37
	v_mov_b32_e32 v73, v36
	s_waitcnt vmcnt(3)
	v_pk_fma_f32 v[10:11], v[22:23], v[50:51], v[10:11] op_sel_hi:[1,0,1]
	v_pk_fma_f32 v[8:9], v[30:31], v[50:51], v[8:9] op_sel_hi:[1,0,1]
	v_pk_fma_f32 v[10:11], v[22:23], v[50:51], v[10:11] op_sel:[1,1,0] op_sel_hi:[0,1,1] neg_lo:[1,0,0]
	v_pk_fma_f32 v[8:9], v[30:31], v[50:51], v[8:9] op_sel:[1,1,0] op_sel_hi:[0,1,1] neg_lo:[1,0,0]
	v_pk_fma_f32 v[10:11], v[24:25], v[52:53], v[10:11] op_sel_hi:[1,0,1]
	v_pk_fma_f32 v[8:9], v[32:33], v[52:53], v[8:9] op_sel_hi:[1,0,1]
	v_mov_b32_e32 v32, v53
	v_pk_fma_f32 v[10:11], v[14:15], v[32:33], v[10:11] op_sel_hi:[1,0,1]
	v_pk_fma_f32 v[8:9], v[66:67], v[32:33], v[8:9] op_sel_hi:[1,0,1]
	s_waitcnt vmcnt(2)
	v_pk_fma_f32 v[10:11], v[18:19], v[54:55], v[10:11] op_sel_hi:[1,0,1]
	v_pk_fma_f32 v[8:9], v[26:27], v[54:55], v[8:9] op_sel_hi:[1,0,1]
	v_pk_fma_f32 v[10:11], v[18:19], v[54:55], v[10:11] op_sel:[1,1,0] op_sel_hi:[0,1,1] neg_lo:[1,0,0]
	v_pk_fma_f32 v[8:9], v[26:27], v[54:55], v[8:9] op_sel:[1,1,0] op_sel_hi:[0,1,1] neg_lo:[1,0,0]
	v_xor_b32_e32 v22, 0x80000000, v29
	v_mov_b32_e32 v23, v28
	v_mov_b32_e32 v50, v57
	v_pk_fma_f32 v[10:11], v[20:21], v[56:57], v[10:11] op_sel_hi:[1,0,1]
	v_pk_fma_f32 v[8:9], v[28:29], v[56:57], v[8:9] op_sel_hi:[1,0,1]
	v_pk_fma_f32 v[10:11], v[68:69], v[50:51], v[10:11] op_sel_hi:[1,0,1]
	v_pk_fma_f32 v[8:9], v[22:23], v[50:51], v[8:9] op_sel_hi:[1,0,1]
	s_waitcnt vmcnt(1)
	v_pk_fma_f32 v[10:11], v[38:39], v[58:59], v[10:11] op_sel_hi:[1,0,1]
	v_pk_fma_f32 v[8:9], v[46:47], v[58:59], v[8:9] op_sel_hi:[1,0,1]
	v_pk_fma_f32 v[10:11], v[38:39], v[58:59], v[10:11] op_sel:[1,1,0] op_sel_hi:[0,1,1] neg_lo:[1,0,0]
	v_pk_fma_f32 v[8:9], v[46:47], v[58:59], v[8:9] op_sel:[1,1,0] op_sel_hi:[0,1,1] neg_lo:[1,0,0]
	v_xor_b32_e32 v24, 0x80000000, v49
	v_mov_b32_e32 v25, v48
	v_mov_b32_e32 v52, v61
	v_pk_fma_f32 v[10:11], v[40:41], v[60:61], v[10:11] op_sel_hi:[1,0,1]
	v_pk_fma_f32 v[8:9], v[48:49], v[60:61], v[8:9] op_sel_hi:[1,0,1]
	;; [unrolled: 12-line block ×3, first 2 shown]
	v_pk_fma_f32 v[10:11], v[72:73], v[14:15], v[10:11] op_sel_hi:[1,0,1]
	v_pk_fma_f32 v[8:9], v[30:31], v[14:15], v[8:9] op_sel_hi:[1,0,1]
	s_andn2_b64 exec, exec, s[2:3]
	s_cbranch_execnz .LBB185_21
; %bb.22:
	s_or_b64 exec, exec, s[2:3]
.LBB185_23:
	s_or_b64 exec, exec, s[4:5]
.LBB185_24:
	v_mov_b32_dpp v12, v8 row_shr:1 row_mask:0xf bank_mask:0xf
	v_add_f32_e32 v8, v8, v12
	v_mov_b32_dpp v0, v10 row_shr:1 row_mask:0xf bank_mask:0xf
	v_add_f32_e32 v0, v10, v0
	;; [unrolled: 2-line block ×5, first 2 shown]
	v_mov_b32_dpp v1, v0 row_shr:2 row_mask:0xf bank_mask:0xf
	v_mov_b32_dpp v11, v10 row_shr:2 row_mask:0xf bank_mask:0xf
	;; [unrolled: 1-line block ×3, first 2 shown]
	v_add_f32_e32 v13, v8, v12
	v_mov_b32_dpp v8, v9 row_shr:1 row_mask:0xf bank_mask:0xf
	v_add_f32_e32 v8, v9, v8
	v_add_f32_e32 v0, v0, v1
	;; [unrolled: 1-line block ×3, first 2 shown]
	v_mov_b32_dpp v9, v8 row_shr:2 row_mask:0xf bank_mask:0xf
	v_add_f32_e32 v8, v8, v9
	v_mov_b32_dpp v1, v0 row_shr:4 row_mask:0xf bank_mask:0xe
	v_mov_b32_dpp v11, v10 row_shr:4 row_mask:0xf bank_mask:0xe
	;; [unrolled: 1-line block ×3, first 2 shown]
	v_add_f32_e32 v0, v0, v1
	v_add_f32_e32 v10, v10, v11
	v_add_f32_e32 v8, v8, v9
	v_mov_b32_dpp v1, v0 row_shr:8 row_mask:0xf bank_mask:0xc
	v_mov_b32_dpp v11, v10 row_shr:8 row_mask:0xf bank_mask:0xc
	;; [unrolled: 1-line block ×3, first 2 shown]
	v_add_f32_e32 v0, v0, v1
	v_add_f32_e32 v10, v10, v11
	;; [unrolled: 1-line block ×3, first 2 shown]
	v_mov_b32_dpp v1, v0 row_bcast:15 row_mask:0xa bank_mask:0xf
	v_mov_b32_dpp v11, v10 row_bcast:15 row_mask:0xa bank_mask:0xf
	v_mov_b32_dpp v14, v13 row_bcast:15 row_mask:0xa bank_mask:0xf
	v_mov_b32_dpp v15, v9 row_bcast:15 row_mask:0xa bank_mask:0xf
	v_cmp_eq_u32_e32 vcc, 31, v7
	s_and_b64 exec, exec, vcc
	s_cbranch_execz .LBB185_29
; %bb.25:
	s_load_dwordx2 s[2:3], s[0:1], 0x38
	v_add_f32_e32 v8, v0, v1
	v_and_b32_e32 v1, 0x7fffffff, v4
	v_cmp_eq_u32_e32 vcc, 0, v1
	v_cmp_eq_f32_e64 s[0:1], 0, v5
	v_add_f32_e32 v12, v10, v11
	v_add_f32_e32 v0, v13, v14
	;; [unrolled: 1-line block ×3, first 2 shown]
	s_and_b64 s[0:1], vcc, s[0:1]
	s_and_saveexec_b64 s[4:5], s[0:1]
	s_xor_b64 s[0:1], exec, s[4:5]
	s_cbranch_execz .LBB185_27
; %bb.26:
	v_lshlrev_b32_e32 v4, 1, v6
	v_xor_b32_e32 v14, 0x80000000, v3
	v_ashrrev_i32_e32 v5, 31, v4
	v_mov_b32_e32 v15, v2
	s_waitcnt lgkmcnt(0)
	v_lshl_add_u64 v[16:17], v[4:5], 3, s[2:3]
	v_pk_mul_f32 v[4:5], v[12:13], v[14:15] op_sel_hi:[0,1]
	v_pk_mul_f32 v[6:7], v[10:11], v[14:15] op_sel_hi:[0,1]
	v_pk_fma_f32 v[4:5], v[2:3], v[8:9], v[4:5] op_sel_hi:[1,0,1]
	v_pk_fma_f32 v[6:7], v[2:3], v[0:1], v[6:7] op_sel_hi:[1,0,1]
	global_store_dwordx4 v[16:17], v[4:7], off
                                        ; implicit-def: $vgpr3
                                        ; implicit-def: $vgpr4
                                        ; implicit-def: $vgpr6
                                        ; implicit-def: $vgpr8
                                        ; implicit-def: $vgpr12
                                        ; implicit-def: $vgpr0
                                        ; implicit-def: $vgpr10
.LBB185_27:
	s_andn2_saveexec_b64 s[0:1], s[0:1]
	s_cbranch_execz .LBB185_29
; %bb.28:
	v_lshlrev_b32_e32 v6, 1, v6
	v_ashrrev_i32_e32 v7, 31, v6
	s_waitcnt lgkmcnt(0)
	v_lshl_add_u64 v[6:7], v[6:7], 3, s[2:3]
	global_load_dwordx4 v[14:17], v[6:7], off
	v_xor_b32_e32 v18, 0x80000000, v3
	v_mov_b32_e32 v19, v2
	v_pk_mul_f32 v[12:13], v[12:13], v[18:19] op_sel_hi:[0,1]
	v_pk_mul_f32 v[10:11], v[10:11], v[18:19] op_sel_hi:[0,1]
	v_pk_fma_f32 v[8:9], v[2:3], v[8:9], v[12:13] op_sel_hi:[1,0,1]
	v_pk_fma_f32 v[0:1], v[2:3], v[0:1], v[10:11] op_sel_hi:[1,0,1]
	v_xor_b32_e32 v20, 0x80000000, v5
	v_mov_b32_e32 v21, v4
	s_waitcnt vmcnt(0)
	v_pk_fma_f32 v[2:3], v[4:5], v[14:15], v[8:9] op_sel_hi:[1,0,1]
	v_pk_fma_f32 v[4:5], v[4:5], v[16:17], v[0:1] op_sel_hi:[1,0,1]
	v_mov_b32_e32 v8, v17
	v_pk_fma_f32 v[0:1], v[20:21], v[14:15], v[2:3] op_sel:[0,1,0]
	v_pk_fma_f32 v[2:3], v[20:21], v[8:9], v[4:5] op_sel_hi:[1,0,1]
	global_store_dwordx4 v[6:7], v[0:3], off
.LBB185_29:
	s_endpgm
	.section	.rodata,"a",@progbits
	.p2align	6, 0x0
	.amdhsa_kernel _ZN9rocsparseL19gebsrmvn_2xn_kernelILj128ELj8ELj32E21rocsparse_complex_numIfEEEvi20rocsparse_direction_NS_24const_host_device_scalarIT2_EEPKiS8_PKS5_SA_S6_PS5_21rocsparse_index_base_b
		.amdhsa_group_segment_fixed_size 0
		.amdhsa_private_segment_fixed_size 0
		.amdhsa_kernarg_size 72
		.amdhsa_user_sgpr_count 2
		.amdhsa_user_sgpr_dispatch_ptr 0
		.amdhsa_user_sgpr_queue_ptr 0
		.amdhsa_user_sgpr_kernarg_segment_ptr 1
		.amdhsa_user_sgpr_dispatch_id 0
		.amdhsa_user_sgpr_kernarg_preload_length 0
		.amdhsa_user_sgpr_kernarg_preload_offset 0
		.amdhsa_user_sgpr_private_segment_size 0
		.amdhsa_uses_dynamic_stack 0
		.amdhsa_enable_private_segment 0
		.amdhsa_system_sgpr_workgroup_id_x 1
		.amdhsa_system_sgpr_workgroup_id_y 0
		.amdhsa_system_sgpr_workgroup_id_z 0
		.amdhsa_system_sgpr_workgroup_info 0
		.amdhsa_system_vgpr_workitem_id 0
		.amdhsa_next_free_vgpr 84
		.amdhsa_next_free_sgpr 16
		.amdhsa_accum_offset 84
		.amdhsa_reserve_vcc 1
		.amdhsa_float_round_mode_32 0
		.amdhsa_float_round_mode_16_64 0
		.amdhsa_float_denorm_mode_32 3
		.amdhsa_float_denorm_mode_16_64 3
		.amdhsa_dx10_clamp 1
		.amdhsa_ieee_mode 1
		.amdhsa_fp16_overflow 0
		.amdhsa_tg_split 0
		.amdhsa_exception_fp_ieee_invalid_op 0
		.amdhsa_exception_fp_denorm_src 0
		.amdhsa_exception_fp_ieee_div_zero 0
		.amdhsa_exception_fp_ieee_overflow 0
		.amdhsa_exception_fp_ieee_underflow 0
		.amdhsa_exception_fp_ieee_inexact 0
		.amdhsa_exception_int_div_zero 0
	.end_amdhsa_kernel
	.section	.text._ZN9rocsparseL19gebsrmvn_2xn_kernelILj128ELj8ELj32E21rocsparse_complex_numIfEEEvi20rocsparse_direction_NS_24const_host_device_scalarIT2_EEPKiS8_PKS5_SA_S6_PS5_21rocsparse_index_base_b,"axG",@progbits,_ZN9rocsparseL19gebsrmvn_2xn_kernelILj128ELj8ELj32E21rocsparse_complex_numIfEEEvi20rocsparse_direction_NS_24const_host_device_scalarIT2_EEPKiS8_PKS5_SA_S6_PS5_21rocsparse_index_base_b,comdat
.Lfunc_end185:
	.size	_ZN9rocsparseL19gebsrmvn_2xn_kernelILj128ELj8ELj32E21rocsparse_complex_numIfEEEvi20rocsparse_direction_NS_24const_host_device_scalarIT2_EEPKiS8_PKS5_SA_S6_PS5_21rocsparse_index_base_b, .Lfunc_end185-_ZN9rocsparseL19gebsrmvn_2xn_kernelILj128ELj8ELj32E21rocsparse_complex_numIfEEEvi20rocsparse_direction_NS_24const_host_device_scalarIT2_EEPKiS8_PKS5_SA_S6_PS5_21rocsparse_index_base_b
                                        ; -- End function
	.section	.AMDGPU.csdata,"",@progbits
; Kernel info:
; codeLenInByte = 2140
; NumSgprs: 22
; NumVgprs: 84
; NumAgprs: 0
; TotalNumVgprs: 84
; ScratchSize: 0
; MemoryBound: 0
; FloatMode: 240
; IeeeMode: 1
; LDSByteSize: 0 bytes/workgroup (compile time only)
; SGPRBlocks: 2
; VGPRBlocks: 10
; NumSGPRsForWavesPerEU: 22
; NumVGPRsForWavesPerEU: 84
; AccumOffset: 84
; Occupancy: 5
; WaveLimiterHint : 1
; COMPUTE_PGM_RSRC2:SCRATCH_EN: 0
; COMPUTE_PGM_RSRC2:USER_SGPR: 2
; COMPUTE_PGM_RSRC2:TRAP_HANDLER: 0
; COMPUTE_PGM_RSRC2:TGID_X_EN: 1
; COMPUTE_PGM_RSRC2:TGID_Y_EN: 0
; COMPUTE_PGM_RSRC2:TGID_Z_EN: 0
; COMPUTE_PGM_RSRC2:TIDIG_COMP_CNT: 0
; COMPUTE_PGM_RSRC3_GFX90A:ACCUM_OFFSET: 20
; COMPUTE_PGM_RSRC3_GFX90A:TG_SPLIT: 0
	.section	.text._ZN9rocsparseL19gebsrmvn_2xn_kernelILj128ELj8ELj64E21rocsparse_complex_numIfEEEvi20rocsparse_direction_NS_24const_host_device_scalarIT2_EEPKiS8_PKS5_SA_S6_PS5_21rocsparse_index_base_b,"axG",@progbits,_ZN9rocsparseL19gebsrmvn_2xn_kernelILj128ELj8ELj64E21rocsparse_complex_numIfEEEvi20rocsparse_direction_NS_24const_host_device_scalarIT2_EEPKiS8_PKS5_SA_S6_PS5_21rocsparse_index_base_b,comdat
	.globl	_ZN9rocsparseL19gebsrmvn_2xn_kernelILj128ELj8ELj64E21rocsparse_complex_numIfEEEvi20rocsparse_direction_NS_24const_host_device_scalarIT2_EEPKiS8_PKS5_SA_S6_PS5_21rocsparse_index_base_b ; -- Begin function _ZN9rocsparseL19gebsrmvn_2xn_kernelILj128ELj8ELj64E21rocsparse_complex_numIfEEEvi20rocsparse_direction_NS_24const_host_device_scalarIT2_EEPKiS8_PKS5_SA_S6_PS5_21rocsparse_index_base_b
	.p2align	8
	.type	_ZN9rocsparseL19gebsrmvn_2xn_kernelILj128ELj8ELj64E21rocsparse_complex_numIfEEEvi20rocsparse_direction_NS_24const_host_device_scalarIT2_EEPKiS8_PKS5_SA_S6_PS5_21rocsparse_index_base_b,@function
_ZN9rocsparseL19gebsrmvn_2xn_kernelILj128ELj8ELj64E21rocsparse_complex_numIfEEEvi20rocsparse_direction_NS_24const_host_device_scalarIT2_EEPKiS8_PKS5_SA_S6_PS5_21rocsparse_index_base_b: ; @_ZN9rocsparseL19gebsrmvn_2xn_kernelILj128ELj8ELj64E21rocsparse_complex_numIfEEEvi20rocsparse_direction_NS_24const_host_device_scalarIT2_EEPKiS8_PKS5_SA_S6_PS5_21rocsparse_index_base_b
; %bb.0:
	s_load_dwordx2 s[12:13], s[0:1], 0x40
	s_load_dwordx2 s[8:9], s[0:1], 0x8
	s_load_dwordx2 s[6:7], s[0:1], 0x30
	s_waitcnt lgkmcnt(0)
	s_bitcmp1_b32 s13, 0
	s_cselect_b64 s[4:5], -1, 0
	s_xor_b64 s[10:11], s[4:5], -1
	s_and_b64 vcc, exec, s[4:5]
	v_mov_b32_e32 v2, s8
	s_cbranch_vccnz .LBB186_2
; %bb.1:
	v_mov_b64_e32 v[2:3], s[8:9]
	flat_load_dword v2, v[2:3]
.LBB186_2:
	v_cndmask_b32_e64 v1, 0, 1, s[10:11]
	v_cmp_ne_u32_e64 s[4:5], 1, v1
	s_andn2_b64 vcc, exec, s[10:11]
	v_mov_b32_e32 v3, s9
	s_cbranch_vccz .LBB186_16
; %bb.3:
	s_and_b64 vcc, exec, s[4:5]
	v_mov_b32_e32 v4, s6
	s_cbranch_vccz .LBB186_17
.LBB186_4:
	s_and_b64 vcc, exec, s[4:5]
	v_mov_b32_e32 v5, s7
	s_cbranch_vccnz .LBB186_6
.LBB186_5:
	v_mov_b64_e32 v[6:7], s[6:7]
	flat_load_dword v5, v[6:7] offset:4
.LBB186_6:
	s_waitcnt vmcnt(0) lgkmcnt(0)
	v_and_b32_e32 v1, 0x7fffffff, v2
	v_cmp_eq_u32_e32 vcc, 0, v1
	v_cmp_eq_f32_e64 s[4:5], 0, v3
	s_and_b64 s[8:9], vcc, s[4:5]
	s_mov_b64 s[4:5], -1
	s_and_saveexec_b64 s[6:7], s[8:9]
; %bb.7:
	v_and_b32_e32 v1, 0x7fffffff, v5
	v_cmp_neq_f32_e32 vcc, 1.0, v4
	v_cmp_ne_u32_e64 s[4:5], 0, v1
	s_or_b64 s[4:5], vcc, s[4:5]
	s_orn2_b64 s[4:5], s[4:5], exec
; %bb.8:
	s_or_b64 exec, exec, s[6:7]
	s_and_saveexec_b64 s[6:7], s[4:5]
	s_cbranch_execz .LBB186_29
; %bb.9:
	s_load_dwordx2 s[14:15], s[0:1], 0x0
	v_lshrrev_b32_e32 v1, 6, v0
	v_lshl_or_b32 v6, s2, 1, v1
	s_waitcnt lgkmcnt(0)
	v_cmp_gt_i32_e32 vcc, s14, v6
	s_and_b64 exec, exec, vcc
	s_cbranch_execz .LBB186_29
; %bb.10:
	s_load_dwordx8 s[4:11], s[0:1], 0x10
	v_ashrrev_i32_e32 v7, 31, v6
	s_cmp_lg_u32 s15, 0
	s_waitcnt lgkmcnt(0)
	v_lshl_add_u64 v[8:9], v[6:7], 2, s[4:5]
	global_load_dwordx2 v[8:9], v[8:9], off
	v_and_b32_e32 v7, 63, v0
	s_waitcnt vmcnt(0)
	v_subrev_u32_e32 v0, s12, v8
	v_subrev_u32_e32 v16, s12, v9
	v_add_u32_e32 v0, v0, v7
	v_cmp_lt_i32_e64 s[2:3], v0, v16
	s_cbranch_scc0 .LBB186_18
; %bb.11:
	v_mov_b32_e32 v11, 0
	v_mov_b32_e32 v10, v11
	;; [unrolled: 1-line block ×4, first 2 shown]
	s_and_saveexec_b64 s[4:5], s[2:3]
	s_cbranch_execz .LBB186_15
; %bb.12:
	v_mov_b32_e32 v13, 0
	v_lshlrev_b32_e32 v12, 4, v0
	s_mov_b64 s[14:15], 0
	v_mov_b32_e32 v14, v0
	v_mov_b32_e32 v8, v13
	;; [unrolled: 1-line block ×5, first 2 shown]
.LBB186_13:                             ; =>This Inner Loop Header: Depth=1
	v_ashrrev_i32_e32 v15, 31, v14
	v_lshl_add_u64 v[18:19], v[14:15], 2, s[6:7]
	global_load_dword v1, v[18:19], off
	v_mov_b32_e32 v47, v13
	v_lshl_add_u64 v[66:67], v[12:13], 3, s[8:9]
	global_load_dwordx4 v[18:21], v[66:67], off
	global_load_dwordx4 v[22:25], v[66:67], off offset:16
	global_load_dwordx4 v[26:29], v[66:67], off offset:48
	;; [unrolled: 1-line block ×6, first 2 shown]
	v_add_u32_e32 v14, 64, v14
	v_cmp_ge_i32_e32 vcc, v14, v16
	v_add_u32_e32 v12, 0x400, v12
	s_or_b64 s[14:15], vcc, s[14:15]
	s_waitcnt vmcnt(4)
	v_xor_b32_e32 v72, 0x80000000, v29
	v_subrev_u32_e32 v1, s12, v1
	v_lshlrev_b32_e32 v46, 3, v1
	v_lshl_add_u64 v[68:69], v[46:47], 3, s[10:11]
	global_load_dwordx4 v[46:49], v[68:69], off
	global_load_dwordx4 v[50:53], v[68:69], off offset:16
	global_load_dwordx4 v[54:57], v[68:69], off offset:48
	;; [unrolled: 1-line block ×4, first 2 shown]
	v_xor_b32_e32 v66, 0x80000000, v21
	v_mov_b32_e32 v67, v20
	v_xor_b32_e32 v68, 0x80000000, v25
	v_mov_b32_e32 v69, v24
	s_waitcnt vmcnt(8)
	v_xor_b32_e32 v70, 0x80000000, v33
	v_mov_b32_e32 v71, v32
	v_mov_b32_e32 v73, v28
	s_waitcnt vmcnt(5)
	v_xor_b32_e32 v74, 0x80000000, v45
	v_mov_b32_e32 v75, v44
	v_xor_b32_e32 v76, 0x80000000, v41
	v_mov_b32_e32 v77, v40
	;; [unrolled: 2-line block ×3, first 2 shown]
	s_waitcnt vmcnt(4)
	v_pk_fma_f32 v[10:11], v[18:19], v[46:47], v[10:11] op_sel_hi:[1,0,1]
	v_pk_fma_f32 v[8:9], v[20:21], v[46:47], v[8:9] op_sel_hi:[1,0,1]
	v_pk_fma_f32 v[10:11], v[18:19], v[46:47], v[10:11] op_sel:[1,1,0] op_sel_hi:[0,1,1] neg_lo:[1,0,0]
	v_pk_fma_f32 v[8:9], v[66:67], v[46:47], v[8:9] op_sel:[0,1,0]
	v_mov_b32_e32 v20, v49
	v_pk_fma_f32 v[10:11], v[22:23], v[48:49], v[10:11] op_sel_hi:[1,0,1]
	v_pk_fma_f32 v[8:9], v[24:25], v[48:49], v[8:9] op_sel_hi:[1,0,1]
	v_pk_fma_f32 v[10:11], v[22:23], v[20:21], v[10:11] op_sel:[1,0,0] op_sel_hi:[0,0,1] neg_lo:[1,0,0]
	v_pk_fma_f32 v[8:9], v[68:69], v[20:21], v[8:9] op_sel_hi:[1,0,1]
	s_waitcnt vmcnt(3)
	v_pk_fma_f32 v[10:11], v[30:31], v[50:51], v[10:11] op_sel_hi:[1,0,1]
	v_pk_fma_f32 v[8:9], v[32:33], v[50:51], v[8:9] op_sel_hi:[1,0,1]
	v_pk_fma_f32 v[10:11], v[30:31], v[50:51], v[10:11] op_sel:[1,1,0] op_sel_hi:[0,1,1] neg_lo:[1,0,0]
	v_pk_fma_f32 v[8:9], v[70:71], v[50:51], v[8:9] op_sel:[0,1,0]
	v_mov_b32_e32 v18, v53
	v_pk_fma_f32 v[10:11], v[26:27], v[52:53], v[10:11] op_sel_hi:[1,0,1]
	v_pk_fma_f32 v[8:9], v[28:29], v[52:53], v[8:9] op_sel_hi:[1,0,1]
	v_pk_fma_f32 v[10:11], v[26:27], v[18:19], v[10:11] op_sel:[1,0,0] op_sel_hi:[0,0,1] neg_lo:[1,0,0]
	v_pk_fma_f32 v[8:9], v[72:73], v[18:19], v[8:9] op_sel_hi:[1,0,1]
	;; [unrolled: 10-line block ×3, first 2 shown]
	v_pk_fma_f32 v[10:11], v[34:35], v[54:55], v[10:11] op_sel_hi:[1,0,1]
	v_pk_fma_f32 v[8:9], v[36:37], v[54:55], v[8:9] op_sel_hi:[1,0,1]
	v_pk_fma_f32 v[10:11], v[34:35], v[54:55], v[10:11] op_sel:[1,1,0] op_sel_hi:[0,1,1] neg_lo:[1,0,0]
	v_pk_fma_f32 v[8:9], v[78:79], v[54:55], v[8:9] op_sel:[0,1,0]
	s_waitcnt vmcnt(0)
	v_xor_b32_e32 v80, 0x80000000, v65
	v_mov_b32_e32 v81, v64
	v_mov_b32_e32 v46, v57
	v_pk_fma_f32 v[10:11], v[62:63], v[56:57], v[10:11] op_sel_hi:[1,0,1]
	v_pk_fma_f32 v[8:9], v[64:65], v[56:57], v[8:9] op_sel_hi:[1,0,1]
	v_pk_fma_f32 v[10:11], v[62:63], v[46:47], v[10:11] op_sel:[1,0,0] op_sel_hi:[0,0,1] neg_lo:[1,0,0]
	v_pk_fma_f32 v[8:9], v[80:81], v[46:47], v[8:9] op_sel_hi:[1,0,1]
	s_andn2_b64 exec, exec, s[14:15]
	s_cbranch_execnz .LBB186_13
; %bb.14:
	s_or_b64 exec, exec, s[14:15]
.LBB186_15:
	s_or_b64 exec, exec, s[4:5]
	s_cbranch_execz .LBB186_19
	s_branch .LBB186_24
.LBB186_16:
	v_mov_b64_e32 v[4:5], s[8:9]
	flat_load_dword v3, v[4:5] offset:4
	s_and_b64 vcc, exec, s[4:5]
	v_mov_b32_e32 v4, s6
	s_cbranch_vccnz .LBB186_4
.LBB186_17:
	v_mov_b64_e32 v[4:5], s[6:7]
	flat_load_dword v4, v[4:5]
	s_and_b64 vcc, exec, s[4:5]
	v_mov_b32_e32 v5, s7
	s_cbranch_vccz .LBB186_5
	s_branch .LBB186_6
.LBB186_18:
                                        ; implicit-def: $vgpr11
                                        ; implicit-def: $vgpr9
.LBB186_19:
	v_mov_b32_e32 v11, 0
	v_mov_b32_e32 v10, v11
	;; [unrolled: 1-line block ×4, first 2 shown]
	s_and_saveexec_b64 s[4:5], s[2:3]
	s_cbranch_execz .LBB186_23
; %bb.20:
	v_mov_b32_e32 v13, 0
	v_lshlrev_b32_e32 v12, 4, v0
	s_mov_b64 s[2:3], 0
	v_mov_b32_e32 v8, v13
	v_mov_b32_e32 v9, v13
	;; [unrolled: 1-line block ×4, first 2 shown]
.LBB186_21:                             ; =>This Inner Loop Header: Depth=1
	v_ashrrev_i32_e32 v1, 31, v0
	v_lshl_add_u64 v[14:15], v[0:1], 2, s[6:7]
	global_load_dword v1, v[14:15], off
	v_lshl_add_u64 v[14:15], v[12:13], 3, s[8:9]
	v_mov_b32_e32 v51, v13
	global_load_dwordx4 v[18:21], v[14:15], off offset:16
	global_load_dwordx4 v[22:25], v[14:15], off
	global_load_dwordx4 v[26:29], v[14:15], off offset:80
	global_load_dwordx4 v[30:33], v[14:15], off offset:64
	;; [unrolled: 1-line block ×6, first 2 shown]
	v_add_u32_e32 v0, 64, v0
	v_cmp_ge_i32_e32 vcc, v0, v16
	v_add_u32_e32 v12, 0x400, v12
	s_or_b64 s[2:3], vcc, s[2:3]
	s_waitcnt vmcnt(7)
	v_xor_b32_e32 v68, 0x80000000, v21
	v_mov_b32_e32 v69, v20
	s_waitcnt vmcnt(4)
	v_xor_b32_e32 v66, 0x80000000, v33
	v_subrev_u32_e32 v1, s12, v1
	v_lshlrev_b32_e32 v50, 3, v1
	v_lshl_add_u64 v[14:15], v[50:51], 3, s[10:11]
	global_load_dwordx4 v[50:53], v[14:15], off
	global_load_dwordx4 v[54:57], v[14:15], off offset:16
	global_load_dwordx4 v[58:61], v[14:15], off offset:32
	;; [unrolled: 1-line block ×3, first 2 shown]
	v_xor_b32_e32 v14, 0x80000000, v25
	v_mov_b32_e32 v15, v24
	v_mov_b32_e32 v67, v32
	s_waitcnt vmcnt(6)
	v_xor_b32_e32 v70, 0x80000000, v41
	v_mov_b32_e32 v71, v40
	v_xor_b32_e32 v72, 0x80000000, v37
	v_mov_b32_e32 v73, v36
	s_waitcnt vmcnt(3)
	v_pk_fma_f32 v[10:11], v[22:23], v[50:51], v[10:11] op_sel_hi:[1,0,1]
	v_pk_fma_f32 v[8:9], v[30:31], v[50:51], v[8:9] op_sel_hi:[1,0,1]
	v_pk_fma_f32 v[10:11], v[22:23], v[50:51], v[10:11] op_sel:[1,1,0] op_sel_hi:[0,1,1] neg_lo:[1,0,0]
	v_pk_fma_f32 v[8:9], v[30:31], v[50:51], v[8:9] op_sel:[1,1,0] op_sel_hi:[0,1,1] neg_lo:[1,0,0]
	v_pk_fma_f32 v[10:11], v[24:25], v[52:53], v[10:11] op_sel_hi:[1,0,1]
	v_pk_fma_f32 v[8:9], v[32:33], v[52:53], v[8:9] op_sel_hi:[1,0,1]
	v_mov_b32_e32 v32, v53
	v_pk_fma_f32 v[10:11], v[14:15], v[32:33], v[10:11] op_sel_hi:[1,0,1]
	v_pk_fma_f32 v[8:9], v[66:67], v[32:33], v[8:9] op_sel_hi:[1,0,1]
	s_waitcnt vmcnt(2)
	v_pk_fma_f32 v[10:11], v[18:19], v[54:55], v[10:11] op_sel_hi:[1,0,1]
	v_pk_fma_f32 v[8:9], v[26:27], v[54:55], v[8:9] op_sel_hi:[1,0,1]
	v_pk_fma_f32 v[10:11], v[18:19], v[54:55], v[10:11] op_sel:[1,1,0] op_sel_hi:[0,1,1] neg_lo:[1,0,0]
	v_pk_fma_f32 v[8:9], v[26:27], v[54:55], v[8:9] op_sel:[1,1,0] op_sel_hi:[0,1,1] neg_lo:[1,0,0]
	v_xor_b32_e32 v22, 0x80000000, v29
	v_mov_b32_e32 v23, v28
	v_mov_b32_e32 v50, v57
	v_pk_fma_f32 v[10:11], v[20:21], v[56:57], v[10:11] op_sel_hi:[1,0,1]
	v_pk_fma_f32 v[8:9], v[28:29], v[56:57], v[8:9] op_sel_hi:[1,0,1]
	v_pk_fma_f32 v[10:11], v[68:69], v[50:51], v[10:11] op_sel_hi:[1,0,1]
	v_pk_fma_f32 v[8:9], v[22:23], v[50:51], v[8:9] op_sel_hi:[1,0,1]
	s_waitcnt vmcnt(1)
	v_pk_fma_f32 v[10:11], v[38:39], v[58:59], v[10:11] op_sel_hi:[1,0,1]
	v_pk_fma_f32 v[8:9], v[46:47], v[58:59], v[8:9] op_sel_hi:[1,0,1]
	v_pk_fma_f32 v[10:11], v[38:39], v[58:59], v[10:11] op_sel:[1,1,0] op_sel_hi:[0,1,1] neg_lo:[1,0,0]
	v_pk_fma_f32 v[8:9], v[46:47], v[58:59], v[8:9] op_sel:[1,1,0] op_sel_hi:[0,1,1] neg_lo:[1,0,0]
	v_xor_b32_e32 v24, 0x80000000, v49
	v_mov_b32_e32 v25, v48
	v_mov_b32_e32 v52, v61
	v_pk_fma_f32 v[10:11], v[40:41], v[60:61], v[10:11] op_sel_hi:[1,0,1]
	v_pk_fma_f32 v[8:9], v[48:49], v[60:61], v[8:9] op_sel_hi:[1,0,1]
	;; [unrolled: 12-line block ×3, first 2 shown]
	v_pk_fma_f32 v[10:11], v[72:73], v[14:15], v[10:11] op_sel_hi:[1,0,1]
	v_pk_fma_f32 v[8:9], v[30:31], v[14:15], v[8:9] op_sel_hi:[1,0,1]
	s_andn2_b64 exec, exec, s[2:3]
	s_cbranch_execnz .LBB186_21
; %bb.22:
	s_or_b64 exec, exec, s[2:3]
.LBB186_23:
	s_or_b64 exec, exec, s[4:5]
.LBB186_24:
	v_mov_b32_dpp v12, v8 row_shr:1 row_mask:0xf bank_mask:0xf
	v_add_f32_e32 v8, v8, v12
	v_mov_b32_dpp v0, v10 row_shr:1 row_mask:0xf bank_mask:0xf
	v_add_f32_e32 v0, v10, v0
	;; [unrolled: 2-line block ×5, first 2 shown]
	v_mov_b32_dpp v1, v0 row_shr:2 row_mask:0xf bank_mask:0xf
	v_mov_b32_dpp v11, v10 row_shr:2 row_mask:0xf bank_mask:0xf
	;; [unrolled: 1-line block ×3, first 2 shown]
	v_add_f32_e32 v8, v8, v12
	v_add_f32_e32 v0, v0, v1
	;; [unrolled: 1-line block ×3, first 2 shown]
	v_mov_b32_dpp v12, v8 row_bcast:15 row_mask:0xa bank_mask:0xf
	v_add_f32_e32 v13, v8, v12
	v_mov_b32_dpp v8, v9 row_shr:1 row_mask:0xf bank_mask:0xf
	v_add_f32_e32 v8, v9, v8
	v_mov_b32_dpp v1, v0 row_shr:4 row_mask:0xf bank_mask:0xe
	v_mov_b32_dpp v11, v10 row_shr:4 row_mask:0xf bank_mask:0xe
	;; [unrolled: 1-line block ×3, first 2 shown]
	v_add_f32_e32 v8, v8, v9
	v_add_f32_e32 v0, v0, v1
	;; [unrolled: 1-line block ×3, first 2 shown]
	v_mov_b32_dpp v9, v8 row_shr:4 row_mask:0xf bank_mask:0xe
	v_add_f32_e32 v8, v8, v9
	v_mov_b32_dpp v1, v0 row_shr:8 row_mask:0xf bank_mask:0xc
	v_mov_b32_dpp v11, v10 row_shr:8 row_mask:0xf bank_mask:0xc
	;; [unrolled: 1-line block ×3, first 2 shown]
	v_add_f32_e32 v0, v0, v1
	v_add_f32_e32 v10, v10, v11
	;; [unrolled: 1-line block ×3, first 2 shown]
	v_mov_b32_dpp v1, v0 row_bcast:15 row_mask:0xa bank_mask:0xf
	v_mov_b32_dpp v11, v10 row_bcast:15 row_mask:0xa bank_mask:0xf
	;; [unrolled: 1-line block ×3, first 2 shown]
	v_add_f32_e32 v0, v0, v1
	v_add_f32_e32 v10, v10, v11
	;; [unrolled: 1-line block ×3, first 2 shown]
	v_mov_b32_dpp v1, v0 row_bcast:31 row_mask:0xc bank_mask:0xf
	v_mov_b32_dpp v11, v10 row_bcast:31 row_mask:0xc bank_mask:0xf
	;; [unrolled: 1-line block ×4, first 2 shown]
	v_cmp_eq_u32_e32 vcc, 63, v7
	s_and_b64 exec, exec, vcc
	s_cbranch_execz .LBB186_29
; %bb.25:
	s_load_dwordx2 s[2:3], s[0:1], 0x38
	v_add_f32_e32 v8, v0, v1
	v_and_b32_e32 v1, 0x7fffffff, v4
	v_cmp_eq_u32_e32 vcc, 0, v1
	v_cmp_eq_f32_e64 s[0:1], 0, v5
	v_add_f32_e32 v12, v10, v11
	v_add_f32_e32 v0, v13, v14
	;; [unrolled: 1-line block ×3, first 2 shown]
	s_and_b64 s[0:1], vcc, s[0:1]
	s_and_saveexec_b64 s[4:5], s[0:1]
	s_xor_b64 s[0:1], exec, s[4:5]
	s_cbranch_execz .LBB186_27
; %bb.26:
	v_lshlrev_b32_e32 v4, 1, v6
	v_xor_b32_e32 v14, 0x80000000, v3
	v_ashrrev_i32_e32 v5, 31, v4
	v_mov_b32_e32 v15, v2
	s_waitcnt lgkmcnt(0)
	v_lshl_add_u64 v[16:17], v[4:5], 3, s[2:3]
	v_pk_mul_f32 v[4:5], v[12:13], v[14:15] op_sel_hi:[0,1]
	v_pk_mul_f32 v[6:7], v[10:11], v[14:15] op_sel_hi:[0,1]
	v_pk_fma_f32 v[4:5], v[2:3], v[8:9], v[4:5] op_sel_hi:[1,0,1]
	v_pk_fma_f32 v[6:7], v[2:3], v[0:1], v[6:7] op_sel_hi:[1,0,1]
	global_store_dwordx4 v[16:17], v[4:7], off
                                        ; implicit-def: $vgpr3
                                        ; implicit-def: $vgpr4
                                        ; implicit-def: $vgpr6
                                        ; implicit-def: $vgpr8
                                        ; implicit-def: $vgpr12
                                        ; implicit-def: $vgpr0
                                        ; implicit-def: $vgpr10
.LBB186_27:
	s_andn2_saveexec_b64 s[0:1], s[0:1]
	s_cbranch_execz .LBB186_29
; %bb.28:
	v_lshlrev_b32_e32 v6, 1, v6
	v_ashrrev_i32_e32 v7, 31, v6
	s_waitcnt lgkmcnt(0)
	v_lshl_add_u64 v[6:7], v[6:7], 3, s[2:3]
	global_load_dwordx4 v[14:17], v[6:7], off
	v_xor_b32_e32 v18, 0x80000000, v3
	v_mov_b32_e32 v19, v2
	v_pk_mul_f32 v[12:13], v[12:13], v[18:19] op_sel_hi:[0,1]
	v_pk_mul_f32 v[10:11], v[10:11], v[18:19] op_sel_hi:[0,1]
	v_pk_fma_f32 v[8:9], v[2:3], v[8:9], v[12:13] op_sel_hi:[1,0,1]
	v_pk_fma_f32 v[0:1], v[2:3], v[0:1], v[10:11] op_sel_hi:[1,0,1]
	v_xor_b32_e32 v20, 0x80000000, v5
	v_mov_b32_e32 v21, v4
	s_waitcnt vmcnt(0)
	v_pk_fma_f32 v[2:3], v[4:5], v[14:15], v[8:9] op_sel_hi:[1,0,1]
	v_pk_fma_f32 v[4:5], v[4:5], v[16:17], v[0:1] op_sel_hi:[1,0,1]
	v_mov_b32_e32 v8, v17
	v_pk_fma_f32 v[0:1], v[20:21], v[14:15], v[2:3] op_sel:[0,1,0]
	v_pk_fma_f32 v[2:3], v[20:21], v[8:9], v[4:5] op_sel_hi:[1,0,1]
	global_store_dwordx4 v[6:7], v[0:3], off
.LBB186_29:
	s_endpgm
	.section	.rodata,"a",@progbits
	.p2align	6, 0x0
	.amdhsa_kernel _ZN9rocsparseL19gebsrmvn_2xn_kernelILj128ELj8ELj64E21rocsparse_complex_numIfEEEvi20rocsparse_direction_NS_24const_host_device_scalarIT2_EEPKiS8_PKS5_SA_S6_PS5_21rocsparse_index_base_b
		.amdhsa_group_segment_fixed_size 0
		.amdhsa_private_segment_fixed_size 0
		.amdhsa_kernarg_size 72
		.amdhsa_user_sgpr_count 2
		.amdhsa_user_sgpr_dispatch_ptr 0
		.amdhsa_user_sgpr_queue_ptr 0
		.amdhsa_user_sgpr_kernarg_segment_ptr 1
		.amdhsa_user_sgpr_dispatch_id 0
		.amdhsa_user_sgpr_kernarg_preload_length 0
		.amdhsa_user_sgpr_kernarg_preload_offset 0
		.amdhsa_user_sgpr_private_segment_size 0
		.amdhsa_uses_dynamic_stack 0
		.amdhsa_enable_private_segment 0
		.amdhsa_system_sgpr_workgroup_id_x 1
		.amdhsa_system_sgpr_workgroup_id_y 0
		.amdhsa_system_sgpr_workgroup_id_z 0
		.amdhsa_system_sgpr_workgroup_info 0
		.amdhsa_system_vgpr_workitem_id 0
		.amdhsa_next_free_vgpr 84
		.amdhsa_next_free_sgpr 16
		.amdhsa_accum_offset 84
		.amdhsa_reserve_vcc 1
		.amdhsa_float_round_mode_32 0
		.amdhsa_float_round_mode_16_64 0
		.amdhsa_float_denorm_mode_32 3
		.amdhsa_float_denorm_mode_16_64 3
		.amdhsa_dx10_clamp 1
		.amdhsa_ieee_mode 1
		.amdhsa_fp16_overflow 0
		.amdhsa_tg_split 0
		.amdhsa_exception_fp_ieee_invalid_op 0
		.amdhsa_exception_fp_denorm_src 0
		.amdhsa_exception_fp_ieee_div_zero 0
		.amdhsa_exception_fp_ieee_overflow 0
		.amdhsa_exception_fp_ieee_underflow 0
		.amdhsa_exception_fp_ieee_inexact 0
		.amdhsa_exception_int_div_zero 0
	.end_amdhsa_kernel
	.section	.text._ZN9rocsparseL19gebsrmvn_2xn_kernelILj128ELj8ELj64E21rocsparse_complex_numIfEEEvi20rocsparse_direction_NS_24const_host_device_scalarIT2_EEPKiS8_PKS5_SA_S6_PS5_21rocsparse_index_base_b,"axG",@progbits,_ZN9rocsparseL19gebsrmvn_2xn_kernelILj128ELj8ELj64E21rocsparse_complex_numIfEEEvi20rocsparse_direction_NS_24const_host_device_scalarIT2_EEPKiS8_PKS5_SA_S6_PS5_21rocsparse_index_base_b,comdat
.Lfunc_end186:
	.size	_ZN9rocsparseL19gebsrmvn_2xn_kernelILj128ELj8ELj64E21rocsparse_complex_numIfEEEvi20rocsparse_direction_NS_24const_host_device_scalarIT2_EEPKiS8_PKS5_SA_S6_PS5_21rocsparse_index_base_b, .Lfunc_end186-_ZN9rocsparseL19gebsrmvn_2xn_kernelILj128ELj8ELj64E21rocsparse_complex_numIfEEEvi20rocsparse_direction_NS_24const_host_device_scalarIT2_EEPKiS8_PKS5_SA_S6_PS5_21rocsparse_index_base_b
                                        ; -- End function
	.section	.AMDGPU.csdata,"",@progbits
; Kernel info:
; codeLenInByte = 2188
; NumSgprs: 22
; NumVgprs: 84
; NumAgprs: 0
; TotalNumVgprs: 84
; ScratchSize: 0
; MemoryBound: 0
; FloatMode: 240
; IeeeMode: 1
; LDSByteSize: 0 bytes/workgroup (compile time only)
; SGPRBlocks: 2
; VGPRBlocks: 10
; NumSGPRsForWavesPerEU: 22
; NumVGPRsForWavesPerEU: 84
; AccumOffset: 84
; Occupancy: 5
; WaveLimiterHint : 1
; COMPUTE_PGM_RSRC2:SCRATCH_EN: 0
; COMPUTE_PGM_RSRC2:USER_SGPR: 2
; COMPUTE_PGM_RSRC2:TRAP_HANDLER: 0
; COMPUTE_PGM_RSRC2:TGID_X_EN: 1
; COMPUTE_PGM_RSRC2:TGID_Y_EN: 0
; COMPUTE_PGM_RSRC2:TGID_Z_EN: 0
; COMPUTE_PGM_RSRC2:TIDIG_COMP_CNT: 0
; COMPUTE_PGM_RSRC3_GFX90A:ACCUM_OFFSET: 20
; COMPUTE_PGM_RSRC3_GFX90A:TG_SPLIT: 0
	.section	.text._ZN9rocsparseL19gebsrmvn_2xn_kernelILj128ELj9ELj4E21rocsparse_complex_numIfEEEvi20rocsparse_direction_NS_24const_host_device_scalarIT2_EEPKiS8_PKS5_SA_S6_PS5_21rocsparse_index_base_b,"axG",@progbits,_ZN9rocsparseL19gebsrmvn_2xn_kernelILj128ELj9ELj4E21rocsparse_complex_numIfEEEvi20rocsparse_direction_NS_24const_host_device_scalarIT2_EEPKiS8_PKS5_SA_S6_PS5_21rocsparse_index_base_b,comdat
	.globl	_ZN9rocsparseL19gebsrmvn_2xn_kernelILj128ELj9ELj4E21rocsparse_complex_numIfEEEvi20rocsparse_direction_NS_24const_host_device_scalarIT2_EEPKiS8_PKS5_SA_S6_PS5_21rocsparse_index_base_b ; -- Begin function _ZN9rocsparseL19gebsrmvn_2xn_kernelILj128ELj9ELj4E21rocsparse_complex_numIfEEEvi20rocsparse_direction_NS_24const_host_device_scalarIT2_EEPKiS8_PKS5_SA_S6_PS5_21rocsparse_index_base_b
	.p2align	8
	.type	_ZN9rocsparseL19gebsrmvn_2xn_kernelILj128ELj9ELj4E21rocsparse_complex_numIfEEEvi20rocsparse_direction_NS_24const_host_device_scalarIT2_EEPKiS8_PKS5_SA_S6_PS5_21rocsparse_index_base_b,@function
_ZN9rocsparseL19gebsrmvn_2xn_kernelILj128ELj9ELj4E21rocsparse_complex_numIfEEEvi20rocsparse_direction_NS_24const_host_device_scalarIT2_EEPKiS8_PKS5_SA_S6_PS5_21rocsparse_index_base_b: ; @_ZN9rocsparseL19gebsrmvn_2xn_kernelILj128ELj9ELj4E21rocsparse_complex_numIfEEEvi20rocsparse_direction_NS_24const_host_device_scalarIT2_EEPKiS8_PKS5_SA_S6_PS5_21rocsparse_index_base_b
; %bb.0:
	s_load_dwordx2 s[12:13], s[0:1], 0x40
	s_load_dwordx2 s[8:9], s[0:1], 0x8
	;; [unrolled: 1-line block ×3, first 2 shown]
	s_waitcnt lgkmcnt(0)
	s_bitcmp1_b32 s13, 0
	s_cselect_b64 s[4:5], -1, 0
	s_xor_b64 s[10:11], s[4:5], -1
	s_and_b64 vcc, exec, s[4:5]
	v_mov_b32_e32 v2, s8
	s_cbranch_vccnz .LBB187_2
; %bb.1:
	v_mov_b64_e32 v[2:3], s[8:9]
	flat_load_dword v2, v[2:3]
.LBB187_2:
	v_cndmask_b32_e64 v1, 0, 1, s[10:11]
	v_cmp_ne_u32_e64 s[4:5], 1, v1
	s_andn2_b64 vcc, exec, s[10:11]
	v_mov_b32_e32 v3, s9
	s_cbranch_vccz .LBB187_16
; %bb.3:
	s_and_b64 vcc, exec, s[4:5]
	v_mov_b32_e32 v4, s6
	s_cbranch_vccz .LBB187_17
.LBB187_4:
	s_and_b64 vcc, exec, s[4:5]
	v_mov_b32_e32 v5, s7
	s_cbranch_vccnz .LBB187_6
.LBB187_5:
	v_mov_b64_e32 v[6:7], s[6:7]
	flat_load_dword v5, v[6:7] offset:4
.LBB187_6:
	s_waitcnt vmcnt(0) lgkmcnt(0)
	v_and_b32_e32 v1, 0x7fffffff, v2
	v_cmp_eq_u32_e32 vcc, 0, v1
	v_cmp_eq_f32_e64 s[4:5], 0, v3
	s_and_b64 s[8:9], vcc, s[4:5]
	s_mov_b64 s[4:5], -1
	s_and_saveexec_b64 s[6:7], s[8:9]
; %bb.7:
	v_and_b32_e32 v1, 0x7fffffff, v5
	v_cmp_neq_f32_e32 vcc, 1.0, v4
	v_cmp_ne_u32_e64 s[4:5], 0, v1
	s_or_b64 s[4:5], vcc, s[4:5]
	s_orn2_b64 s[4:5], s[4:5], exec
; %bb.8:
	s_or_b64 exec, exec, s[6:7]
	s_and_saveexec_b64 s[6:7], s[4:5]
	s_cbranch_execz .LBB187_29
; %bb.9:
	s_load_dwordx2 s[14:15], s[0:1], 0x0
	v_lshrrev_b32_e32 v1, 2, v0
	v_lshl_or_b32 v6, s2, 5, v1
	s_waitcnt lgkmcnt(0)
	v_cmp_gt_i32_e32 vcc, s14, v6
	s_and_b64 exec, exec, vcc
	s_cbranch_execz .LBB187_29
; %bb.10:
	s_load_dwordx8 s[4:11], s[0:1], 0x10
	v_ashrrev_i32_e32 v7, 31, v6
	s_cmp_lg_u32 s15, 0
	s_waitcnt lgkmcnt(0)
	v_lshl_add_u64 v[8:9], v[6:7], 2, s[4:5]
	global_load_dwordx2 v[8:9], v[8:9], off
	v_and_b32_e32 v7, 3, v0
	s_waitcnt vmcnt(0)
	v_subrev_u32_e32 v0, s12, v8
	v_subrev_u32_e32 v18, s12, v9
	v_add_u32_e32 v0, v0, v7
	v_cmp_lt_i32_e64 s[2:3], v0, v18
	s_cbranch_scc0 .LBB187_18
; %bb.11:
	v_mov_b32_e32 v9, 0
	v_mov_b32_e32 v8, v9
	;; [unrolled: 1-line block ×4, first 2 shown]
	s_and_saveexec_b64 s[4:5], s[2:3]
	s_cbranch_execz .LBB187_15
; %bb.12:
	v_mad_u64_u32 v[12:13], s[14:15], v0, 18, 16
	v_mov_b32_e32 v15, 0
	s_mov_b64 s[14:15], 0
	v_mov_b32_e32 v16, v0
	v_mov_b32_e32 v10, v15
	;; [unrolled: 1-line block ×5, first 2 shown]
.LBB187_13:                             ; =>This Inner Loop Header: Depth=1
	v_ashrrev_i32_e32 v17, 31, v16
	v_add_u32_e32 v14, -16, v12
	v_lshl_add_u64 v[24:25], v[16:17], 2, s[6:7]
	v_lshl_add_u64 v[26:27], v[14:15], 3, s[8:9]
	global_load_dword v1, v[24:25], off
	global_load_dwordx4 v[20:23], v[26:27], off
	v_mov_b32_e32 v13, v15
	v_mov_b32_e32 v45, v15
	v_add_u32_e32 v14, -14, v12
	v_lshl_add_u64 v[32:33], v[12:13], 3, s[8:9]
	v_lshl_add_u64 v[34:35], v[14:15], 3, s[8:9]
	global_load_dwordx4 v[24:27], v[32:33], off
	global_load_dwordx4 v[28:31], v[34:35], off
	v_add_u32_e32 v16, 4, v16
	v_cmp_ge_i32_e32 vcc, v16, v18
	s_or_b64 s[14:15], vcc, s[14:15]
	s_waitcnt vmcnt(3)
	v_subrev_u32_e32 v1, s12, v1
	v_lshl_add_u32 v44, v1, 3, v1
	v_lshl_add_u64 v[32:33], v[44:45], 3, s[10:11]
	global_load_dwordx2 v[50:51], v[32:33], off
	v_add_u32_e32 v14, 1, v44
	v_lshl_add_u64 v[32:33], v[14:15], 3, s[10:11]
	global_load_dwordx2 v[52:53], v[32:33], off
	v_add_u32_e32 v14, -12, v12
	v_lshl_add_u64 v[32:33], v[14:15], 3, s[8:9]
	v_add_u32_e32 v14, 2, v44
	v_lshl_add_u64 v[36:37], v[14:15], 3, s[10:11]
	global_load_dwordx4 v[32:35], v[32:33], off
	v_add_u32_e32 v14, -10, v12
	global_load_dwordx2 v[54:55], v[36:37], off
	v_lshl_add_u64 v[36:37], v[14:15], 3, s[8:9]
	v_add_u32_e32 v14, 3, v44
	v_lshl_add_u64 v[40:41], v[14:15], 3, s[10:11]
	v_add_u32_e32 v14, -8, v12
	v_lshl_add_u64 v[58:59], v[14:15], 3, s[8:9]
	v_add_u32_e32 v14, 4, v44
	global_load_dwordx4 v[36:39], v[36:37], off
	v_lshl_add_u64 v[60:61], v[14:15], 3, s[10:11]
	global_load_dwordx2 v[56:57], v[40:41], off
	v_add_u32_e32 v14, -6, v12
	global_load_dwordx4 v[40:43], v[58:59], off
	global_load_dwordx2 v[62:63], v[60:61], off
	v_lshl_add_u64 v[58:59], v[14:15], 3, s[8:9]
	v_add_u32_e32 v14, 5, v44
	s_waitcnt vmcnt(10)
	v_xor_b32_e32 v46, 0x80000000, v23
	v_mov_b32_e32 v47, v22
	v_lshl_add_u64 v[60:61], v[14:15], 3, s[10:11]
	v_add_u32_e32 v14, -4, v12
	s_waitcnt vmcnt(8)
	v_xor_b32_e32 v48, 0x80000000, v31
	v_mov_b32_e32 v49, v30
	s_waitcnt vmcnt(7)
	v_pk_fma_f32 v[22:23], v[22:23], v[50:51], v[10:11] op_sel_hi:[1,0,1]
	v_pk_fma_f32 v[8:9], v[20:21], v[50:51], v[8:9] op_sel_hi:[1,0,1]
	v_pk_fma_f32 v[22:23], v[46:47], v[50:51], v[22:23] op_sel:[0,1,0]
	v_lshl_add_u64 v[46:47], v[14:15], 3, s[8:9]
	v_add_u32_e32 v14, 6, v44
	v_pk_fma_f32 v[20:21], v[20:21], v[50:51], v[8:9] op_sel:[1,1,0] op_sel_hi:[0,1,1] neg_lo:[1,0,0]
	global_load_dwordx4 v[8:11], v[58:59], off
	global_load_dwordx2 v[64:65], v[60:61], off
	v_lshl_add_u64 v[50:51], v[14:15], 3, s[10:11]
	v_add_u32_e32 v14, -2, v12
	s_waitcnt vmcnt(8)
	v_pk_fma_f32 v[20:21], v[28:29], v[52:53], v[20:21] op_sel_hi:[1,0,1]
	v_lshl_add_u64 v[60:61], v[14:15], 3, s[8:9]
	v_add_u32_e32 v14, 7, v44
	v_pk_fma_f32 v[30:31], v[30:31], v[52:53], v[22:23] op_sel_hi:[1,0,1]
	v_pk_fma_f32 v[58:59], v[28:29], v[52:53], v[20:21] op_sel:[1,1,0] op_sel_hi:[0,1,1] neg_lo:[1,0,0]
	v_lshl_add_u64 v[66:67], v[14:15], 3, s[10:11]
	v_add_u32_e32 v14, 8, v44
	global_load_dwordx4 v[20:23], v[46:47], off
	global_load_dwordx2 v[44:45], v[50:51], off
	v_pk_fma_f32 v[46:47], v[48:49], v[52:53], v[30:31] op_sel:[0,1,0]
	global_load_dwordx4 v[28:31], v[60:61], off
	global_load_dwordx2 v[48:49], v[66:67], off
	s_waitcnt vmcnt(11)
	v_xor_b32_e32 v50, 0x80000000, v35
	v_mov_b32_e32 v51, v34
	s_waitcnt vmcnt(10)
	v_pk_fma_f32 v[34:35], v[34:35], v[54:55], v[46:47] op_sel_hi:[1,0,1]
	v_lshl_add_u64 v[46:47], v[14:15], 3, s[10:11]
	global_load_dwordx2 v[46:47], v[46:47], off
	v_pk_fma_f32 v[52:53], v[32:33], v[54:55], v[58:59] op_sel_hi:[1,0,1]
	v_pk_fma_f32 v[34:35], v[50:51], v[54:55], v[34:35] op_sel:[0,1,0]
	v_pk_fma_f32 v[32:33], v[32:33], v[54:55], v[52:53] op_sel:[1,1,0] op_sel_hi:[0,1,1] neg_lo:[1,0,0]
	s_waitcnt vmcnt(10)
	v_xor_b32_e32 v50, 0x80000000, v39
	v_mov_b32_e32 v51, v38
	s_waitcnt vmcnt(9)
	v_pk_fma_f32 v[32:33], v[36:37], v[56:57], v[32:33] op_sel_hi:[1,0,1]
	v_pk_fma_f32 v[34:35], v[38:39], v[56:57], v[34:35] op_sel_hi:[1,0,1]
	v_pk_fma_f32 v[32:33], v[36:37], v[56:57], v[32:33] op_sel:[1,1,0] op_sel_hi:[0,1,1] neg_lo:[1,0,0]
	v_pk_fma_f32 v[34:35], v[50:51], v[56:57], v[34:35] op_sel:[0,1,0]
	s_waitcnt vmcnt(8)
	v_xor_b32_e32 v38, 0x80000000, v43
	v_mov_b32_e32 v39, v42
	s_waitcnt vmcnt(7)
	v_pk_fma_f32 v[32:33], v[40:41], v[62:63], v[32:33] op_sel_hi:[1,0,1]
	v_pk_fma_f32 v[34:35], v[42:43], v[62:63], v[34:35] op_sel_hi:[1,0,1]
	v_pk_fma_f32 v[32:33], v[40:41], v[62:63], v[32:33] op_sel:[1,1,0] op_sel_hi:[0,1,1] neg_lo:[1,0,0]
	v_pk_fma_f32 v[34:35], v[38:39], v[62:63], v[34:35] op_sel:[0,1,0]
	v_xor_b32_e32 v52, 0x80000000, v27
	v_mov_b32_e32 v53, v26
	v_add_u32_e32 v12, 0x48, v12
	s_waitcnt vmcnt(6)
	v_xor_b32_e32 v36, 0x80000000, v11
	v_mov_b32_e32 v37, v10
	s_waitcnt vmcnt(5)
	v_pk_fma_f32 v[32:33], v[8:9], v[64:65], v[32:33] op_sel_hi:[1,0,1]
	v_pk_fma_f32 v[10:11], v[10:11], v[64:65], v[34:35] op_sel_hi:[1,0,1]
	v_pk_fma_f32 v[8:9], v[8:9], v[64:65], v[32:33] op_sel:[1,1,0] op_sel_hi:[0,1,1] neg_lo:[1,0,0]
	v_pk_fma_f32 v[10:11], v[36:37], v[64:65], v[10:11] op_sel:[0,1,0]
	s_waitcnt vmcnt(4)
	v_xor_b32_e32 v34, 0x80000000, v23
	v_mov_b32_e32 v35, v22
	s_waitcnt vmcnt(3)
	v_pk_fma_f32 v[8:9], v[20:21], v[44:45], v[8:9] op_sel_hi:[1,0,1]
	v_pk_fma_f32 v[10:11], v[22:23], v[44:45], v[10:11] op_sel_hi:[1,0,1]
	v_pk_fma_f32 v[8:9], v[20:21], v[44:45], v[8:9] op_sel:[1,1,0] op_sel_hi:[0,1,1] neg_lo:[1,0,0]
	v_pk_fma_f32 v[10:11], v[34:35], v[44:45], v[10:11] op_sel:[0,1,0]
	;; [unrolled: 8-line block ×3, first 2 shown]
	s_waitcnt vmcnt(0)
	v_pk_fma_f32 v[8:9], v[24:25], v[46:47], v[8:9] op_sel_hi:[1,0,1]
	v_pk_fma_f32 v[10:11], v[26:27], v[46:47], v[10:11] op_sel_hi:[1,0,1]
	v_pk_fma_f32 v[8:9], v[24:25], v[46:47], v[8:9] op_sel:[1,1,0] op_sel_hi:[0,1,1] neg_lo:[1,0,0]
	v_pk_fma_f32 v[10:11], v[52:53], v[46:47], v[10:11] op_sel:[0,1,0]
	s_andn2_b64 exec, exec, s[14:15]
	s_cbranch_execnz .LBB187_13
; %bb.14:
	s_or_b64 exec, exec, s[14:15]
.LBB187_15:
	s_or_b64 exec, exec, s[4:5]
	s_cbranch_execz .LBB187_19
	s_branch .LBB187_24
.LBB187_16:
	v_mov_b64_e32 v[4:5], s[8:9]
	flat_load_dword v3, v[4:5] offset:4
	s_and_b64 vcc, exec, s[4:5]
	v_mov_b32_e32 v4, s6
	s_cbranch_vccnz .LBB187_4
.LBB187_17:
	v_mov_b64_e32 v[4:5], s[6:7]
	flat_load_dword v4, v[4:5]
	s_and_b64 vcc, exec, s[4:5]
	v_mov_b32_e32 v5, s7
	s_cbranch_vccz .LBB187_5
	s_branch .LBB187_6
.LBB187_18:
                                        ; implicit-def: $vgpr9
                                        ; implicit-def: $vgpr11
.LBB187_19:
	v_mov_b32_e32 v9, 0
	v_mov_b32_e32 v8, v9
	;; [unrolled: 1-line block ×4, first 2 shown]
	s_and_saveexec_b64 s[4:5], s[2:3]
	s_cbranch_execz .LBB187_23
; %bb.20:
	v_mad_u64_u32 v[12:13], s[2:3], v0, 18, 17
	v_mov_b32_e32 v15, 0
	s_mov_b64 s[2:3], 0
	v_mov_b32_e32 v10, v15
	v_mov_b32_e32 v11, v15
	;; [unrolled: 1-line block ×4, first 2 shown]
.LBB187_21:                             ; =>This Inner Loop Header: Depth=1
	v_ashrrev_i32_e32 v1, 31, v0
	v_subrev_u32_e32 v14, 17, v12
	v_add_u32_e32 v20, -8, v12
	v_mov_b32_e32 v21, v15
	v_mov_b32_e32 v13, v15
	v_lshl_add_u64 v[24:25], v[0:1], 2, s[6:7]
	v_lshl_add_u64 v[26:27], v[14:15], 3, s[8:9]
	;; [unrolled: 1-line block ×4, first 2 shown]
	global_load_dword v1, v[24:25], off
	global_load_dwordx4 v[20:23], v[26:27], off
	global_load_dwordx2 v[32:33], v[28:29], off
	global_load_dwordx2 v[34:35], v[30:31], off
	v_mov_b32_e32 v17, v15
	v_add_u32_e32 v0, 4, v0
	v_cmp_ge_i32_e32 vcc, v0, v18
	s_or_b64 s[2:3], vcc, s[2:3]
	s_waitcnt vmcnt(3)
	v_subrev_u32_e32 v1, s12, v1
	v_lshl_add_u32 v16, v1, 3, v1
	v_lshl_add_u64 v[26:27], v[16:17], 3, s[10:11]
	global_load_dwordx2 v[26:27], v[26:27], off
	v_add_u32_e32 v14, 1, v16
	v_lshl_add_u64 v[28:29], v[14:15], 3, s[10:11]
	global_load_dwordx2 v[28:29], v[28:29], off
	v_add_u32_e32 v14, -7, v12
	v_lshl_add_u64 v[30:31], v[14:15], 3, s[8:9]
	v_add_u32_e32 v14, -15, v12
	v_lshl_add_u64 v[36:37], v[14:15], 3, s[8:9]
	v_add_u32_e32 v14, 2, v16
	v_lshl_add_u64 v[38:39], v[14:15], 3, s[10:11]
	v_add_u32_e32 v14, -6, v12
	global_load_dwordx2 v[40:41], v[36:37], off
	global_load_dwordx2 v[42:43], v[30:31], off
	;; [unrolled: 1-line block ×3, first 2 shown]
	v_lshl_add_u64 v[30:31], v[14:15], 3, s[8:9]
	v_add_u32_e32 v14, -14, v12
	v_lshl_add_u64 v[36:37], v[14:15], 3, s[8:9]
	v_add_u32_e32 v14, 3, v16
	v_lshl_add_u64 v[38:39], v[14:15], 3, s[10:11]
	v_add_u32_e32 v14, -5, v12
	global_load_dwordx2 v[46:47], v[36:37], off
	global_load_dwordx2 v[48:49], v[30:31], off
	;; [unrolled: 1-line block ×3, first 2 shown]
	v_lshl_add_u64 v[30:31], v[14:15], 3, s[8:9]
	v_add_u32_e32 v14, -13, v12
	v_lshl_add_u64 v[36:37], v[14:15], 3, s[8:9]
	v_add_u32_e32 v14, 4, v16
	v_lshl_add_u64 v[38:39], v[14:15], 3, s[10:11]
	v_add_u32_e32 v14, -4, v12
	global_load_dwordx2 v[30:31], v[30:31], off
	s_nop 0
	global_load_dwordx2 v[52:53], v[36:37], off
	global_load_dwordx2 v[54:55], v[38:39], off
	v_lshl_add_u64 v[36:37], v[14:15], 3, s[8:9]
	v_add_u32_e32 v14, -12, v12
	v_lshl_add_u64 v[38:39], v[14:15], 3, s[8:9]
	v_add_u32_e32 v14, 5, v16
	v_lshl_add_u64 v[56:57], v[14:15], 3, s[10:11]
	v_add_u32_e32 v14, -3, v12
	global_load_dwordx2 v[58:59], v[38:39], off
	global_load_dwordx2 v[60:61], v[36:37], off
	;; [unrolled: 1-line block ×3, first 2 shown]
	v_lshl_add_u64 v[36:37], v[14:15], 3, s[8:9]
	v_add_u32_e32 v14, -11, v12
	v_lshl_add_u64 v[38:39], v[14:15], 3, s[8:9]
	v_add_u32_e32 v14, 6, v16
	v_lshl_add_u64 v[56:57], v[14:15], 3, s[10:11]
	v_add_u32_e32 v14, -2, v12
	global_load_dwordx2 v[64:65], v[38:39], off
	global_load_dwordx2 v[66:67], v[36:37], off
	;; [unrolled: 1-line block ×3, first 2 shown]
	v_lshl_add_u64 v[36:37], v[14:15], 3, s[8:9]
	v_add_u32_e32 v14, -10, v12
	s_waitcnt vmcnt(19)
	v_xor_b32_e32 v24, 0x80000000, v23
	v_mov_b32_e32 v25, v22
	s_waitcnt vmcnt(16)
	v_pk_fma_f32 v[10:11], v[32:33], v[26:27], v[10:11] op_sel_hi:[1,0,1]
	s_nop 0
	v_pk_fma_f32 v[10:11], v[32:33], v[26:27], v[10:11] op_sel:[1,1,0] op_sel_hi:[0,1,1] neg_lo:[1,0,0]
	v_lshl_add_u64 v[32:33], v[14:15], 3, s[8:9]
	v_add_u32_e32 v14, 7, v16
	v_pk_fma_f32 v[8:9], v[20:21], v[26:27], v[8:9] op_sel_hi:[1,0,1]
	s_waitcnt vmcnt(13)
	v_pk_fma_f32 v[10:11], v[42:43], v[28:29], v[10:11] op_sel_hi:[1,0,1]
	v_pk_fma_f32 v[8:9], v[20:21], v[26:27], v[8:9] op_sel:[1,1,0] op_sel_hi:[0,1,1] neg_lo:[1,0,0]
	v_lshl_add_u64 v[20:21], v[14:15], 3, s[10:11]
	v_add_u32_e32 v14, -1, v12
	global_load_dwordx2 v[26:27], v[32:33], off
	global_load_dwordx2 v[38:39], v[36:37], off
	;; [unrolled: 1-line block ×3, first 2 shown]
	v_lshl_add_u64 v[20:21], v[14:15], 3, s[8:9]
	v_add_u32_e32 v14, -9, v12
	v_pk_fma_f32 v[8:9], v[22:23], v[28:29], v[8:9] op_sel_hi:[1,0,1]
	v_lshl_add_u64 v[22:23], v[14:15], 3, s[8:9]
	v_add_u32_e32 v14, 8, v16
	v_lshl_add_u64 v[16:17], v[14:15], 3, s[10:11]
	global_load_dwordx2 v[32:33], v[22:23], off
	global_load_dwordx2 v[36:37], v[20:21], off
	;; [unrolled: 1-line block ×3, first 2 shown]
	v_pk_fma_f32 v[8:9], v[24:25], v[28:29], v[8:9] op_sel:[0,1,0]
	v_pk_fma_f32 v[10:11], v[42:43], v[28:29], v[10:11] op_sel:[1,1,0] op_sel_hi:[0,1,1] neg_lo:[1,0,0]
	s_waitcnt vmcnt(18)
	v_pk_fma_f32 v[8:9], v[40:41], v[44:45], v[8:9] op_sel_hi:[1,0,1]
	s_waitcnt vmcnt(16)
	v_pk_fma_f32 v[10:11], v[48:49], v[44:45], v[10:11] op_sel_hi:[1,0,1]
	v_pk_fma_f32 v[8:9], v[40:41], v[44:45], v[8:9] op_sel:[1,1,0] op_sel_hi:[0,1,1] neg_lo:[1,0,0]
	v_pk_fma_f32 v[10:11], v[48:49], v[44:45], v[10:11] op_sel:[1,1,0] op_sel_hi:[0,1,1] neg_lo:[1,0,0]
	s_waitcnt vmcnt(15)
	v_pk_fma_f32 v[8:9], v[46:47], v[50:51], v[8:9] op_sel_hi:[1,0,1]
	s_waitcnt vmcnt(14)
	v_pk_fma_f32 v[10:11], v[30:31], v[50:51], v[10:11] op_sel_hi:[1,0,1]
	v_pk_fma_f32 v[8:9], v[46:47], v[50:51], v[8:9] op_sel:[1,1,0] op_sel_hi:[0,1,1] neg_lo:[1,0,0]
	;; [unrolled: 6-line block ×3, first 2 shown]
	v_pk_fma_f32 v[10:11], v[60:61], v[54:55], v[10:11] op_sel:[1,1,0] op_sel_hi:[0,1,1] neg_lo:[1,0,0]
	s_waitcnt vmcnt(9)
	v_pk_fma_f32 v[8:9], v[58:59], v[62:63], v[8:9] op_sel_hi:[1,0,1]
	v_add_u32_e32 v12, 0x48, v12
	v_pk_fma_f32 v[8:9], v[58:59], v[62:63], v[8:9] op_sel:[1,1,0] op_sel_hi:[0,1,1] neg_lo:[1,0,0]
	s_waitcnt vmcnt(7)
	v_pk_fma_f32 v[10:11], v[66:67], v[62:63], v[10:11] op_sel_hi:[1,0,1]
	s_waitcnt vmcnt(6)
	v_pk_fma_f32 v[8:9], v[64:65], v[68:69], v[8:9] op_sel_hi:[1,0,1]
	v_pk_fma_f32 v[10:11], v[66:67], v[62:63], v[10:11] op_sel:[1,1,0] op_sel_hi:[0,1,1] neg_lo:[1,0,0]
	v_pk_fma_f32 v[8:9], v[64:65], v[68:69], v[8:9] op_sel:[1,1,0] op_sel_hi:[0,1,1] neg_lo:[1,0,0]
	s_waitcnt vmcnt(4)
	v_pk_fma_f32 v[10:11], v[38:39], v[68:69], v[10:11] op_sel_hi:[1,0,1]
	s_nop 0
	v_pk_fma_f32 v[10:11], v[38:39], v[68:69], v[10:11] op_sel:[1,1,0] op_sel_hi:[0,1,1] neg_lo:[1,0,0]
	s_waitcnt vmcnt(3)
	v_pk_fma_f32 v[8:9], v[26:27], v[56:57], v[8:9] op_sel_hi:[1,0,1]
	s_waitcnt vmcnt(1)
	v_pk_fma_f32 v[10:11], v[36:37], v[56:57], v[10:11] op_sel_hi:[1,0,1]
	v_pk_fma_f32 v[8:9], v[26:27], v[56:57], v[8:9] op_sel:[1,1,0] op_sel_hi:[0,1,1] neg_lo:[1,0,0]
	v_pk_fma_f32 v[10:11], v[36:37], v[56:57], v[10:11] op_sel:[1,1,0] op_sel_hi:[0,1,1] neg_lo:[1,0,0]
	s_waitcnt vmcnt(0)
	v_pk_fma_f32 v[8:9], v[32:33], v[70:71], v[8:9] op_sel_hi:[1,0,1]
	v_pk_fma_f32 v[10:11], v[34:35], v[70:71], v[10:11] op_sel_hi:[1,0,1]
	v_pk_fma_f32 v[8:9], v[32:33], v[70:71], v[8:9] op_sel:[1,1,0] op_sel_hi:[0,1,1] neg_lo:[1,0,0]
	v_pk_fma_f32 v[10:11], v[34:35], v[70:71], v[10:11] op_sel:[1,1,0] op_sel_hi:[0,1,1] neg_lo:[1,0,0]
	s_andn2_b64 exec, exec, s[2:3]
	s_cbranch_execnz .LBB187_21
; %bb.22:
	s_or_b64 exec, exec, s[2:3]
.LBB187_23:
	s_or_b64 exec, exec, s[4:5]
.LBB187_24:
	v_mov_b32_dpp v0, v8 row_shr:1 row_mask:0xf bank_mask:0xf
	v_add_f32_e32 v0, v8, v0
	v_mov_b32_dpp v8, v9 row_shr:1 row_mask:0xf bank_mask:0xf
	v_add_f32_e32 v9, v9, v8
	v_mov_b32_dpp v1, v0 row_shr:2 row_mask:0xf bank_mask:0xf
	v_mov_b32_dpp v8, v10 row_shr:1 row_mask:0xf bank_mask:0xf
	v_add_f32_e32 v10, v10, v8
	v_mov_b32_dpp v12, v9 row_shr:2 row_mask:0xf bank_mask:0xf
	;; [unrolled: 3-line block ×3, first 2 shown]
	v_cmp_eq_u32_e32 vcc, 3, v7
	v_mov_b32_dpp v14, v11 row_shr:2 row_mask:0xf bank_mask:0xf
	s_and_b64 exec, exec, vcc
	s_cbranch_execz .LBB187_29
; %bb.25:
	s_load_dwordx2 s[2:3], s[0:1], 0x38
	v_add_f32_e32 v8, v0, v1
	v_and_b32_e32 v1, 0x7fffffff, v4
	v_cmp_eq_u32_e32 vcc, 0, v1
	v_cmp_eq_f32_e64 s[0:1], 0, v5
	v_add_f32_e32 v12, v9, v12
	v_add_f32_e32 v0, v10, v13
	;; [unrolled: 1-line block ×3, first 2 shown]
	s_and_b64 s[0:1], vcc, s[0:1]
	s_and_saveexec_b64 s[4:5], s[0:1]
	s_xor_b64 s[0:1], exec, s[4:5]
	s_cbranch_execz .LBB187_27
; %bb.26:
	v_lshlrev_b32_e32 v4, 1, v6
	v_xor_b32_e32 v14, 0x80000000, v3
	v_ashrrev_i32_e32 v5, 31, v4
	v_mov_b32_e32 v15, v2
	s_waitcnt lgkmcnt(0)
	v_lshl_add_u64 v[16:17], v[4:5], 3, s[2:3]
	v_pk_mul_f32 v[4:5], v[12:13], v[14:15] op_sel_hi:[0,1]
	v_pk_mul_f32 v[6:7], v[10:11], v[14:15] op_sel_hi:[0,1]
	v_pk_fma_f32 v[4:5], v[2:3], v[8:9], v[4:5] op_sel_hi:[1,0,1]
	v_pk_fma_f32 v[6:7], v[2:3], v[0:1], v[6:7] op_sel_hi:[1,0,1]
	global_store_dwordx4 v[16:17], v[4:7], off
                                        ; implicit-def: $vgpr3
                                        ; implicit-def: $vgpr4
                                        ; implicit-def: $vgpr6
                                        ; implicit-def: $vgpr8
                                        ; implicit-def: $vgpr12
                                        ; implicit-def: $vgpr0
                                        ; implicit-def: $vgpr10
.LBB187_27:
	s_andn2_saveexec_b64 s[0:1], s[0:1]
	s_cbranch_execz .LBB187_29
; %bb.28:
	v_lshlrev_b32_e32 v6, 1, v6
	v_ashrrev_i32_e32 v7, 31, v6
	s_waitcnt lgkmcnt(0)
	v_lshl_add_u64 v[6:7], v[6:7], 3, s[2:3]
	global_load_dwordx4 v[14:17], v[6:7], off
	v_xor_b32_e32 v18, 0x80000000, v3
	v_mov_b32_e32 v19, v2
	v_pk_mul_f32 v[12:13], v[12:13], v[18:19] op_sel_hi:[0,1]
	v_pk_mul_f32 v[10:11], v[10:11], v[18:19] op_sel_hi:[0,1]
	v_pk_fma_f32 v[8:9], v[2:3], v[8:9], v[12:13] op_sel_hi:[1,0,1]
	v_pk_fma_f32 v[0:1], v[2:3], v[0:1], v[10:11] op_sel_hi:[1,0,1]
	v_xor_b32_e32 v20, 0x80000000, v5
	v_mov_b32_e32 v21, v4
	s_waitcnt vmcnt(0)
	v_pk_fma_f32 v[2:3], v[4:5], v[14:15], v[8:9] op_sel_hi:[1,0,1]
	v_pk_fma_f32 v[4:5], v[4:5], v[16:17], v[0:1] op_sel_hi:[1,0,1]
	v_mov_b32_e32 v8, v17
	v_pk_fma_f32 v[0:1], v[20:21], v[14:15], v[2:3] op_sel:[0,1,0]
	v_pk_fma_f32 v[2:3], v[20:21], v[8:9], v[4:5] op_sel_hi:[1,0,1]
	global_store_dwordx4 v[6:7], v[0:3], off
.LBB187_29:
	s_endpgm
	.section	.rodata,"a",@progbits
	.p2align	6, 0x0
	.amdhsa_kernel _ZN9rocsparseL19gebsrmvn_2xn_kernelILj128ELj9ELj4E21rocsparse_complex_numIfEEEvi20rocsparse_direction_NS_24const_host_device_scalarIT2_EEPKiS8_PKS5_SA_S6_PS5_21rocsparse_index_base_b
		.amdhsa_group_segment_fixed_size 0
		.amdhsa_private_segment_fixed_size 0
		.amdhsa_kernarg_size 72
		.amdhsa_user_sgpr_count 2
		.amdhsa_user_sgpr_dispatch_ptr 0
		.amdhsa_user_sgpr_queue_ptr 0
		.amdhsa_user_sgpr_kernarg_segment_ptr 1
		.amdhsa_user_sgpr_dispatch_id 0
		.amdhsa_user_sgpr_kernarg_preload_length 0
		.amdhsa_user_sgpr_kernarg_preload_offset 0
		.amdhsa_user_sgpr_private_segment_size 0
		.amdhsa_uses_dynamic_stack 0
		.amdhsa_enable_private_segment 0
		.amdhsa_system_sgpr_workgroup_id_x 1
		.amdhsa_system_sgpr_workgroup_id_y 0
		.amdhsa_system_sgpr_workgroup_id_z 0
		.amdhsa_system_sgpr_workgroup_info 0
		.amdhsa_system_vgpr_workitem_id 0
		.amdhsa_next_free_vgpr 72
		.amdhsa_next_free_sgpr 16
		.amdhsa_accum_offset 72
		.amdhsa_reserve_vcc 1
		.amdhsa_float_round_mode_32 0
		.amdhsa_float_round_mode_16_64 0
		.amdhsa_float_denorm_mode_32 3
		.amdhsa_float_denorm_mode_16_64 3
		.amdhsa_dx10_clamp 1
		.amdhsa_ieee_mode 1
		.amdhsa_fp16_overflow 0
		.amdhsa_tg_split 0
		.amdhsa_exception_fp_ieee_invalid_op 0
		.amdhsa_exception_fp_denorm_src 0
		.amdhsa_exception_fp_ieee_div_zero 0
		.amdhsa_exception_fp_ieee_overflow 0
		.amdhsa_exception_fp_ieee_underflow 0
		.amdhsa_exception_fp_ieee_inexact 0
		.amdhsa_exception_int_div_zero 0
	.end_amdhsa_kernel
	.section	.text._ZN9rocsparseL19gebsrmvn_2xn_kernelILj128ELj9ELj4E21rocsparse_complex_numIfEEEvi20rocsparse_direction_NS_24const_host_device_scalarIT2_EEPKiS8_PKS5_SA_S6_PS5_21rocsparse_index_base_b,"axG",@progbits,_ZN9rocsparseL19gebsrmvn_2xn_kernelILj128ELj9ELj4E21rocsparse_complex_numIfEEEvi20rocsparse_direction_NS_24const_host_device_scalarIT2_EEPKiS8_PKS5_SA_S6_PS5_21rocsparse_index_base_b,comdat
.Lfunc_end187:
	.size	_ZN9rocsparseL19gebsrmvn_2xn_kernelILj128ELj9ELj4E21rocsparse_complex_numIfEEEvi20rocsparse_direction_NS_24const_host_device_scalarIT2_EEPKiS8_PKS5_SA_S6_PS5_21rocsparse_index_base_b, .Lfunc_end187-_ZN9rocsparseL19gebsrmvn_2xn_kernelILj128ELj9ELj4E21rocsparse_complex_numIfEEEvi20rocsparse_direction_NS_24const_host_device_scalarIT2_EEPKiS8_PKS5_SA_S6_PS5_21rocsparse_index_base_b
                                        ; -- End function
	.section	.AMDGPU.csdata,"",@progbits
; Kernel info:
; codeLenInByte = 2720
; NumSgprs: 22
; NumVgprs: 72
; NumAgprs: 0
; TotalNumVgprs: 72
; ScratchSize: 0
; MemoryBound: 0
; FloatMode: 240
; IeeeMode: 1
; LDSByteSize: 0 bytes/workgroup (compile time only)
; SGPRBlocks: 2
; VGPRBlocks: 8
; NumSGPRsForWavesPerEU: 22
; NumVGPRsForWavesPerEU: 72
; AccumOffset: 72
; Occupancy: 7
; WaveLimiterHint : 1
; COMPUTE_PGM_RSRC2:SCRATCH_EN: 0
; COMPUTE_PGM_RSRC2:USER_SGPR: 2
; COMPUTE_PGM_RSRC2:TRAP_HANDLER: 0
; COMPUTE_PGM_RSRC2:TGID_X_EN: 1
; COMPUTE_PGM_RSRC2:TGID_Y_EN: 0
; COMPUTE_PGM_RSRC2:TGID_Z_EN: 0
; COMPUTE_PGM_RSRC2:TIDIG_COMP_CNT: 0
; COMPUTE_PGM_RSRC3_GFX90A:ACCUM_OFFSET: 17
; COMPUTE_PGM_RSRC3_GFX90A:TG_SPLIT: 0
	.section	.text._ZN9rocsparseL19gebsrmvn_2xn_kernelILj128ELj9ELj8E21rocsparse_complex_numIfEEEvi20rocsparse_direction_NS_24const_host_device_scalarIT2_EEPKiS8_PKS5_SA_S6_PS5_21rocsparse_index_base_b,"axG",@progbits,_ZN9rocsparseL19gebsrmvn_2xn_kernelILj128ELj9ELj8E21rocsparse_complex_numIfEEEvi20rocsparse_direction_NS_24const_host_device_scalarIT2_EEPKiS8_PKS5_SA_S6_PS5_21rocsparse_index_base_b,comdat
	.globl	_ZN9rocsparseL19gebsrmvn_2xn_kernelILj128ELj9ELj8E21rocsparse_complex_numIfEEEvi20rocsparse_direction_NS_24const_host_device_scalarIT2_EEPKiS8_PKS5_SA_S6_PS5_21rocsparse_index_base_b ; -- Begin function _ZN9rocsparseL19gebsrmvn_2xn_kernelILj128ELj9ELj8E21rocsparse_complex_numIfEEEvi20rocsparse_direction_NS_24const_host_device_scalarIT2_EEPKiS8_PKS5_SA_S6_PS5_21rocsparse_index_base_b
	.p2align	8
	.type	_ZN9rocsparseL19gebsrmvn_2xn_kernelILj128ELj9ELj8E21rocsparse_complex_numIfEEEvi20rocsparse_direction_NS_24const_host_device_scalarIT2_EEPKiS8_PKS5_SA_S6_PS5_21rocsparse_index_base_b,@function
_ZN9rocsparseL19gebsrmvn_2xn_kernelILj128ELj9ELj8E21rocsparse_complex_numIfEEEvi20rocsparse_direction_NS_24const_host_device_scalarIT2_EEPKiS8_PKS5_SA_S6_PS5_21rocsparse_index_base_b: ; @_ZN9rocsparseL19gebsrmvn_2xn_kernelILj128ELj9ELj8E21rocsparse_complex_numIfEEEvi20rocsparse_direction_NS_24const_host_device_scalarIT2_EEPKiS8_PKS5_SA_S6_PS5_21rocsparse_index_base_b
; %bb.0:
	s_load_dwordx2 s[12:13], s[0:1], 0x40
	s_load_dwordx2 s[8:9], s[0:1], 0x8
	;; [unrolled: 1-line block ×3, first 2 shown]
	s_waitcnt lgkmcnt(0)
	s_bitcmp1_b32 s13, 0
	s_cselect_b64 s[4:5], -1, 0
	s_xor_b64 s[10:11], s[4:5], -1
	s_and_b64 vcc, exec, s[4:5]
	v_mov_b32_e32 v2, s8
	s_cbranch_vccnz .LBB188_2
; %bb.1:
	v_mov_b64_e32 v[2:3], s[8:9]
	flat_load_dword v2, v[2:3]
.LBB188_2:
	v_cndmask_b32_e64 v1, 0, 1, s[10:11]
	v_cmp_ne_u32_e64 s[4:5], 1, v1
	s_andn2_b64 vcc, exec, s[10:11]
	v_mov_b32_e32 v3, s9
	s_cbranch_vccz .LBB188_16
; %bb.3:
	s_and_b64 vcc, exec, s[4:5]
	v_mov_b32_e32 v4, s6
	s_cbranch_vccz .LBB188_17
.LBB188_4:
	s_and_b64 vcc, exec, s[4:5]
	v_mov_b32_e32 v5, s7
	s_cbranch_vccnz .LBB188_6
.LBB188_5:
	v_mov_b64_e32 v[6:7], s[6:7]
	flat_load_dword v5, v[6:7] offset:4
.LBB188_6:
	s_waitcnt vmcnt(0) lgkmcnt(0)
	v_and_b32_e32 v1, 0x7fffffff, v2
	v_cmp_eq_u32_e32 vcc, 0, v1
	v_cmp_eq_f32_e64 s[4:5], 0, v3
	s_and_b64 s[8:9], vcc, s[4:5]
	s_mov_b64 s[4:5], -1
	s_and_saveexec_b64 s[6:7], s[8:9]
; %bb.7:
	v_and_b32_e32 v1, 0x7fffffff, v5
	v_cmp_neq_f32_e32 vcc, 1.0, v4
	v_cmp_ne_u32_e64 s[4:5], 0, v1
	s_or_b64 s[4:5], vcc, s[4:5]
	s_orn2_b64 s[4:5], s[4:5], exec
; %bb.8:
	s_or_b64 exec, exec, s[6:7]
	s_and_saveexec_b64 s[6:7], s[4:5]
	s_cbranch_execz .LBB188_29
; %bb.9:
	s_load_dwordx2 s[14:15], s[0:1], 0x0
	v_lshrrev_b32_e32 v1, 3, v0
	v_lshl_or_b32 v6, s2, 4, v1
	s_waitcnt lgkmcnt(0)
	v_cmp_gt_i32_e32 vcc, s14, v6
	s_and_b64 exec, exec, vcc
	s_cbranch_execz .LBB188_29
; %bb.10:
	s_load_dwordx8 s[4:11], s[0:1], 0x10
	v_ashrrev_i32_e32 v7, 31, v6
	s_cmp_lg_u32 s15, 0
	s_waitcnt lgkmcnt(0)
	v_lshl_add_u64 v[8:9], v[6:7], 2, s[4:5]
	global_load_dwordx2 v[8:9], v[8:9], off
	v_and_b32_e32 v7, 7, v0
	s_waitcnt vmcnt(0)
	v_subrev_u32_e32 v0, s12, v8
	v_subrev_u32_e32 v18, s12, v9
	v_add_u32_e32 v0, v0, v7
	v_cmp_lt_i32_e64 s[2:3], v0, v18
	s_cbranch_scc0 .LBB188_18
; %bb.11:
	v_mov_b32_e32 v11, 0
	v_mov_b32_e32 v10, v11
	;; [unrolled: 1-line block ×4, first 2 shown]
	s_and_saveexec_b64 s[4:5], s[2:3]
	s_cbranch_execz .LBB188_15
; %bb.12:
	v_mad_u64_u32 v[12:13], s[14:15], v0, 18, 16
	v_mov_b32_e32 v15, 0
	s_mov_b64 s[14:15], 0
	v_mov_b32_e32 v16, v0
	v_mov_b32_e32 v8, v15
	;; [unrolled: 1-line block ×5, first 2 shown]
.LBB188_13:                             ; =>This Inner Loop Header: Depth=1
	v_ashrrev_i32_e32 v17, 31, v16
	v_add_u32_e32 v14, -16, v12
	v_lshl_add_u64 v[24:25], v[16:17], 2, s[6:7]
	v_lshl_add_u64 v[26:27], v[14:15], 3, s[8:9]
	global_load_dword v1, v[24:25], off
	global_load_dwordx4 v[20:23], v[26:27], off
	v_mov_b32_e32 v13, v15
	v_mov_b32_e32 v45, v15
	v_add_u32_e32 v14, -14, v12
	v_lshl_add_u64 v[32:33], v[12:13], 3, s[8:9]
	v_lshl_add_u64 v[34:35], v[14:15], 3, s[8:9]
	global_load_dwordx4 v[24:27], v[32:33], off
	global_load_dwordx4 v[28:31], v[34:35], off
	v_add_u32_e32 v16, 8, v16
	v_cmp_ge_i32_e32 vcc, v16, v18
	s_or_b64 s[14:15], vcc, s[14:15]
	s_waitcnt vmcnt(3)
	v_subrev_u32_e32 v1, s12, v1
	v_lshl_add_u32 v44, v1, 3, v1
	v_lshl_add_u64 v[32:33], v[44:45], 3, s[10:11]
	global_load_dwordx2 v[50:51], v[32:33], off
	v_add_u32_e32 v14, 1, v44
	v_lshl_add_u64 v[32:33], v[14:15], 3, s[10:11]
	global_load_dwordx2 v[52:53], v[32:33], off
	v_add_u32_e32 v14, -12, v12
	v_lshl_add_u64 v[32:33], v[14:15], 3, s[8:9]
	v_add_u32_e32 v14, 2, v44
	v_lshl_add_u64 v[36:37], v[14:15], 3, s[10:11]
	global_load_dwordx4 v[32:35], v[32:33], off
	v_add_u32_e32 v14, -10, v12
	global_load_dwordx2 v[54:55], v[36:37], off
	v_lshl_add_u64 v[36:37], v[14:15], 3, s[8:9]
	v_add_u32_e32 v14, 3, v44
	v_lshl_add_u64 v[40:41], v[14:15], 3, s[10:11]
	v_add_u32_e32 v14, -8, v12
	v_lshl_add_u64 v[58:59], v[14:15], 3, s[8:9]
	v_add_u32_e32 v14, 4, v44
	global_load_dwordx4 v[36:39], v[36:37], off
	v_lshl_add_u64 v[60:61], v[14:15], 3, s[10:11]
	global_load_dwordx2 v[56:57], v[40:41], off
	v_add_u32_e32 v14, -6, v12
	global_load_dwordx4 v[40:43], v[58:59], off
	global_load_dwordx2 v[62:63], v[60:61], off
	v_lshl_add_u64 v[58:59], v[14:15], 3, s[8:9]
	v_add_u32_e32 v14, 5, v44
	s_waitcnt vmcnt(10)
	v_xor_b32_e32 v46, 0x80000000, v23
	v_mov_b32_e32 v47, v22
	v_lshl_add_u64 v[60:61], v[14:15], 3, s[10:11]
	v_add_u32_e32 v14, -4, v12
	s_waitcnt vmcnt(8)
	v_xor_b32_e32 v48, 0x80000000, v31
	v_mov_b32_e32 v49, v30
	s_waitcnt vmcnt(7)
	v_pk_fma_f32 v[22:23], v[22:23], v[50:51], v[8:9] op_sel_hi:[1,0,1]
	v_pk_fma_f32 v[10:11], v[20:21], v[50:51], v[10:11] op_sel_hi:[1,0,1]
	v_pk_fma_f32 v[22:23], v[46:47], v[50:51], v[22:23] op_sel:[0,1,0]
	v_lshl_add_u64 v[46:47], v[14:15], 3, s[8:9]
	v_add_u32_e32 v14, 6, v44
	v_pk_fma_f32 v[20:21], v[20:21], v[50:51], v[10:11] op_sel:[1,1,0] op_sel_hi:[0,1,1] neg_lo:[1,0,0]
	global_load_dwordx4 v[8:11], v[58:59], off
	global_load_dwordx2 v[64:65], v[60:61], off
	v_lshl_add_u64 v[50:51], v[14:15], 3, s[10:11]
	v_add_u32_e32 v14, -2, v12
	s_waitcnt vmcnt(8)
	v_pk_fma_f32 v[20:21], v[28:29], v[52:53], v[20:21] op_sel_hi:[1,0,1]
	v_lshl_add_u64 v[60:61], v[14:15], 3, s[8:9]
	v_add_u32_e32 v14, 7, v44
	v_pk_fma_f32 v[30:31], v[30:31], v[52:53], v[22:23] op_sel_hi:[1,0,1]
	v_pk_fma_f32 v[58:59], v[28:29], v[52:53], v[20:21] op_sel:[1,1,0] op_sel_hi:[0,1,1] neg_lo:[1,0,0]
	v_lshl_add_u64 v[66:67], v[14:15], 3, s[10:11]
	v_add_u32_e32 v14, 8, v44
	global_load_dwordx4 v[20:23], v[46:47], off
	global_load_dwordx2 v[44:45], v[50:51], off
	v_pk_fma_f32 v[46:47], v[48:49], v[52:53], v[30:31] op_sel:[0,1,0]
	global_load_dwordx4 v[28:31], v[60:61], off
	global_load_dwordx2 v[48:49], v[66:67], off
	s_waitcnt vmcnt(11)
	v_xor_b32_e32 v50, 0x80000000, v35
	v_mov_b32_e32 v51, v34
	s_waitcnt vmcnt(10)
	v_pk_fma_f32 v[34:35], v[34:35], v[54:55], v[46:47] op_sel_hi:[1,0,1]
	v_lshl_add_u64 v[46:47], v[14:15], 3, s[10:11]
	global_load_dwordx2 v[46:47], v[46:47], off
	v_pk_fma_f32 v[52:53], v[32:33], v[54:55], v[58:59] op_sel_hi:[1,0,1]
	v_pk_fma_f32 v[34:35], v[50:51], v[54:55], v[34:35] op_sel:[0,1,0]
	v_pk_fma_f32 v[32:33], v[32:33], v[54:55], v[52:53] op_sel:[1,1,0] op_sel_hi:[0,1,1] neg_lo:[1,0,0]
	s_waitcnt vmcnt(10)
	v_xor_b32_e32 v50, 0x80000000, v39
	v_mov_b32_e32 v51, v38
	s_waitcnt vmcnt(9)
	v_pk_fma_f32 v[32:33], v[36:37], v[56:57], v[32:33] op_sel_hi:[1,0,1]
	v_pk_fma_f32 v[34:35], v[38:39], v[56:57], v[34:35] op_sel_hi:[1,0,1]
	v_pk_fma_f32 v[32:33], v[36:37], v[56:57], v[32:33] op_sel:[1,1,0] op_sel_hi:[0,1,1] neg_lo:[1,0,0]
	v_pk_fma_f32 v[34:35], v[50:51], v[56:57], v[34:35] op_sel:[0,1,0]
	s_waitcnt vmcnt(8)
	v_xor_b32_e32 v38, 0x80000000, v43
	v_mov_b32_e32 v39, v42
	s_waitcnt vmcnt(7)
	v_pk_fma_f32 v[32:33], v[40:41], v[62:63], v[32:33] op_sel_hi:[1,0,1]
	v_pk_fma_f32 v[34:35], v[42:43], v[62:63], v[34:35] op_sel_hi:[1,0,1]
	v_pk_fma_f32 v[32:33], v[40:41], v[62:63], v[32:33] op_sel:[1,1,0] op_sel_hi:[0,1,1] neg_lo:[1,0,0]
	v_pk_fma_f32 v[34:35], v[38:39], v[62:63], v[34:35] op_sel:[0,1,0]
	v_xor_b32_e32 v52, 0x80000000, v27
	v_mov_b32_e32 v53, v26
	v_add_u32_e32 v12, 0x90, v12
	s_waitcnt vmcnt(6)
	v_xor_b32_e32 v36, 0x80000000, v11
	v_mov_b32_e32 v37, v10
	s_waitcnt vmcnt(5)
	v_pk_fma_f32 v[32:33], v[8:9], v[64:65], v[32:33] op_sel_hi:[1,0,1]
	v_pk_fma_f32 v[10:11], v[10:11], v[64:65], v[34:35] op_sel_hi:[1,0,1]
	v_pk_fma_f32 v[8:9], v[8:9], v[64:65], v[32:33] op_sel:[1,1,0] op_sel_hi:[0,1,1] neg_lo:[1,0,0]
	v_pk_fma_f32 v[10:11], v[36:37], v[64:65], v[10:11] op_sel:[0,1,0]
	s_waitcnt vmcnt(4)
	v_xor_b32_e32 v34, 0x80000000, v23
	v_mov_b32_e32 v35, v22
	s_waitcnt vmcnt(3)
	v_pk_fma_f32 v[8:9], v[20:21], v[44:45], v[8:9] op_sel_hi:[1,0,1]
	v_pk_fma_f32 v[10:11], v[22:23], v[44:45], v[10:11] op_sel_hi:[1,0,1]
	v_pk_fma_f32 v[8:9], v[20:21], v[44:45], v[8:9] op_sel:[1,1,0] op_sel_hi:[0,1,1] neg_lo:[1,0,0]
	v_pk_fma_f32 v[10:11], v[34:35], v[44:45], v[10:11] op_sel:[0,1,0]
	;; [unrolled: 8-line block ×3, first 2 shown]
	s_waitcnt vmcnt(0)
	v_pk_fma_f32 v[8:9], v[24:25], v[46:47], v[8:9] op_sel_hi:[1,0,1]
	v_pk_fma_f32 v[20:21], v[26:27], v[46:47], v[10:11] op_sel_hi:[1,0,1]
	v_pk_fma_f32 v[10:11], v[24:25], v[46:47], v[8:9] op_sel:[1,1,0] op_sel_hi:[0,1,1] neg_lo:[1,0,0]
	v_pk_fma_f32 v[8:9], v[52:53], v[46:47], v[20:21] op_sel:[0,1,0]
	s_andn2_b64 exec, exec, s[14:15]
	s_cbranch_execnz .LBB188_13
; %bb.14:
	s_or_b64 exec, exec, s[14:15]
.LBB188_15:
	s_or_b64 exec, exec, s[4:5]
	s_cbranch_execz .LBB188_19
	s_branch .LBB188_24
.LBB188_16:
	v_mov_b64_e32 v[4:5], s[8:9]
	flat_load_dword v3, v[4:5] offset:4
	s_and_b64 vcc, exec, s[4:5]
	v_mov_b32_e32 v4, s6
	s_cbranch_vccnz .LBB188_4
.LBB188_17:
	v_mov_b64_e32 v[4:5], s[6:7]
	flat_load_dword v4, v[4:5]
	s_and_b64 vcc, exec, s[4:5]
	v_mov_b32_e32 v5, s7
	s_cbranch_vccz .LBB188_5
	s_branch .LBB188_6
.LBB188_18:
                                        ; implicit-def: $vgpr11
                                        ; implicit-def: $vgpr9
.LBB188_19:
	v_mov_b32_e32 v11, 0
	v_mov_b32_e32 v10, v11
	;; [unrolled: 1-line block ×4, first 2 shown]
	s_and_saveexec_b64 s[4:5], s[2:3]
	s_cbranch_execz .LBB188_23
; %bb.20:
	v_mad_u64_u32 v[12:13], s[2:3], v0, 18, 17
	v_mov_b32_e32 v15, 0
	s_mov_b64 s[2:3], 0
	v_mov_b32_e32 v8, v15
	v_mov_b32_e32 v9, v15
	;; [unrolled: 1-line block ×4, first 2 shown]
.LBB188_21:                             ; =>This Inner Loop Header: Depth=1
	v_ashrrev_i32_e32 v1, 31, v0
	v_subrev_u32_e32 v14, 17, v12
	v_add_u32_e32 v20, -8, v12
	v_mov_b32_e32 v21, v15
	v_mov_b32_e32 v13, v15
	v_lshl_add_u64 v[24:25], v[0:1], 2, s[6:7]
	v_lshl_add_u64 v[26:27], v[14:15], 3, s[8:9]
	;; [unrolled: 1-line block ×4, first 2 shown]
	global_load_dword v1, v[24:25], off
	global_load_dwordx4 v[20:23], v[26:27], off
	global_load_dwordx2 v[32:33], v[28:29], off
	global_load_dwordx2 v[34:35], v[30:31], off
	v_mov_b32_e32 v17, v15
	v_add_u32_e32 v0, 8, v0
	v_cmp_ge_i32_e32 vcc, v0, v18
	s_or_b64 s[2:3], vcc, s[2:3]
	s_waitcnt vmcnt(3)
	v_subrev_u32_e32 v1, s12, v1
	v_lshl_add_u32 v16, v1, 3, v1
	v_lshl_add_u64 v[26:27], v[16:17], 3, s[10:11]
	global_load_dwordx2 v[26:27], v[26:27], off
	v_add_u32_e32 v14, 1, v16
	v_lshl_add_u64 v[28:29], v[14:15], 3, s[10:11]
	global_load_dwordx2 v[28:29], v[28:29], off
	v_add_u32_e32 v14, -7, v12
	v_lshl_add_u64 v[30:31], v[14:15], 3, s[8:9]
	v_add_u32_e32 v14, -15, v12
	v_lshl_add_u64 v[36:37], v[14:15], 3, s[8:9]
	v_add_u32_e32 v14, 2, v16
	v_lshl_add_u64 v[38:39], v[14:15], 3, s[10:11]
	v_add_u32_e32 v14, -6, v12
	global_load_dwordx2 v[40:41], v[36:37], off
	global_load_dwordx2 v[42:43], v[30:31], off
	;; [unrolled: 1-line block ×3, first 2 shown]
	v_lshl_add_u64 v[30:31], v[14:15], 3, s[8:9]
	v_add_u32_e32 v14, -14, v12
	v_lshl_add_u64 v[36:37], v[14:15], 3, s[8:9]
	v_add_u32_e32 v14, 3, v16
	v_lshl_add_u64 v[38:39], v[14:15], 3, s[10:11]
	v_add_u32_e32 v14, -5, v12
	global_load_dwordx2 v[46:47], v[36:37], off
	global_load_dwordx2 v[48:49], v[30:31], off
	;; [unrolled: 1-line block ×3, first 2 shown]
	v_lshl_add_u64 v[30:31], v[14:15], 3, s[8:9]
	v_add_u32_e32 v14, -13, v12
	v_lshl_add_u64 v[36:37], v[14:15], 3, s[8:9]
	v_add_u32_e32 v14, 4, v16
	v_lshl_add_u64 v[38:39], v[14:15], 3, s[10:11]
	v_add_u32_e32 v14, -4, v12
	global_load_dwordx2 v[30:31], v[30:31], off
	s_nop 0
	global_load_dwordx2 v[52:53], v[36:37], off
	global_load_dwordx2 v[54:55], v[38:39], off
	v_lshl_add_u64 v[36:37], v[14:15], 3, s[8:9]
	v_add_u32_e32 v14, -12, v12
	v_lshl_add_u64 v[38:39], v[14:15], 3, s[8:9]
	v_add_u32_e32 v14, 5, v16
	v_lshl_add_u64 v[56:57], v[14:15], 3, s[10:11]
	v_add_u32_e32 v14, -3, v12
	global_load_dwordx2 v[58:59], v[38:39], off
	global_load_dwordx2 v[60:61], v[36:37], off
	;; [unrolled: 1-line block ×3, first 2 shown]
	v_lshl_add_u64 v[36:37], v[14:15], 3, s[8:9]
	v_add_u32_e32 v14, -11, v12
	v_lshl_add_u64 v[38:39], v[14:15], 3, s[8:9]
	v_add_u32_e32 v14, 6, v16
	v_lshl_add_u64 v[56:57], v[14:15], 3, s[10:11]
	v_add_u32_e32 v14, -2, v12
	global_load_dwordx2 v[64:65], v[38:39], off
	global_load_dwordx2 v[66:67], v[36:37], off
	;; [unrolled: 1-line block ×3, first 2 shown]
	v_lshl_add_u64 v[36:37], v[14:15], 3, s[8:9]
	v_add_u32_e32 v14, -10, v12
	s_waitcnt vmcnt(19)
	v_xor_b32_e32 v24, 0x80000000, v23
	v_mov_b32_e32 v25, v22
	s_waitcnt vmcnt(16)
	v_pk_fma_f32 v[8:9], v[32:33], v[26:27], v[8:9] op_sel_hi:[1,0,1]
	s_nop 0
	v_pk_fma_f32 v[8:9], v[32:33], v[26:27], v[8:9] op_sel:[1,1,0] op_sel_hi:[0,1,1] neg_lo:[1,0,0]
	v_lshl_add_u64 v[32:33], v[14:15], 3, s[8:9]
	v_add_u32_e32 v14, 7, v16
	v_pk_fma_f32 v[10:11], v[20:21], v[26:27], v[10:11] op_sel_hi:[1,0,1]
	s_waitcnt vmcnt(13)
	v_pk_fma_f32 v[8:9], v[42:43], v[28:29], v[8:9] op_sel_hi:[1,0,1]
	v_pk_fma_f32 v[10:11], v[20:21], v[26:27], v[10:11] op_sel:[1,1,0] op_sel_hi:[0,1,1] neg_lo:[1,0,0]
	v_lshl_add_u64 v[20:21], v[14:15], 3, s[10:11]
	v_add_u32_e32 v14, -1, v12
	global_load_dwordx2 v[26:27], v[32:33], off
	global_load_dwordx2 v[38:39], v[36:37], off
	;; [unrolled: 1-line block ×3, first 2 shown]
	v_lshl_add_u64 v[20:21], v[14:15], 3, s[8:9]
	v_add_u32_e32 v14, -9, v12
	v_pk_fma_f32 v[10:11], v[22:23], v[28:29], v[10:11] op_sel_hi:[1,0,1]
	v_lshl_add_u64 v[22:23], v[14:15], 3, s[8:9]
	v_add_u32_e32 v14, 8, v16
	v_lshl_add_u64 v[16:17], v[14:15], 3, s[10:11]
	global_load_dwordx2 v[32:33], v[22:23], off
	global_load_dwordx2 v[36:37], v[20:21], off
	;; [unrolled: 1-line block ×3, first 2 shown]
	v_pk_fma_f32 v[10:11], v[24:25], v[28:29], v[10:11] op_sel:[0,1,0]
	v_pk_fma_f32 v[8:9], v[42:43], v[28:29], v[8:9] op_sel:[1,1,0] op_sel_hi:[0,1,1] neg_lo:[1,0,0]
	s_waitcnt vmcnt(18)
	v_pk_fma_f32 v[10:11], v[40:41], v[44:45], v[10:11] op_sel_hi:[1,0,1]
	s_waitcnt vmcnt(16)
	v_pk_fma_f32 v[8:9], v[48:49], v[44:45], v[8:9] op_sel_hi:[1,0,1]
	v_pk_fma_f32 v[10:11], v[40:41], v[44:45], v[10:11] op_sel:[1,1,0] op_sel_hi:[0,1,1] neg_lo:[1,0,0]
	v_pk_fma_f32 v[8:9], v[48:49], v[44:45], v[8:9] op_sel:[1,1,0] op_sel_hi:[0,1,1] neg_lo:[1,0,0]
	s_waitcnt vmcnt(15)
	v_pk_fma_f32 v[10:11], v[46:47], v[50:51], v[10:11] op_sel_hi:[1,0,1]
	s_waitcnt vmcnt(14)
	v_pk_fma_f32 v[8:9], v[30:31], v[50:51], v[8:9] op_sel_hi:[1,0,1]
	v_pk_fma_f32 v[10:11], v[46:47], v[50:51], v[10:11] op_sel:[1,1,0] op_sel_hi:[0,1,1] neg_lo:[1,0,0]
	;; [unrolled: 6-line block ×3, first 2 shown]
	v_pk_fma_f32 v[8:9], v[60:61], v[54:55], v[8:9] op_sel:[1,1,0] op_sel_hi:[0,1,1] neg_lo:[1,0,0]
	s_waitcnt vmcnt(9)
	v_pk_fma_f32 v[10:11], v[58:59], v[62:63], v[10:11] op_sel_hi:[1,0,1]
	v_add_u32_e32 v12, 0x90, v12
	v_pk_fma_f32 v[10:11], v[58:59], v[62:63], v[10:11] op_sel:[1,1,0] op_sel_hi:[0,1,1] neg_lo:[1,0,0]
	s_waitcnt vmcnt(7)
	v_pk_fma_f32 v[8:9], v[66:67], v[62:63], v[8:9] op_sel_hi:[1,0,1]
	s_waitcnt vmcnt(6)
	v_pk_fma_f32 v[10:11], v[64:65], v[68:69], v[10:11] op_sel_hi:[1,0,1]
	v_pk_fma_f32 v[8:9], v[66:67], v[62:63], v[8:9] op_sel:[1,1,0] op_sel_hi:[0,1,1] neg_lo:[1,0,0]
	v_pk_fma_f32 v[10:11], v[64:65], v[68:69], v[10:11] op_sel:[1,1,0] op_sel_hi:[0,1,1] neg_lo:[1,0,0]
	s_waitcnt vmcnt(4)
	v_pk_fma_f32 v[8:9], v[38:39], v[68:69], v[8:9] op_sel_hi:[1,0,1]
	s_nop 0
	v_pk_fma_f32 v[8:9], v[38:39], v[68:69], v[8:9] op_sel:[1,1,0] op_sel_hi:[0,1,1] neg_lo:[1,0,0]
	s_waitcnt vmcnt(3)
	v_pk_fma_f32 v[10:11], v[26:27], v[56:57], v[10:11] op_sel_hi:[1,0,1]
	s_waitcnt vmcnt(1)
	v_pk_fma_f32 v[8:9], v[36:37], v[56:57], v[8:9] op_sel_hi:[1,0,1]
	v_pk_fma_f32 v[10:11], v[26:27], v[56:57], v[10:11] op_sel:[1,1,0] op_sel_hi:[0,1,1] neg_lo:[1,0,0]
	v_pk_fma_f32 v[8:9], v[36:37], v[56:57], v[8:9] op_sel:[1,1,0] op_sel_hi:[0,1,1] neg_lo:[1,0,0]
	s_waitcnt vmcnt(0)
	v_pk_fma_f32 v[10:11], v[32:33], v[70:71], v[10:11] op_sel_hi:[1,0,1]
	v_pk_fma_f32 v[8:9], v[34:35], v[70:71], v[8:9] op_sel_hi:[1,0,1]
	v_pk_fma_f32 v[10:11], v[32:33], v[70:71], v[10:11] op_sel:[1,1,0] op_sel_hi:[0,1,1] neg_lo:[1,0,0]
	v_pk_fma_f32 v[8:9], v[34:35], v[70:71], v[8:9] op_sel:[1,1,0] op_sel_hi:[0,1,1] neg_lo:[1,0,0]
	s_andn2_b64 exec, exec, s[2:3]
	s_cbranch_execnz .LBB188_21
; %bb.22:
	s_or_b64 exec, exec, s[2:3]
.LBB188_23:
	s_or_b64 exec, exec, s[4:5]
.LBB188_24:
	v_mov_b32_dpp v12, v8 row_shr:1 row_mask:0xf bank_mask:0xf
	v_add_f32_e32 v8, v8, v12
	v_mov_b32_dpp v0, v10 row_shr:1 row_mask:0xf bank_mask:0xf
	v_add_f32_e32 v0, v10, v0
	v_mov_b32_dpp v12, v8 row_shr:2 row_mask:0xf bank_mask:0xf
	v_mov_b32_dpp v10, v11 row_shr:1 row_mask:0xf bank_mask:0xf
	v_add_f32_e32 v13, v8, v12
	v_mov_b32_dpp v8, v9 row_shr:1 row_mask:0xf bank_mask:0xf
	v_add_f32_e32 v10, v11, v10
	v_add_f32_e32 v8, v9, v8
	v_mov_b32_dpp v1, v0 row_shr:2 row_mask:0xf bank_mask:0xf
	v_mov_b32_dpp v11, v10 row_shr:2 row_mask:0xf bank_mask:0xf
	;; [unrolled: 1-line block ×3, first 2 shown]
	v_add_f32_e32 v0, v0, v1
	v_add_f32_e32 v10, v10, v11
	;; [unrolled: 1-line block ×3, first 2 shown]
	v_mov_b32_dpp v1, v0 row_shr:4 row_mask:0xf bank_mask:0xe
	v_mov_b32_dpp v11, v10 row_shr:4 row_mask:0xf bank_mask:0xe
	;; [unrolled: 1-line block ×4, first 2 shown]
	v_cmp_eq_u32_e32 vcc, 7, v7
	s_and_b64 exec, exec, vcc
	s_cbranch_execz .LBB188_29
; %bb.25:
	s_load_dwordx2 s[2:3], s[0:1], 0x38
	v_add_f32_e32 v8, v0, v1
	v_and_b32_e32 v1, 0x7fffffff, v4
	v_cmp_eq_u32_e32 vcc, 0, v1
	v_cmp_eq_f32_e64 s[0:1], 0, v5
	v_add_f32_e32 v12, v10, v11
	v_add_f32_e32 v0, v13, v14
	;; [unrolled: 1-line block ×3, first 2 shown]
	s_and_b64 s[0:1], vcc, s[0:1]
	s_and_saveexec_b64 s[4:5], s[0:1]
	s_xor_b64 s[0:1], exec, s[4:5]
	s_cbranch_execz .LBB188_27
; %bb.26:
	v_lshlrev_b32_e32 v4, 1, v6
	v_xor_b32_e32 v14, 0x80000000, v3
	v_ashrrev_i32_e32 v5, 31, v4
	v_mov_b32_e32 v15, v2
	s_waitcnt lgkmcnt(0)
	v_lshl_add_u64 v[16:17], v[4:5], 3, s[2:3]
	v_pk_mul_f32 v[4:5], v[12:13], v[14:15] op_sel_hi:[0,1]
	v_pk_mul_f32 v[6:7], v[10:11], v[14:15] op_sel_hi:[0,1]
	v_pk_fma_f32 v[4:5], v[2:3], v[8:9], v[4:5] op_sel_hi:[1,0,1]
	v_pk_fma_f32 v[6:7], v[2:3], v[0:1], v[6:7] op_sel_hi:[1,0,1]
	global_store_dwordx4 v[16:17], v[4:7], off
                                        ; implicit-def: $vgpr3
                                        ; implicit-def: $vgpr4
                                        ; implicit-def: $vgpr6
                                        ; implicit-def: $vgpr8
                                        ; implicit-def: $vgpr12
                                        ; implicit-def: $vgpr0
                                        ; implicit-def: $vgpr10
.LBB188_27:
	s_andn2_saveexec_b64 s[0:1], s[0:1]
	s_cbranch_execz .LBB188_29
; %bb.28:
	v_lshlrev_b32_e32 v6, 1, v6
	v_ashrrev_i32_e32 v7, 31, v6
	s_waitcnt lgkmcnt(0)
	v_lshl_add_u64 v[6:7], v[6:7], 3, s[2:3]
	global_load_dwordx4 v[14:17], v[6:7], off
	v_xor_b32_e32 v18, 0x80000000, v3
	v_mov_b32_e32 v19, v2
	v_pk_mul_f32 v[12:13], v[12:13], v[18:19] op_sel_hi:[0,1]
	v_pk_mul_f32 v[10:11], v[10:11], v[18:19] op_sel_hi:[0,1]
	v_pk_fma_f32 v[8:9], v[2:3], v[8:9], v[12:13] op_sel_hi:[1,0,1]
	v_pk_fma_f32 v[0:1], v[2:3], v[0:1], v[10:11] op_sel_hi:[1,0,1]
	v_xor_b32_e32 v20, 0x80000000, v5
	v_mov_b32_e32 v21, v4
	s_waitcnt vmcnt(0)
	v_pk_fma_f32 v[2:3], v[4:5], v[14:15], v[8:9] op_sel_hi:[1,0,1]
	v_pk_fma_f32 v[4:5], v[4:5], v[16:17], v[0:1] op_sel_hi:[1,0,1]
	v_mov_b32_e32 v8, v17
	v_pk_fma_f32 v[0:1], v[20:21], v[14:15], v[2:3] op_sel:[0,1,0]
	v_pk_fma_f32 v[2:3], v[20:21], v[8:9], v[4:5] op_sel_hi:[1,0,1]
	global_store_dwordx4 v[6:7], v[0:3], off
.LBB188_29:
	s_endpgm
	.section	.rodata,"a",@progbits
	.p2align	6, 0x0
	.amdhsa_kernel _ZN9rocsparseL19gebsrmvn_2xn_kernelILj128ELj9ELj8E21rocsparse_complex_numIfEEEvi20rocsparse_direction_NS_24const_host_device_scalarIT2_EEPKiS8_PKS5_SA_S6_PS5_21rocsparse_index_base_b
		.amdhsa_group_segment_fixed_size 0
		.amdhsa_private_segment_fixed_size 0
		.amdhsa_kernarg_size 72
		.amdhsa_user_sgpr_count 2
		.amdhsa_user_sgpr_dispatch_ptr 0
		.amdhsa_user_sgpr_queue_ptr 0
		.amdhsa_user_sgpr_kernarg_segment_ptr 1
		.amdhsa_user_sgpr_dispatch_id 0
		.amdhsa_user_sgpr_kernarg_preload_length 0
		.amdhsa_user_sgpr_kernarg_preload_offset 0
		.amdhsa_user_sgpr_private_segment_size 0
		.amdhsa_uses_dynamic_stack 0
		.amdhsa_enable_private_segment 0
		.amdhsa_system_sgpr_workgroup_id_x 1
		.amdhsa_system_sgpr_workgroup_id_y 0
		.amdhsa_system_sgpr_workgroup_id_z 0
		.amdhsa_system_sgpr_workgroup_info 0
		.amdhsa_system_vgpr_workitem_id 0
		.amdhsa_next_free_vgpr 72
		.amdhsa_next_free_sgpr 16
		.amdhsa_accum_offset 72
		.amdhsa_reserve_vcc 1
		.amdhsa_float_round_mode_32 0
		.amdhsa_float_round_mode_16_64 0
		.amdhsa_float_denorm_mode_32 3
		.amdhsa_float_denorm_mode_16_64 3
		.amdhsa_dx10_clamp 1
		.amdhsa_ieee_mode 1
		.amdhsa_fp16_overflow 0
		.amdhsa_tg_split 0
		.amdhsa_exception_fp_ieee_invalid_op 0
		.amdhsa_exception_fp_denorm_src 0
		.amdhsa_exception_fp_ieee_div_zero 0
		.amdhsa_exception_fp_ieee_overflow 0
		.amdhsa_exception_fp_ieee_underflow 0
		.amdhsa_exception_fp_ieee_inexact 0
		.amdhsa_exception_int_div_zero 0
	.end_amdhsa_kernel
	.section	.text._ZN9rocsparseL19gebsrmvn_2xn_kernelILj128ELj9ELj8E21rocsparse_complex_numIfEEEvi20rocsparse_direction_NS_24const_host_device_scalarIT2_EEPKiS8_PKS5_SA_S6_PS5_21rocsparse_index_base_b,"axG",@progbits,_ZN9rocsparseL19gebsrmvn_2xn_kernelILj128ELj9ELj8E21rocsparse_complex_numIfEEEvi20rocsparse_direction_NS_24const_host_device_scalarIT2_EEPKiS8_PKS5_SA_S6_PS5_21rocsparse_index_base_b,comdat
.Lfunc_end188:
	.size	_ZN9rocsparseL19gebsrmvn_2xn_kernelILj128ELj9ELj8E21rocsparse_complex_numIfEEEvi20rocsparse_direction_NS_24const_host_device_scalarIT2_EEPKiS8_PKS5_SA_S6_PS5_21rocsparse_index_base_b, .Lfunc_end188-_ZN9rocsparseL19gebsrmvn_2xn_kernelILj128ELj9ELj8E21rocsparse_complex_numIfEEEvi20rocsparse_direction_NS_24const_host_device_scalarIT2_EEPKiS8_PKS5_SA_S6_PS5_21rocsparse_index_base_b
                                        ; -- End function
	.section	.AMDGPU.csdata,"",@progbits
; Kernel info:
; codeLenInByte = 2768
; NumSgprs: 22
; NumVgprs: 72
; NumAgprs: 0
; TotalNumVgprs: 72
; ScratchSize: 0
; MemoryBound: 0
; FloatMode: 240
; IeeeMode: 1
; LDSByteSize: 0 bytes/workgroup (compile time only)
; SGPRBlocks: 2
; VGPRBlocks: 8
; NumSGPRsForWavesPerEU: 22
; NumVGPRsForWavesPerEU: 72
; AccumOffset: 72
; Occupancy: 7
; WaveLimiterHint : 1
; COMPUTE_PGM_RSRC2:SCRATCH_EN: 0
; COMPUTE_PGM_RSRC2:USER_SGPR: 2
; COMPUTE_PGM_RSRC2:TRAP_HANDLER: 0
; COMPUTE_PGM_RSRC2:TGID_X_EN: 1
; COMPUTE_PGM_RSRC2:TGID_Y_EN: 0
; COMPUTE_PGM_RSRC2:TGID_Z_EN: 0
; COMPUTE_PGM_RSRC2:TIDIG_COMP_CNT: 0
; COMPUTE_PGM_RSRC3_GFX90A:ACCUM_OFFSET: 17
; COMPUTE_PGM_RSRC3_GFX90A:TG_SPLIT: 0
	.section	.text._ZN9rocsparseL19gebsrmvn_2xn_kernelILj128ELj9ELj16E21rocsparse_complex_numIfEEEvi20rocsparse_direction_NS_24const_host_device_scalarIT2_EEPKiS8_PKS5_SA_S6_PS5_21rocsparse_index_base_b,"axG",@progbits,_ZN9rocsparseL19gebsrmvn_2xn_kernelILj128ELj9ELj16E21rocsparse_complex_numIfEEEvi20rocsparse_direction_NS_24const_host_device_scalarIT2_EEPKiS8_PKS5_SA_S6_PS5_21rocsparse_index_base_b,comdat
	.globl	_ZN9rocsparseL19gebsrmvn_2xn_kernelILj128ELj9ELj16E21rocsparse_complex_numIfEEEvi20rocsparse_direction_NS_24const_host_device_scalarIT2_EEPKiS8_PKS5_SA_S6_PS5_21rocsparse_index_base_b ; -- Begin function _ZN9rocsparseL19gebsrmvn_2xn_kernelILj128ELj9ELj16E21rocsparse_complex_numIfEEEvi20rocsparse_direction_NS_24const_host_device_scalarIT2_EEPKiS8_PKS5_SA_S6_PS5_21rocsparse_index_base_b
	.p2align	8
	.type	_ZN9rocsparseL19gebsrmvn_2xn_kernelILj128ELj9ELj16E21rocsparse_complex_numIfEEEvi20rocsparse_direction_NS_24const_host_device_scalarIT2_EEPKiS8_PKS5_SA_S6_PS5_21rocsparse_index_base_b,@function
_ZN9rocsparseL19gebsrmvn_2xn_kernelILj128ELj9ELj16E21rocsparse_complex_numIfEEEvi20rocsparse_direction_NS_24const_host_device_scalarIT2_EEPKiS8_PKS5_SA_S6_PS5_21rocsparse_index_base_b: ; @_ZN9rocsparseL19gebsrmvn_2xn_kernelILj128ELj9ELj16E21rocsparse_complex_numIfEEEvi20rocsparse_direction_NS_24const_host_device_scalarIT2_EEPKiS8_PKS5_SA_S6_PS5_21rocsparse_index_base_b
; %bb.0:
	s_load_dwordx2 s[12:13], s[0:1], 0x40
	s_load_dwordx2 s[8:9], s[0:1], 0x8
	;; [unrolled: 1-line block ×3, first 2 shown]
	s_waitcnt lgkmcnt(0)
	s_bitcmp1_b32 s13, 0
	s_cselect_b64 s[4:5], -1, 0
	s_xor_b64 s[10:11], s[4:5], -1
	s_and_b64 vcc, exec, s[4:5]
	v_mov_b32_e32 v2, s8
	s_cbranch_vccnz .LBB189_2
; %bb.1:
	v_mov_b64_e32 v[2:3], s[8:9]
	flat_load_dword v2, v[2:3]
.LBB189_2:
	v_cndmask_b32_e64 v1, 0, 1, s[10:11]
	v_cmp_ne_u32_e64 s[4:5], 1, v1
	s_andn2_b64 vcc, exec, s[10:11]
	v_mov_b32_e32 v3, s9
	s_cbranch_vccz .LBB189_16
; %bb.3:
	s_and_b64 vcc, exec, s[4:5]
	v_mov_b32_e32 v4, s6
	s_cbranch_vccz .LBB189_17
.LBB189_4:
	s_and_b64 vcc, exec, s[4:5]
	v_mov_b32_e32 v5, s7
	s_cbranch_vccnz .LBB189_6
.LBB189_5:
	v_mov_b64_e32 v[6:7], s[6:7]
	flat_load_dword v5, v[6:7] offset:4
.LBB189_6:
	s_waitcnt vmcnt(0) lgkmcnt(0)
	v_and_b32_e32 v1, 0x7fffffff, v2
	v_cmp_eq_u32_e32 vcc, 0, v1
	v_cmp_eq_f32_e64 s[4:5], 0, v3
	s_and_b64 s[8:9], vcc, s[4:5]
	s_mov_b64 s[4:5], -1
	s_and_saveexec_b64 s[6:7], s[8:9]
; %bb.7:
	v_and_b32_e32 v1, 0x7fffffff, v5
	v_cmp_neq_f32_e32 vcc, 1.0, v4
	v_cmp_ne_u32_e64 s[4:5], 0, v1
	s_or_b64 s[4:5], vcc, s[4:5]
	s_orn2_b64 s[4:5], s[4:5], exec
; %bb.8:
	s_or_b64 exec, exec, s[6:7]
	s_and_saveexec_b64 s[6:7], s[4:5]
	s_cbranch_execz .LBB189_29
; %bb.9:
	s_load_dwordx2 s[14:15], s[0:1], 0x0
	v_lshrrev_b32_e32 v1, 4, v0
	v_lshl_or_b32 v6, s2, 3, v1
	s_waitcnt lgkmcnt(0)
	v_cmp_gt_i32_e32 vcc, s14, v6
	s_and_b64 exec, exec, vcc
	s_cbranch_execz .LBB189_29
; %bb.10:
	s_load_dwordx8 s[4:11], s[0:1], 0x10
	v_ashrrev_i32_e32 v7, 31, v6
	s_cmp_lg_u32 s15, 0
	s_waitcnt lgkmcnt(0)
	v_lshl_add_u64 v[8:9], v[6:7], 2, s[4:5]
	global_load_dwordx2 v[8:9], v[8:9], off
	v_and_b32_e32 v7, 15, v0
	s_waitcnt vmcnt(0)
	v_subrev_u32_e32 v0, s12, v8
	v_subrev_u32_e32 v18, s12, v9
	v_add_u32_e32 v0, v0, v7
	v_cmp_lt_i32_e64 s[2:3], v0, v18
	s_cbranch_scc0 .LBB189_18
; %bb.11:
	v_mov_b32_e32 v11, 0
	v_mov_b32_e32 v10, v11
	;; [unrolled: 1-line block ×4, first 2 shown]
	s_and_saveexec_b64 s[4:5], s[2:3]
	s_cbranch_execz .LBB189_15
; %bb.12:
	v_mad_u64_u32 v[12:13], s[14:15], v0, 18, 16
	v_mov_b32_e32 v15, 0
	s_mov_b64 s[14:15], 0
	v_mov_b32_e32 v16, v0
	v_mov_b32_e32 v8, v15
	;; [unrolled: 1-line block ×5, first 2 shown]
.LBB189_13:                             ; =>This Inner Loop Header: Depth=1
	v_ashrrev_i32_e32 v17, 31, v16
	v_add_u32_e32 v14, -16, v12
	v_lshl_add_u64 v[24:25], v[16:17], 2, s[6:7]
	v_lshl_add_u64 v[26:27], v[14:15], 3, s[8:9]
	global_load_dword v1, v[24:25], off
	global_load_dwordx4 v[20:23], v[26:27], off
	v_mov_b32_e32 v13, v15
	v_mov_b32_e32 v45, v15
	v_add_u32_e32 v14, -14, v12
	v_lshl_add_u64 v[32:33], v[12:13], 3, s[8:9]
	v_lshl_add_u64 v[34:35], v[14:15], 3, s[8:9]
	global_load_dwordx4 v[24:27], v[32:33], off
	global_load_dwordx4 v[28:31], v[34:35], off
	v_add_u32_e32 v16, 16, v16
	v_cmp_ge_i32_e32 vcc, v16, v18
	s_or_b64 s[14:15], vcc, s[14:15]
	s_waitcnt vmcnt(3)
	v_subrev_u32_e32 v1, s12, v1
	v_lshl_add_u32 v44, v1, 3, v1
	v_lshl_add_u64 v[32:33], v[44:45], 3, s[10:11]
	global_load_dwordx2 v[50:51], v[32:33], off
	v_add_u32_e32 v14, 1, v44
	v_lshl_add_u64 v[32:33], v[14:15], 3, s[10:11]
	global_load_dwordx2 v[52:53], v[32:33], off
	v_add_u32_e32 v14, -12, v12
	v_lshl_add_u64 v[32:33], v[14:15], 3, s[8:9]
	v_add_u32_e32 v14, 2, v44
	v_lshl_add_u64 v[36:37], v[14:15], 3, s[10:11]
	global_load_dwordx4 v[32:35], v[32:33], off
	v_add_u32_e32 v14, -10, v12
	global_load_dwordx2 v[54:55], v[36:37], off
	v_lshl_add_u64 v[36:37], v[14:15], 3, s[8:9]
	v_add_u32_e32 v14, 3, v44
	v_lshl_add_u64 v[40:41], v[14:15], 3, s[10:11]
	v_add_u32_e32 v14, -8, v12
	v_lshl_add_u64 v[58:59], v[14:15], 3, s[8:9]
	v_add_u32_e32 v14, 4, v44
	global_load_dwordx4 v[36:39], v[36:37], off
	v_lshl_add_u64 v[60:61], v[14:15], 3, s[10:11]
	global_load_dwordx2 v[56:57], v[40:41], off
	v_add_u32_e32 v14, -6, v12
	global_load_dwordx4 v[40:43], v[58:59], off
	global_load_dwordx2 v[62:63], v[60:61], off
	v_lshl_add_u64 v[58:59], v[14:15], 3, s[8:9]
	v_add_u32_e32 v14, 5, v44
	s_waitcnt vmcnt(10)
	v_xor_b32_e32 v46, 0x80000000, v23
	v_mov_b32_e32 v47, v22
	v_lshl_add_u64 v[60:61], v[14:15], 3, s[10:11]
	v_add_u32_e32 v14, -4, v12
	s_waitcnt vmcnt(8)
	v_xor_b32_e32 v48, 0x80000000, v31
	v_mov_b32_e32 v49, v30
	s_waitcnt vmcnt(7)
	v_pk_fma_f32 v[22:23], v[22:23], v[50:51], v[8:9] op_sel_hi:[1,0,1]
	v_pk_fma_f32 v[10:11], v[20:21], v[50:51], v[10:11] op_sel_hi:[1,0,1]
	v_pk_fma_f32 v[22:23], v[46:47], v[50:51], v[22:23] op_sel:[0,1,0]
	v_lshl_add_u64 v[46:47], v[14:15], 3, s[8:9]
	v_add_u32_e32 v14, 6, v44
	v_pk_fma_f32 v[20:21], v[20:21], v[50:51], v[10:11] op_sel:[1,1,0] op_sel_hi:[0,1,1] neg_lo:[1,0,0]
	global_load_dwordx4 v[8:11], v[58:59], off
	global_load_dwordx2 v[64:65], v[60:61], off
	v_lshl_add_u64 v[50:51], v[14:15], 3, s[10:11]
	v_add_u32_e32 v14, -2, v12
	s_waitcnt vmcnt(8)
	v_pk_fma_f32 v[20:21], v[28:29], v[52:53], v[20:21] op_sel_hi:[1,0,1]
	v_lshl_add_u64 v[60:61], v[14:15], 3, s[8:9]
	v_add_u32_e32 v14, 7, v44
	v_pk_fma_f32 v[30:31], v[30:31], v[52:53], v[22:23] op_sel_hi:[1,0,1]
	v_pk_fma_f32 v[58:59], v[28:29], v[52:53], v[20:21] op_sel:[1,1,0] op_sel_hi:[0,1,1] neg_lo:[1,0,0]
	v_lshl_add_u64 v[66:67], v[14:15], 3, s[10:11]
	v_add_u32_e32 v14, 8, v44
	global_load_dwordx4 v[20:23], v[46:47], off
	global_load_dwordx2 v[44:45], v[50:51], off
	v_pk_fma_f32 v[46:47], v[48:49], v[52:53], v[30:31] op_sel:[0,1,0]
	global_load_dwordx4 v[28:31], v[60:61], off
	global_load_dwordx2 v[48:49], v[66:67], off
	s_waitcnt vmcnt(11)
	v_xor_b32_e32 v50, 0x80000000, v35
	v_mov_b32_e32 v51, v34
	s_waitcnt vmcnt(10)
	v_pk_fma_f32 v[34:35], v[34:35], v[54:55], v[46:47] op_sel_hi:[1,0,1]
	v_lshl_add_u64 v[46:47], v[14:15], 3, s[10:11]
	global_load_dwordx2 v[46:47], v[46:47], off
	v_pk_fma_f32 v[52:53], v[32:33], v[54:55], v[58:59] op_sel_hi:[1,0,1]
	v_pk_fma_f32 v[34:35], v[50:51], v[54:55], v[34:35] op_sel:[0,1,0]
	v_pk_fma_f32 v[32:33], v[32:33], v[54:55], v[52:53] op_sel:[1,1,0] op_sel_hi:[0,1,1] neg_lo:[1,0,0]
	s_waitcnt vmcnt(10)
	v_xor_b32_e32 v50, 0x80000000, v39
	v_mov_b32_e32 v51, v38
	s_waitcnt vmcnt(9)
	v_pk_fma_f32 v[32:33], v[36:37], v[56:57], v[32:33] op_sel_hi:[1,0,1]
	v_pk_fma_f32 v[34:35], v[38:39], v[56:57], v[34:35] op_sel_hi:[1,0,1]
	v_pk_fma_f32 v[32:33], v[36:37], v[56:57], v[32:33] op_sel:[1,1,0] op_sel_hi:[0,1,1] neg_lo:[1,0,0]
	v_pk_fma_f32 v[34:35], v[50:51], v[56:57], v[34:35] op_sel:[0,1,0]
	s_waitcnt vmcnt(8)
	v_xor_b32_e32 v38, 0x80000000, v43
	v_mov_b32_e32 v39, v42
	s_waitcnt vmcnt(7)
	v_pk_fma_f32 v[32:33], v[40:41], v[62:63], v[32:33] op_sel_hi:[1,0,1]
	v_pk_fma_f32 v[34:35], v[42:43], v[62:63], v[34:35] op_sel_hi:[1,0,1]
	v_pk_fma_f32 v[32:33], v[40:41], v[62:63], v[32:33] op_sel:[1,1,0] op_sel_hi:[0,1,1] neg_lo:[1,0,0]
	v_pk_fma_f32 v[34:35], v[38:39], v[62:63], v[34:35] op_sel:[0,1,0]
	v_xor_b32_e32 v52, 0x80000000, v27
	v_mov_b32_e32 v53, v26
	v_add_u32_e32 v12, 0x120, v12
	s_waitcnt vmcnt(6)
	v_xor_b32_e32 v36, 0x80000000, v11
	v_mov_b32_e32 v37, v10
	s_waitcnt vmcnt(5)
	v_pk_fma_f32 v[32:33], v[8:9], v[64:65], v[32:33] op_sel_hi:[1,0,1]
	v_pk_fma_f32 v[10:11], v[10:11], v[64:65], v[34:35] op_sel_hi:[1,0,1]
	v_pk_fma_f32 v[8:9], v[8:9], v[64:65], v[32:33] op_sel:[1,1,0] op_sel_hi:[0,1,1] neg_lo:[1,0,0]
	v_pk_fma_f32 v[10:11], v[36:37], v[64:65], v[10:11] op_sel:[0,1,0]
	s_waitcnt vmcnt(4)
	v_xor_b32_e32 v34, 0x80000000, v23
	v_mov_b32_e32 v35, v22
	s_waitcnt vmcnt(3)
	v_pk_fma_f32 v[8:9], v[20:21], v[44:45], v[8:9] op_sel_hi:[1,0,1]
	v_pk_fma_f32 v[10:11], v[22:23], v[44:45], v[10:11] op_sel_hi:[1,0,1]
	v_pk_fma_f32 v[8:9], v[20:21], v[44:45], v[8:9] op_sel:[1,1,0] op_sel_hi:[0,1,1] neg_lo:[1,0,0]
	v_pk_fma_f32 v[10:11], v[34:35], v[44:45], v[10:11] op_sel:[0,1,0]
	;; [unrolled: 8-line block ×3, first 2 shown]
	s_waitcnt vmcnt(0)
	v_pk_fma_f32 v[8:9], v[24:25], v[46:47], v[8:9] op_sel_hi:[1,0,1]
	v_pk_fma_f32 v[20:21], v[26:27], v[46:47], v[10:11] op_sel_hi:[1,0,1]
	v_pk_fma_f32 v[10:11], v[24:25], v[46:47], v[8:9] op_sel:[1,1,0] op_sel_hi:[0,1,1] neg_lo:[1,0,0]
	v_pk_fma_f32 v[8:9], v[52:53], v[46:47], v[20:21] op_sel:[0,1,0]
	s_andn2_b64 exec, exec, s[14:15]
	s_cbranch_execnz .LBB189_13
; %bb.14:
	s_or_b64 exec, exec, s[14:15]
.LBB189_15:
	s_or_b64 exec, exec, s[4:5]
	s_cbranch_execz .LBB189_19
	s_branch .LBB189_24
.LBB189_16:
	v_mov_b64_e32 v[4:5], s[8:9]
	flat_load_dword v3, v[4:5] offset:4
	s_and_b64 vcc, exec, s[4:5]
	v_mov_b32_e32 v4, s6
	s_cbranch_vccnz .LBB189_4
.LBB189_17:
	v_mov_b64_e32 v[4:5], s[6:7]
	flat_load_dword v4, v[4:5]
	s_and_b64 vcc, exec, s[4:5]
	v_mov_b32_e32 v5, s7
	s_cbranch_vccz .LBB189_5
	s_branch .LBB189_6
.LBB189_18:
                                        ; implicit-def: $vgpr11
                                        ; implicit-def: $vgpr9
.LBB189_19:
	v_mov_b32_e32 v11, 0
	v_mov_b32_e32 v10, v11
	;; [unrolled: 1-line block ×4, first 2 shown]
	s_and_saveexec_b64 s[4:5], s[2:3]
	s_cbranch_execz .LBB189_23
; %bb.20:
	v_mad_u64_u32 v[12:13], s[2:3], v0, 18, 17
	v_mov_b32_e32 v15, 0
	s_mov_b64 s[2:3], 0
	v_mov_b32_e32 v8, v15
	v_mov_b32_e32 v9, v15
	;; [unrolled: 1-line block ×4, first 2 shown]
.LBB189_21:                             ; =>This Inner Loop Header: Depth=1
	v_ashrrev_i32_e32 v1, 31, v0
	v_subrev_u32_e32 v14, 17, v12
	v_add_u32_e32 v20, -8, v12
	v_mov_b32_e32 v21, v15
	v_mov_b32_e32 v13, v15
	v_lshl_add_u64 v[24:25], v[0:1], 2, s[6:7]
	v_lshl_add_u64 v[26:27], v[14:15], 3, s[8:9]
	;; [unrolled: 1-line block ×4, first 2 shown]
	global_load_dword v1, v[24:25], off
	global_load_dwordx4 v[20:23], v[26:27], off
	global_load_dwordx2 v[32:33], v[28:29], off
	global_load_dwordx2 v[34:35], v[30:31], off
	v_mov_b32_e32 v17, v15
	v_add_u32_e32 v0, 16, v0
	v_cmp_ge_i32_e32 vcc, v0, v18
	s_or_b64 s[2:3], vcc, s[2:3]
	s_waitcnt vmcnt(3)
	v_subrev_u32_e32 v1, s12, v1
	v_lshl_add_u32 v16, v1, 3, v1
	v_lshl_add_u64 v[26:27], v[16:17], 3, s[10:11]
	global_load_dwordx2 v[26:27], v[26:27], off
	v_add_u32_e32 v14, 1, v16
	v_lshl_add_u64 v[28:29], v[14:15], 3, s[10:11]
	global_load_dwordx2 v[28:29], v[28:29], off
	v_add_u32_e32 v14, -7, v12
	v_lshl_add_u64 v[30:31], v[14:15], 3, s[8:9]
	v_add_u32_e32 v14, -15, v12
	v_lshl_add_u64 v[36:37], v[14:15], 3, s[8:9]
	v_add_u32_e32 v14, 2, v16
	v_lshl_add_u64 v[38:39], v[14:15], 3, s[10:11]
	v_add_u32_e32 v14, -6, v12
	global_load_dwordx2 v[40:41], v[36:37], off
	global_load_dwordx2 v[42:43], v[30:31], off
	;; [unrolled: 1-line block ×3, first 2 shown]
	v_lshl_add_u64 v[30:31], v[14:15], 3, s[8:9]
	v_add_u32_e32 v14, -14, v12
	v_lshl_add_u64 v[36:37], v[14:15], 3, s[8:9]
	v_add_u32_e32 v14, 3, v16
	v_lshl_add_u64 v[38:39], v[14:15], 3, s[10:11]
	v_add_u32_e32 v14, -5, v12
	global_load_dwordx2 v[46:47], v[36:37], off
	global_load_dwordx2 v[48:49], v[30:31], off
	;; [unrolled: 1-line block ×3, first 2 shown]
	v_lshl_add_u64 v[30:31], v[14:15], 3, s[8:9]
	v_add_u32_e32 v14, -13, v12
	v_lshl_add_u64 v[36:37], v[14:15], 3, s[8:9]
	v_add_u32_e32 v14, 4, v16
	v_lshl_add_u64 v[38:39], v[14:15], 3, s[10:11]
	v_add_u32_e32 v14, -4, v12
	global_load_dwordx2 v[30:31], v[30:31], off
	s_nop 0
	global_load_dwordx2 v[52:53], v[36:37], off
	global_load_dwordx2 v[54:55], v[38:39], off
	v_lshl_add_u64 v[36:37], v[14:15], 3, s[8:9]
	v_add_u32_e32 v14, -12, v12
	v_lshl_add_u64 v[38:39], v[14:15], 3, s[8:9]
	v_add_u32_e32 v14, 5, v16
	v_lshl_add_u64 v[56:57], v[14:15], 3, s[10:11]
	v_add_u32_e32 v14, -3, v12
	global_load_dwordx2 v[58:59], v[38:39], off
	global_load_dwordx2 v[60:61], v[36:37], off
	global_load_dwordx2 v[62:63], v[56:57], off
	v_lshl_add_u64 v[36:37], v[14:15], 3, s[8:9]
	v_add_u32_e32 v14, -11, v12
	v_lshl_add_u64 v[38:39], v[14:15], 3, s[8:9]
	v_add_u32_e32 v14, 6, v16
	v_lshl_add_u64 v[56:57], v[14:15], 3, s[10:11]
	v_add_u32_e32 v14, -2, v12
	global_load_dwordx2 v[64:65], v[38:39], off
	global_load_dwordx2 v[66:67], v[36:37], off
	;; [unrolled: 1-line block ×3, first 2 shown]
	v_lshl_add_u64 v[36:37], v[14:15], 3, s[8:9]
	v_add_u32_e32 v14, -10, v12
	s_waitcnt vmcnt(19)
	v_xor_b32_e32 v24, 0x80000000, v23
	v_mov_b32_e32 v25, v22
	s_waitcnt vmcnt(16)
	v_pk_fma_f32 v[8:9], v[32:33], v[26:27], v[8:9] op_sel_hi:[1,0,1]
	s_nop 0
	v_pk_fma_f32 v[8:9], v[32:33], v[26:27], v[8:9] op_sel:[1,1,0] op_sel_hi:[0,1,1] neg_lo:[1,0,0]
	v_lshl_add_u64 v[32:33], v[14:15], 3, s[8:9]
	v_add_u32_e32 v14, 7, v16
	v_pk_fma_f32 v[10:11], v[20:21], v[26:27], v[10:11] op_sel_hi:[1,0,1]
	s_waitcnt vmcnt(13)
	v_pk_fma_f32 v[8:9], v[42:43], v[28:29], v[8:9] op_sel_hi:[1,0,1]
	v_pk_fma_f32 v[10:11], v[20:21], v[26:27], v[10:11] op_sel:[1,1,0] op_sel_hi:[0,1,1] neg_lo:[1,0,0]
	v_lshl_add_u64 v[20:21], v[14:15], 3, s[10:11]
	v_add_u32_e32 v14, -1, v12
	global_load_dwordx2 v[26:27], v[32:33], off
	global_load_dwordx2 v[38:39], v[36:37], off
	;; [unrolled: 1-line block ×3, first 2 shown]
	v_lshl_add_u64 v[20:21], v[14:15], 3, s[8:9]
	v_add_u32_e32 v14, -9, v12
	v_pk_fma_f32 v[10:11], v[22:23], v[28:29], v[10:11] op_sel_hi:[1,0,1]
	v_lshl_add_u64 v[22:23], v[14:15], 3, s[8:9]
	v_add_u32_e32 v14, 8, v16
	v_lshl_add_u64 v[16:17], v[14:15], 3, s[10:11]
	global_load_dwordx2 v[32:33], v[22:23], off
	global_load_dwordx2 v[36:37], v[20:21], off
	;; [unrolled: 1-line block ×3, first 2 shown]
	v_pk_fma_f32 v[10:11], v[24:25], v[28:29], v[10:11] op_sel:[0,1,0]
	v_pk_fma_f32 v[8:9], v[42:43], v[28:29], v[8:9] op_sel:[1,1,0] op_sel_hi:[0,1,1] neg_lo:[1,0,0]
	s_waitcnt vmcnt(18)
	v_pk_fma_f32 v[10:11], v[40:41], v[44:45], v[10:11] op_sel_hi:[1,0,1]
	s_waitcnt vmcnt(16)
	v_pk_fma_f32 v[8:9], v[48:49], v[44:45], v[8:9] op_sel_hi:[1,0,1]
	v_pk_fma_f32 v[10:11], v[40:41], v[44:45], v[10:11] op_sel:[1,1,0] op_sel_hi:[0,1,1] neg_lo:[1,0,0]
	v_pk_fma_f32 v[8:9], v[48:49], v[44:45], v[8:9] op_sel:[1,1,0] op_sel_hi:[0,1,1] neg_lo:[1,0,0]
	s_waitcnt vmcnt(15)
	v_pk_fma_f32 v[10:11], v[46:47], v[50:51], v[10:11] op_sel_hi:[1,0,1]
	s_waitcnt vmcnt(14)
	v_pk_fma_f32 v[8:9], v[30:31], v[50:51], v[8:9] op_sel_hi:[1,0,1]
	v_pk_fma_f32 v[10:11], v[46:47], v[50:51], v[10:11] op_sel:[1,1,0] op_sel_hi:[0,1,1] neg_lo:[1,0,0]
	;; [unrolled: 6-line block ×3, first 2 shown]
	v_pk_fma_f32 v[8:9], v[60:61], v[54:55], v[8:9] op_sel:[1,1,0] op_sel_hi:[0,1,1] neg_lo:[1,0,0]
	s_waitcnt vmcnt(9)
	v_pk_fma_f32 v[10:11], v[58:59], v[62:63], v[10:11] op_sel_hi:[1,0,1]
	v_add_u32_e32 v12, 0x120, v12
	v_pk_fma_f32 v[10:11], v[58:59], v[62:63], v[10:11] op_sel:[1,1,0] op_sel_hi:[0,1,1] neg_lo:[1,0,0]
	s_waitcnt vmcnt(7)
	v_pk_fma_f32 v[8:9], v[66:67], v[62:63], v[8:9] op_sel_hi:[1,0,1]
	s_waitcnt vmcnt(6)
	v_pk_fma_f32 v[10:11], v[64:65], v[68:69], v[10:11] op_sel_hi:[1,0,1]
	v_pk_fma_f32 v[8:9], v[66:67], v[62:63], v[8:9] op_sel:[1,1,0] op_sel_hi:[0,1,1] neg_lo:[1,0,0]
	v_pk_fma_f32 v[10:11], v[64:65], v[68:69], v[10:11] op_sel:[1,1,0] op_sel_hi:[0,1,1] neg_lo:[1,0,0]
	s_waitcnt vmcnt(4)
	v_pk_fma_f32 v[8:9], v[38:39], v[68:69], v[8:9] op_sel_hi:[1,0,1]
	s_nop 0
	v_pk_fma_f32 v[8:9], v[38:39], v[68:69], v[8:9] op_sel:[1,1,0] op_sel_hi:[0,1,1] neg_lo:[1,0,0]
	s_waitcnt vmcnt(3)
	v_pk_fma_f32 v[10:11], v[26:27], v[56:57], v[10:11] op_sel_hi:[1,0,1]
	s_waitcnt vmcnt(1)
	v_pk_fma_f32 v[8:9], v[36:37], v[56:57], v[8:9] op_sel_hi:[1,0,1]
	v_pk_fma_f32 v[10:11], v[26:27], v[56:57], v[10:11] op_sel:[1,1,0] op_sel_hi:[0,1,1] neg_lo:[1,0,0]
	v_pk_fma_f32 v[8:9], v[36:37], v[56:57], v[8:9] op_sel:[1,1,0] op_sel_hi:[0,1,1] neg_lo:[1,0,0]
	s_waitcnt vmcnt(0)
	v_pk_fma_f32 v[10:11], v[32:33], v[70:71], v[10:11] op_sel_hi:[1,0,1]
	v_pk_fma_f32 v[8:9], v[34:35], v[70:71], v[8:9] op_sel_hi:[1,0,1]
	v_pk_fma_f32 v[10:11], v[32:33], v[70:71], v[10:11] op_sel:[1,1,0] op_sel_hi:[0,1,1] neg_lo:[1,0,0]
	v_pk_fma_f32 v[8:9], v[34:35], v[70:71], v[8:9] op_sel:[1,1,0] op_sel_hi:[0,1,1] neg_lo:[1,0,0]
	s_andn2_b64 exec, exec, s[2:3]
	s_cbranch_execnz .LBB189_21
; %bb.22:
	s_or_b64 exec, exec, s[2:3]
.LBB189_23:
	s_or_b64 exec, exec, s[4:5]
.LBB189_24:
	v_mov_b32_dpp v12, v8 row_shr:1 row_mask:0xf bank_mask:0xf
	v_add_f32_e32 v8, v8, v12
	v_mov_b32_dpp v0, v10 row_shr:1 row_mask:0xf bank_mask:0xf
	v_add_f32_e32 v0, v10, v0
	v_mov_b32_dpp v12, v8 row_shr:2 row_mask:0xf bank_mask:0xf
	v_add_f32_e32 v8, v8, v12
	v_mov_b32_dpp v10, v11 row_shr:1 row_mask:0xf bank_mask:0xf
	v_add_f32_e32 v10, v11, v10
	v_mov_b32_dpp v12, v8 row_shr:4 row_mask:0xf bank_mask:0xe
	v_add_f32_e32 v13, v8, v12
	v_mov_b32_dpp v8, v9 row_shr:1 row_mask:0xf bank_mask:0xf
	v_add_f32_e32 v8, v9, v8
	v_mov_b32_dpp v1, v0 row_shr:2 row_mask:0xf bank_mask:0xf
	v_mov_b32_dpp v11, v10 row_shr:2 row_mask:0xf bank_mask:0xf
	;; [unrolled: 1-line block ×3, first 2 shown]
	v_add_f32_e32 v0, v0, v1
	v_add_f32_e32 v10, v10, v11
	;; [unrolled: 1-line block ×3, first 2 shown]
	v_mov_b32_dpp v1, v0 row_shr:4 row_mask:0xf bank_mask:0xe
	v_mov_b32_dpp v11, v10 row_shr:4 row_mask:0xf bank_mask:0xe
	;; [unrolled: 1-line block ×3, first 2 shown]
	v_add_f32_e32 v0, v0, v1
	v_add_f32_e32 v10, v10, v11
	;; [unrolled: 1-line block ×3, first 2 shown]
	v_mov_b32_dpp v1, v0 row_shr:8 row_mask:0xf bank_mask:0xc
	v_mov_b32_dpp v11, v10 row_shr:8 row_mask:0xf bank_mask:0xc
	;; [unrolled: 1-line block ×4, first 2 shown]
	v_cmp_eq_u32_e32 vcc, 15, v7
	s_and_b64 exec, exec, vcc
	s_cbranch_execz .LBB189_29
; %bb.25:
	s_load_dwordx2 s[2:3], s[0:1], 0x38
	v_add_f32_e32 v8, v0, v1
	v_and_b32_e32 v1, 0x7fffffff, v4
	v_cmp_eq_u32_e32 vcc, 0, v1
	v_cmp_eq_f32_e64 s[0:1], 0, v5
	v_add_f32_e32 v12, v10, v11
	v_add_f32_e32 v0, v13, v14
	;; [unrolled: 1-line block ×3, first 2 shown]
	s_and_b64 s[0:1], vcc, s[0:1]
	s_and_saveexec_b64 s[4:5], s[0:1]
	s_xor_b64 s[0:1], exec, s[4:5]
	s_cbranch_execz .LBB189_27
; %bb.26:
	v_lshlrev_b32_e32 v4, 1, v6
	v_xor_b32_e32 v14, 0x80000000, v3
	v_ashrrev_i32_e32 v5, 31, v4
	v_mov_b32_e32 v15, v2
	s_waitcnt lgkmcnt(0)
	v_lshl_add_u64 v[16:17], v[4:5], 3, s[2:3]
	v_pk_mul_f32 v[4:5], v[12:13], v[14:15] op_sel_hi:[0,1]
	v_pk_mul_f32 v[6:7], v[10:11], v[14:15] op_sel_hi:[0,1]
	v_pk_fma_f32 v[4:5], v[2:3], v[8:9], v[4:5] op_sel_hi:[1,0,1]
	v_pk_fma_f32 v[6:7], v[2:3], v[0:1], v[6:7] op_sel_hi:[1,0,1]
	global_store_dwordx4 v[16:17], v[4:7], off
                                        ; implicit-def: $vgpr3
                                        ; implicit-def: $vgpr4
                                        ; implicit-def: $vgpr6
                                        ; implicit-def: $vgpr8
                                        ; implicit-def: $vgpr12
                                        ; implicit-def: $vgpr0
                                        ; implicit-def: $vgpr10
.LBB189_27:
	s_andn2_saveexec_b64 s[0:1], s[0:1]
	s_cbranch_execz .LBB189_29
; %bb.28:
	v_lshlrev_b32_e32 v6, 1, v6
	v_ashrrev_i32_e32 v7, 31, v6
	s_waitcnt lgkmcnt(0)
	v_lshl_add_u64 v[6:7], v[6:7], 3, s[2:3]
	global_load_dwordx4 v[14:17], v[6:7], off
	v_xor_b32_e32 v18, 0x80000000, v3
	v_mov_b32_e32 v19, v2
	v_pk_mul_f32 v[12:13], v[12:13], v[18:19] op_sel_hi:[0,1]
	v_pk_mul_f32 v[10:11], v[10:11], v[18:19] op_sel_hi:[0,1]
	v_pk_fma_f32 v[8:9], v[2:3], v[8:9], v[12:13] op_sel_hi:[1,0,1]
	v_pk_fma_f32 v[0:1], v[2:3], v[0:1], v[10:11] op_sel_hi:[1,0,1]
	v_xor_b32_e32 v20, 0x80000000, v5
	v_mov_b32_e32 v21, v4
	s_waitcnt vmcnt(0)
	v_pk_fma_f32 v[2:3], v[4:5], v[14:15], v[8:9] op_sel_hi:[1,0,1]
	v_pk_fma_f32 v[4:5], v[4:5], v[16:17], v[0:1] op_sel_hi:[1,0,1]
	v_mov_b32_e32 v8, v17
	v_pk_fma_f32 v[0:1], v[20:21], v[14:15], v[2:3] op_sel:[0,1,0]
	v_pk_fma_f32 v[2:3], v[20:21], v[8:9], v[4:5] op_sel_hi:[1,0,1]
	global_store_dwordx4 v[6:7], v[0:3], off
.LBB189_29:
	s_endpgm
	.section	.rodata,"a",@progbits
	.p2align	6, 0x0
	.amdhsa_kernel _ZN9rocsparseL19gebsrmvn_2xn_kernelILj128ELj9ELj16E21rocsparse_complex_numIfEEEvi20rocsparse_direction_NS_24const_host_device_scalarIT2_EEPKiS8_PKS5_SA_S6_PS5_21rocsparse_index_base_b
		.amdhsa_group_segment_fixed_size 0
		.amdhsa_private_segment_fixed_size 0
		.amdhsa_kernarg_size 72
		.amdhsa_user_sgpr_count 2
		.amdhsa_user_sgpr_dispatch_ptr 0
		.amdhsa_user_sgpr_queue_ptr 0
		.amdhsa_user_sgpr_kernarg_segment_ptr 1
		.amdhsa_user_sgpr_dispatch_id 0
		.amdhsa_user_sgpr_kernarg_preload_length 0
		.amdhsa_user_sgpr_kernarg_preload_offset 0
		.amdhsa_user_sgpr_private_segment_size 0
		.amdhsa_uses_dynamic_stack 0
		.amdhsa_enable_private_segment 0
		.amdhsa_system_sgpr_workgroup_id_x 1
		.amdhsa_system_sgpr_workgroup_id_y 0
		.amdhsa_system_sgpr_workgroup_id_z 0
		.amdhsa_system_sgpr_workgroup_info 0
		.amdhsa_system_vgpr_workitem_id 0
		.amdhsa_next_free_vgpr 72
		.amdhsa_next_free_sgpr 16
		.amdhsa_accum_offset 72
		.amdhsa_reserve_vcc 1
		.amdhsa_float_round_mode_32 0
		.amdhsa_float_round_mode_16_64 0
		.amdhsa_float_denorm_mode_32 3
		.amdhsa_float_denorm_mode_16_64 3
		.amdhsa_dx10_clamp 1
		.amdhsa_ieee_mode 1
		.amdhsa_fp16_overflow 0
		.amdhsa_tg_split 0
		.amdhsa_exception_fp_ieee_invalid_op 0
		.amdhsa_exception_fp_denorm_src 0
		.amdhsa_exception_fp_ieee_div_zero 0
		.amdhsa_exception_fp_ieee_overflow 0
		.amdhsa_exception_fp_ieee_underflow 0
		.amdhsa_exception_fp_ieee_inexact 0
		.amdhsa_exception_int_div_zero 0
	.end_amdhsa_kernel
	.section	.text._ZN9rocsparseL19gebsrmvn_2xn_kernelILj128ELj9ELj16E21rocsparse_complex_numIfEEEvi20rocsparse_direction_NS_24const_host_device_scalarIT2_EEPKiS8_PKS5_SA_S6_PS5_21rocsparse_index_base_b,"axG",@progbits,_ZN9rocsparseL19gebsrmvn_2xn_kernelILj128ELj9ELj16E21rocsparse_complex_numIfEEEvi20rocsparse_direction_NS_24const_host_device_scalarIT2_EEPKiS8_PKS5_SA_S6_PS5_21rocsparse_index_base_b,comdat
.Lfunc_end189:
	.size	_ZN9rocsparseL19gebsrmvn_2xn_kernelILj128ELj9ELj16E21rocsparse_complex_numIfEEEvi20rocsparse_direction_NS_24const_host_device_scalarIT2_EEPKiS8_PKS5_SA_S6_PS5_21rocsparse_index_base_b, .Lfunc_end189-_ZN9rocsparseL19gebsrmvn_2xn_kernelILj128ELj9ELj16E21rocsparse_complex_numIfEEEvi20rocsparse_direction_NS_24const_host_device_scalarIT2_EEPKiS8_PKS5_SA_S6_PS5_21rocsparse_index_base_b
                                        ; -- End function
	.section	.AMDGPU.csdata,"",@progbits
; Kernel info:
; codeLenInByte = 2816
; NumSgprs: 22
; NumVgprs: 72
; NumAgprs: 0
; TotalNumVgprs: 72
; ScratchSize: 0
; MemoryBound: 0
; FloatMode: 240
; IeeeMode: 1
; LDSByteSize: 0 bytes/workgroup (compile time only)
; SGPRBlocks: 2
; VGPRBlocks: 8
; NumSGPRsForWavesPerEU: 22
; NumVGPRsForWavesPerEU: 72
; AccumOffset: 72
; Occupancy: 7
; WaveLimiterHint : 1
; COMPUTE_PGM_RSRC2:SCRATCH_EN: 0
; COMPUTE_PGM_RSRC2:USER_SGPR: 2
; COMPUTE_PGM_RSRC2:TRAP_HANDLER: 0
; COMPUTE_PGM_RSRC2:TGID_X_EN: 1
; COMPUTE_PGM_RSRC2:TGID_Y_EN: 0
; COMPUTE_PGM_RSRC2:TGID_Z_EN: 0
; COMPUTE_PGM_RSRC2:TIDIG_COMP_CNT: 0
; COMPUTE_PGM_RSRC3_GFX90A:ACCUM_OFFSET: 17
; COMPUTE_PGM_RSRC3_GFX90A:TG_SPLIT: 0
	.section	.text._ZN9rocsparseL19gebsrmvn_2xn_kernelILj128ELj9ELj32E21rocsparse_complex_numIfEEEvi20rocsparse_direction_NS_24const_host_device_scalarIT2_EEPKiS8_PKS5_SA_S6_PS5_21rocsparse_index_base_b,"axG",@progbits,_ZN9rocsparseL19gebsrmvn_2xn_kernelILj128ELj9ELj32E21rocsparse_complex_numIfEEEvi20rocsparse_direction_NS_24const_host_device_scalarIT2_EEPKiS8_PKS5_SA_S6_PS5_21rocsparse_index_base_b,comdat
	.globl	_ZN9rocsparseL19gebsrmvn_2xn_kernelILj128ELj9ELj32E21rocsparse_complex_numIfEEEvi20rocsparse_direction_NS_24const_host_device_scalarIT2_EEPKiS8_PKS5_SA_S6_PS5_21rocsparse_index_base_b ; -- Begin function _ZN9rocsparseL19gebsrmvn_2xn_kernelILj128ELj9ELj32E21rocsparse_complex_numIfEEEvi20rocsparse_direction_NS_24const_host_device_scalarIT2_EEPKiS8_PKS5_SA_S6_PS5_21rocsparse_index_base_b
	.p2align	8
	.type	_ZN9rocsparseL19gebsrmvn_2xn_kernelILj128ELj9ELj32E21rocsparse_complex_numIfEEEvi20rocsparse_direction_NS_24const_host_device_scalarIT2_EEPKiS8_PKS5_SA_S6_PS5_21rocsparse_index_base_b,@function
_ZN9rocsparseL19gebsrmvn_2xn_kernelILj128ELj9ELj32E21rocsparse_complex_numIfEEEvi20rocsparse_direction_NS_24const_host_device_scalarIT2_EEPKiS8_PKS5_SA_S6_PS5_21rocsparse_index_base_b: ; @_ZN9rocsparseL19gebsrmvn_2xn_kernelILj128ELj9ELj32E21rocsparse_complex_numIfEEEvi20rocsparse_direction_NS_24const_host_device_scalarIT2_EEPKiS8_PKS5_SA_S6_PS5_21rocsparse_index_base_b
; %bb.0:
	s_load_dwordx2 s[12:13], s[0:1], 0x40
	s_load_dwordx2 s[8:9], s[0:1], 0x8
	;; [unrolled: 1-line block ×3, first 2 shown]
	s_waitcnt lgkmcnt(0)
	s_bitcmp1_b32 s13, 0
	s_cselect_b64 s[4:5], -1, 0
	s_xor_b64 s[10:11], s[4:5], -1
	s_and_b64 vcc, exec, s[4:5]
	v_mov_b32_e32 v2, s8
	s_cbranch_vccnz .LBB190_2
; %bb.1:
	v_mov_b64_e32 v[2:3], s[8:9]
	flat_load_dword v2, v[2:3]
.LBB190_2:
	v_cndmask_b32_e64 v1, 0, 1, s[10:11]
	v_cmp_ne_u32_e64 s[4:5], 1, v1
	s_andn2_b64 vcc, exec, s[10:11]
	v_mov_b32_e32 v3, s9
	s_cbranch_vccz .LBB190_16
; %bb.3:
	s_and_b64 vcc, exec, s[4:5]
	v_mov_b32_e32 v4, s6
	s_cbranch_vccz .LBB190_17
.LBB190_4:
	s_and_b64 vcc, exec, s[4:5]
	v_mov_b32_e32 v5, s7
	s_cbranch_vccnz .LBB190_6
.LBB190_5:
	v_mov_b64_e32 v[6:7], s[6:7]
	flat_load_dword v5, v[6:7] offset:4
.LBB190_6:
	s_waitcnt vmcnt(0) lgkmcnt(0)
	v_and_b32_e32 v1, 0x7fffffff, v2
	v_cmp_eq_u32_e32 vcc, 0, v1
	v_cmp_eq_f32_e64 s[4:5], 0, v3
	s_and_b64 s[8:9], vcc, s[4:5]
	s_mov_b64 s[4:5], -1
	s_and_saveexec_b64 s[6:7], s[8:9]
; %bb.7:
	v_and_b32_e32 v1, 0x7fffffff, v5
	v_cmp_neq_f32_e32 vcc, 1.0, v4
	v_cmp_ne_u32_e64 s[4:5], 0, v1
	s_or_b64 s[4:5], vcc, s[4:5]
	s_orn2_b64 s[4:5], s[4:5], exec
; %bb.8:
	s_or_b64 exec, exec, s[6:7]
	s_and_saveexec_b64 s[6:7], s[4:5]
	s_cbranch_execz .LBB190_29
; %bb.9:
	s_load_dwordx2 s[14:15], s[0:1], 0x0
	v_lshrrev_b32_e32 v1, 5, v0
	v_lshl_or_b32 v6, s2, 2, v1
	s_waitcnt lgkmcnt(0)
	v_cmp_gt_i32_e32 vcc, s14, v6
	s_and_b64 exec, exec, vcc
	s_cbranch_execz .LBB190_29
; %bb.10:
	s_load_dwordx8 s[4:11], s[0:1], 0x10
	v_ashrrev_i32_e32 v7, 31, v6
	s_cmp_lg_u32 s15, 0
	s_waitcnt lgkmcnt(0)
	v_lshl_add_u64 v[8:9], v[6:7], 2, s[4:5]
	global_load_dwordx2 v[8:9], v[8:9], off
	v_and_b32_e32 v7, 31, v0
	s_waitcnt vmcnt(0)
	v_subrev_u32_e32 v0, s12, v8
	v_subrev_u32_e32 v18, s12, v9
	v_add_u32_e32 v0, v0, v7
	v_cmp_lt_i32_e64 s[2:3], v0, v18
	s_cbranch_scc0 .LBB190_18
; %bb.11:
	v_mov_b32_e32 v11, 0
	v_mov_b32_e32 v10, v11
	v_mov_b32_e32 v9, v11
	v_mov_b32_e32 v8, v11
	s_and_saveexec_b64 s[4:5], s[2:3]
	s_cbranch_execz .LBB190_15
; %bb.12:
	v_mad_u64_u32 v[12:13], s[14:15], v0, 18, 16
	v_mov_b32_e32 v15, 0
	s_mov_b64 s[14:15], 0
	v_mov_b32_e32 v16, v0
	v_mov_b32_e32 v8, v15
	;; [unrolled: 1-line block ×5, first 2 shown]
.LBB190_13:                             ; =>This Inner Loop Header: Depth=1
	v_ashrrev_i32_e32 v17, 31, v16
	v_add_u32_e32 v14, -16, v12
	v_lshl_add_u64 v[24:25], v[16:17], 2, s[6:7]
	v_lshl_add_u64 v[26:27], v[14:15], 3, s[8:9]
	global_load_dword v1, v[24:25], off
	global_load_dwordx4 v[20:23], v[26:27], off
	v_mov_b32_e32 v13, v15
	v_mov_b32_e32 v45, v15
	v_add_u32_e32 v14, -14, v12
	v_lshl_add_u64 v[32:33], v[12:13], 3, s[8:9]
	v_lshl_add_u64 v[34:35], v[14:15], 3, s[8:9]
	global_load_dwordx4 v[24:27], v[32:33], off
	global_load_dwordx4 v[28:31], v[34:35], off
	v_add_u32_e32 v16, 32, v16
	v_cmp_ge_i32_e32 vcc, v16, v18
	s_or_b64 s[14:15], vcc, s[14:15]
	s_waitcnt vmcnt(3)
	v_subrev_u32_e32 v1, s12, v1
	v_lshl_add_u32 v44, v1, 3, v1
	v_lshl_add_u64 v[32:33], v[44:45], 3, s[10:11]
	global_load_dwordx2 v[50:51], v[32:33], off
	v_add_u32_e32 v14, 1, v44
	v_lshl_add_u64 v[32:33], v[14:15], 3, s[10:11]
	global_load_dwordx2 v[52:53], v[32:33], off
	v_add_u32_e32 v14, -12, v12
	v_lshl_add_u64 v[32:33], v[14:15], 3, s[8:9]
	v_add_u32_e32 v14, 2, v44
	v_lshl_add_u64 v[36:37], v[14:15], 3, s[10:11]
	global_load_dwordx4 v[32:35], v[32:33], off
	v_add_u32_e32 v14, -10, v12
	global_load_dwordx2 v[54:55], v[36:37], off
	v_lshl_add_u64 v[36:37], v[14:15], 3, s[8:9]
	v_add_u32_e32 v14, 3, v44
	v_lshl_add_u64 v[40:41], v[14:15], 3, s[10:11]
	v_add_u32_e32 v14, -8, v12
	v_lshl_add_u64 v[58:59], v[14:15], 3, s[8:9]
	v_add_u32_e32 v14, 4, v44
	global_load_dwordx4 v[36:39], v[36:37], off
	v_lshl_add_u64 v[60:61], v[14:15], 3, s[10:11]
	global_load_dwordx2 v[56:57], v[40:41], off
	v_add_u32_e32 v14, -6, v12
	global_load_dwordx4 v[40:43], v[58:59], off
	global_load_dwordx2 v[62:63], v[60:61], off
	v_lshl_add_u64 v[58:59], v[14:15], 3, s[8:9]
	v_add_u32_e32 v14, 5, v44
	s_waitcnt vmcnt(10)
	v_xor_b32_e32 v46, 0x80000000, v23
	v_mov_b32_e32 v47, v22
	v_lshl_add_u64 v[60:61], v[14:15], 3, s[10:11]
	v_add_u32_e32 v14, -4, v12
	s_waitcnt vmcnt(8)
	v_xor_b32_e32 v48, 0x80000000, v31
	v_mov_b32_e32 v49, v30
	s_waitcnt vmcnt(7)
	v_pk_fma_f32 v[22:23], v[22:23], v[50:51], v[8:9] op_sel_hi:[1,0,1]
	v_pk_fma_f32 v[10:11], v[20:21], v[50:51], v[10:11] op_sel_hi:[1,0,1]
	v_pk_fma_f32 v[22:23], v[46:47], v[50:51], v[22:23] op_sel:[0,1,0]
	v_lshl_add_u64 v[46:47], v[14:15], 3, s[8:9]
	v_add_u32_e32 v14, 6, v44
	v_pk_fma_f32 v[20:21], v[20:21], v[50:51], v[10:11] op_sel:[1,1,0] op_sel_hi:[0,1,1] neg_lo:[1,0,0]
	global_load_dwordx4 v[8:11], v[58:59], off
	global_load_dwordx2 v[64:65], v[60:61], off
	v_lshl_add_u64 v[50:51], v[14:15], 3, s[10:11]
	v_add_u32_e32 v14, -2, v12
	s_waitcnt vmcnt(8)
	v_pk_fma_f32 v[20:21], v[28:29], v[52:53], v[20:21] op_sel_hi:[1,0,1]
	v_lshl_add_u64 v[60:61], v[14:15], 3, s[8:9]
	v_add_u32_e32 v14, 7, v44
	v_pk_fma_f32 v[30:31], v[30:31], v[52:53], v[22:23] op_sel_hi:[1,0,1]
	v_pk_fma_f32 v[58:59], v[28:29], v[52:53], v[20:21] op_sel:[1,1,0] op_sel_hi:[0,1,1] neg_lo:[1,0,0]
	v_lshl_add_u64 v[66:67], v[14:15], 3, s[10:11]
	v_add_u32_e32 v14, 8, v44
	global_load_dwordx4 v[20:23], v[46:47], off
	global_load_dwordx2 v[44:45], v[50:51], off
	v_pk_fma_f32 v[46:47], v[48:49], v[52:53], v[30:31] op_sel:[0,1,0]
	global_load_dwordx4 v[28:31], v[60:61], off
	global_load_dwordx2 v[48:49], v[66:67], off
	s_waitcnt vmcnt(11)
	v_xor_b32_e32 v50, 0x80000000, v35
	v_mov_b32_e32 v51, v34
	s_waitcnt vmcnt(10)
	v_pk_fma_f32 v[34:35], v[34:35], v[54:55], v[46:47] op_sel_hi:[1,0,1]
	v_lshl_add_u64 v[46:47], v[14:15], 3, s[10:11]
	global_load_dwordx2 v[46:47], v[46:47], off
	v_pk_fma_f32 v[52:53], v[32:33], v[54:55], v[58:59] op_sel_hi:[1,0,1]
	v_pk_fma_f32 v[34:35], v[50:51], v[54:55], v[34:35] op_sel:[0,1,0]
	v_pk_fma_f32 v[32:33], v[32:33], v[54:55], v[52:53] op_sel:[1,1,0] op_sel_hi:[0,1,1] neg_lo:[1,0,0]
	s_waitcnt vmcnt(10)
	v_xor_b32_e32 v50, 0x80000000, v39
	v_mov_b32_e32 v51, v38
	s_waitcnt vmcnt(9)
	v_pk_fma_f32 v[32:33], v[36:37], v[56:57], v[32:33] op_sel_hi:[1,0,1]
	v_pk_fma_f32 v[34:35], v[38:39], v[56:57], v[34:35] op_sel_hi:[1,0,1]
	v_pk_fma_f32 v[32:33], v[36:37], v[56:57], v[32:33] op_sel:[1,1,0] op_sel_hi:[0,1,1] neg_lo:[1,0,0]
	v_pk_fma_f32 v[34:35], v[50:51], v[56:57], v[34:35] op_sel:[0,1,0]
	s_waitcnt vmcnt(8)
	v_xor_b32_e32 v38, 0x80000000, v43
	v_mov_b32_e32 v39, v42
	s_waitcnt vmcnt(7)
	v_pk_fma_f32 v[32:33], v[40:41], v[62:63], v[32:33] op_sel_hi:[1,0,1]
	v_pk_fma_f32 v[34:35], v[42:43], v[62:63], v[34:35] op_sel_hi:[1,0,1]
	v_pk_fma_f32 v[32:33], v[40:41], v[62:63], v[32:33] op_sel:[1,1,0] op_sel_hi:[0,1,1] neg_lo:[1,0,0]
	v_pk_fma_f32 v[34:35], v[38:39], v[62:63], v[34:35] op_sel:[0,1,0]
	v_xor_b32_e32 v52, 0x80000000, v27
	v_mov_b32_e32 v53, v26
	v_add_u32_e32 v12, 0x240, v12
	s_waitcnt vmcnt(6)
	v_xor_b32_e32 v36, 0x80000000, v11
	v_mov_b32_e32 v37, v10
	s_waitcnt vmcnt(5)
	v_pk_fma_f32 v[32:33], v[8:9], v[64:65], v[32:33] op_sel_hi:[1,0,1]
	v_pk_fma_f32 v[10:11], v[10:11], v[64:65], v[34:35] op_sel_hi:[1,0,1]
	v_pk_fma_f32 v[8:9], v[8:9], v[64:65], v[32:33] op_sel:[1,1,0] op_sel_hi:[0,1,1] neg_lo:[1,0,0]
	v_pk_fma_f32 v[10:11], v[36:37], v[64:65], v[10:11] op_sel:[0,1,0]
	s_waitcnt vmcnt(4)
	v_xor_b32_e32 v34, 0x80000000, v23
	v_mov_b32_e32 v35, v22
	s_waitcnt vmcnt(3)
	v_pk_fma_f32 v[8:9], v[20:21], v[44:45], v[8:9] op_sel_hi:[1,0,1]
	v_pk_fma_f32 v[10:11], v[22:23], v[44:45], v[10:11] op_sel_hi:[1,0,1]
	v_pk_fma_f32 v[8:9], v[20:21], v[44:45], v[8:9] op_sel:[1,1,0] op_sel_hi:[0,1,1] neg_lo:[1,0,0]
	v_pk_fma_f32 v[10:11], v[34:35], v[44:45], v[10:11] op_sel:[0,1,0]
	;; [unrolled: 8-line block ×3, first 2 shown]
	s_waitcnt vmcnt(0)
	v_pk_fma_f32 v[8:9], v[24:25], v[46:47], v[8:9] op_sel_hi:[1,0,1]
	v_pk_fma_f32 v[20:21], v[26:27], v[46:47], v[10:11] op_sel_hi:[1,0,1]
	v_pk_fma_f32 v[10:11], v[24:25], v[46:47], v[8:9] op_sel:[1,1,0] op_sel_hi:[0,1,1] neg_lo:[1,0,0]
	v_pk_fma_f32 v[8:9], v[52:53], v[46:47], v[20:21] op_sel:[0,1,0]
	s_andn2_b64 exec, exec, s[14:15]
	s_cbranch_execnz .LBB190_13
; %bb.14:
	s_or_b64 exec, exec, s[14:15]
.LBB190_15:
	s_or_b64 exec, exec, s[4:5]
	s_cbranch_execz .LBB190_19
	s_branch .LBB190_24
.LBB190_16:
	v_mov_b64_e32 v[4:5], s[8:9]
	flat_load_dword v3, v[4:5] offset:4
	s_and_b64 vcc, exec, s[4:5]
	v_mov_b32_e32 v4, s6
	s_cbranch_vccnz .LBB190_4
.LBB190_17:
	v_mov_b64_e32 v[4:5], s[6:7]
	flat_load_dword v4, v[4:5]
	s_and_b64 vcc, exec, s[4:5]
	v_mov_b32_e32 v5, s7
	s_cbranch_vccz .LBB190_5
	s_branch .LBB190_6
.LBB190_18:
                                        ; implicit-def: $vgpr11
                                        ; implicit-def: $vgpr9
.LBB190_19:
	v_mov_b32_e32 v11, 0
	v_mov_b32_e32 v10, v11
	;; [unrolled: 1-line block ×4, first 2 shown]
	s_and_saveexec_b64 s[4:5], s[2:3]
	s_cbranch_execz .LBB190_23
; %bb.20:
	v_mad_u64_u32 v[12:13], s[2:3], v0, 18, 17
	v_mov_b32_e32 v15, 0
	s_mov_b64 s[2:3], 0
	v_mov_b32_e32 v8, v15
	v_mov_b32_e32 v9, v15
	;; [unrolled: 1-line block ×4, first 2 shown]
.LBB190_21:                             ; =>This Inner Loop Header: Depth=1
	v_ashrrev_i32_e32 v1, 31, v0
	v_subrev_u32_e32 v14, 17, v12
	v_add_u32_e32 v20, -8, v12
	v_mov_b32_e32 v21, v15
	v_mov_b32_e32 v13, v15
	v_lshl_add_u64 v[24:25], v[0:1], 2, s[6:7]
	v_lshl_add_u64 v[26:27], v[14:15], 3, s[8:9]
	v_lshl_add_u64 v[28:29], v[20:21], 3, s[8:9]
	v_lshl_add_u64 v[30:31], v[12:13], 3, s[8:9]
	global_load_dword v1, v[24:25], off
	global_load_dwordx4 v[20:23], v[26:27], off
	global_load_dwordx2 v[32:33], v[28:29], off
	global_load_dwordx2 v[34:35], v[30:31], off
	v_mov_b32_e32 v17, v15
	v_add_u32_e32 v0, 32, v0
	v_cmp_ge_i32_e32 vcc, v0, v18
	s_or_b64 s[2:3], vcc, s[2:3]
	s_waitcnt vmcnt(3)
	v_subrev_u32_e32 v1, s12, v1
	v_lshl_add_u32 v16, v1, 3, v1
	v_lshl_add_u64 v[26:27], v[16:17], 3, s[10:11]
	global_load_dwordx2 v[26:27], v[26:27], off
	v_add_u32_e32 v14, 1, v16
	v_lshl_add_u64 v[28:29], v[14:15], 3, s[10:11]
	global_load_dwordx2 v[28:29], v[28:29], off
	v_add_u32_e32 v14, -7, v12
	v_lshl_add_u64 v[30:31], v[14:15], 3, s[8:9]
	v_add_u32_e32 v14, -15, v12
	v_lshl_add_u64 v[36:37], v[14:15], 3, s[8:9]
	v_add_u32_e32 v14, 2, v16
	v_lshl_add_u64 v[38:39], v[14:15], 3, s[10:11]
	v_add_u32_e32 v14, -6, v12
	global_load_dwordx2 v[40:41], v[36:37], off
	global_load_dwordx2 v[42:43], v[30:31], off
	;; [unrolled: 1-line block ×3, first 2 shown]
	v_lshl_add_u64 v[30:31], v[14:15], 3, s[8:9]
	v_add_u32_e32 v14, -14, v12
	v_lshl_add_u64 v[36:37], v[14:15], 3, s[8:9]
	v_add_u32_e32 v14, 3, v16
	v_lshl_add_u64 v[38:39], v[14:15], 3, s[10:11]
	v_add_u32_e32 v14, -5, v12
	global_load_dwordx2 v[46:47], v[36:37], off
	global_load_dwordx2 v[48:49], v[30:31], off
	global_load_dwordx2 v[50:51], v[38:39], off
	v_lshl_add_u64 v[30:31], v[14:15], 3, s[8:9]
	v_add_u32_e32 v14, -13, v12
	v_lshl_add_u64 v[36:37], v[14:15], 3, s[8:9]
	v_add_u32_e32 v14, 4, v16
	v_lshl_add_u64 v[38:39], v[14:15], 3, s[10:11]
	v_add_u32_e32 v14, -4, v12
	global_load_dwordx2 v[30:31], v[30:31], off
	s_nop 0
	global_load_dwordx2 v[52:53], v[36:37], off
	global_load_dwordx2 v[54:55], v[38:39], off
	v_lshl_add_u64 v[36:37], v[14:15], 3, s[8:9]
	v_add_u32_e32 v14, -12, v12
	v_lshl_add_u64 v[38:39], v[14:15], 3, s[8:9]
	v_add_u32_e32 v14, 5, v16
	v_lshl_add_u64 v[56:57], v[14:15], 3, s[10:11]
	v_add_u32_e32 v14, -3, v12
	global_load_dwordx2 v[58:59], v[38:39], off
	global_load_dwordx2 v[60:61], v[36:37], off
	;; [unrolled: 1-line block ×3, first 2 shown]
	v_lshl_add_u64 v[36:37], v[14:15], 3, s[8:9]
	v_add_u32_e32 v14, -11, v12
	v_lshl_add_u64 v[38:39], v[14:15], 3, s[8:9]
	v_add_u32_e32 v14, 6, v16
	v_lshl_add_u64 v[56:57], v[14:15], 3, s[10:11]
	v_add_u32_e32 v14, -2, v12
	global_load_dwordx2 v[64:65], v[38:39], off
	global_load_dwordx2 v[66:67], v[36:37], off
	;; [unrolled: 1-line block ×3, first 2 shown]
	v_lshl_add_u64 v[36:37], v[14:15], 3, s[8:9]
	v_add_u32_e32 v14, -10, v12
	s_waitcnt vmcnt(19)
	v_xor_b32_e32 v24, 0x80000000, v23
	v_mov_b32_e32 v25, v22
	s_waitcnt vmcnt(16)
	v_pk_fma_f32 v[8:9], v[32:33], v[26:27], v[8:9] op_sel_hi:[1,0,1]
	s_nop 0
	v_pk_fma_f32 v[8:9], v[32:33], v[26:27], v[8:9] op_sel:[1,1,0] op_sel_hi:[0,1,1] neg_lo:[1,0,0]
	v_lshl_add_u64 v[32:33], v[14:15], 3, s[8:9]
	v_add_u32_e32 v14, 7, v16
	v_pk_fma_f32 v[10:11], v[20:21], v[26:27], v[10:11] op_sel_hi:[1,0,1]
	s_waitcnt vmcnt(13)
	v_pk_fma_f32 v[8:9], v[42:43], v[28:29], v[8:9] op_sel_hi:[1,0,1]
	v_pk_fma_f32 v[10:11], v[20:21], v[26:27], v[10:11] op_sel:[1,1,0] op_sel_hi:[0,1,1] neg_lo:[1,0,0]
	v_lshl_add_u64 v[20:21], v[14:15], 3, s[10:11]
	v_add_u32_e32 v14, -1, v12
	global_load_dwordx2 v[26:27], v[32:33], off
	global_load_dwordx2 v[38:39], v[36:37], off
	;; [unrolled: 1-line block ×3, first 2 shown]
	v_lshl_add_u64 v[20:21], v[14:15], 3, s[8:9]
	v_add_u32_e32 v14, -9, v12
	v_pk_fma_f32 v[10:11], v[22:23], v[28:29], v[10:11] op_sel_hi:[1,0,1]
	v_lshl_add_u64 v[22:23], v[14:15], 3, s[8:9]
	v_add_u32_e32 v14, 8, v16
	v_lshl_add_u64 v[16:17], v[14:15], 3, s[10:11]
	global_load_dwordx2 v[32:33], v[22:23], off
	global_load_dwordx2 v[36:37], v[20:21], off
	;; [unrolled: 1-line block ×3, first 2 shown]
	v_pk_fma_f32 v[10:11], v[24:25], v[28:29], v[10:11] op_sel:[0,1,0]
	v_pk_fma_f32 v[8:9], v[42:43], v[28:29], v[8:9] op_sel:[1,1,0] op_sel_hi:[0,1,1] neg_lo:[1,0,0]
	s_waitcnt vmcnt(18)
	v_pk_fma_f32 v[10:11], v[40:41], v[44:45], v[10:11] op_sel_hi:[1,0,1]
	s_waitcnt vmcnt(16)
	v_pk_fma_f32 v[8:9], v[48:49], v[44:45], v[8:9] op_sel_hi:[1,0,1]
	v_pk_fma_f32 v[10:11], v[40:41], v[44:45], v[10:11] op_sel:[1,1,0] op_sel_hi:[0,1,1] neg_lo:[1,0,0]
	v_pk_fma_f32 v[8:9], v[48:49], v[44:45], v[8:9] op_sel:[1,1,0] op_sel_hi:[0,1,1] neg_lo:[1,0,0]
	s_waitcnt vmcnt(15)
	v_pk_fma_f32 v[10:11], v[46:47], v[50:51], v[10:11] op_sel_hi:[1,0,1]
	s_waitcnt vmcnt(14)
	v_pk_fma_f32 v[8:9], v[30:31], v[50:51], v[8:9] op_sel_hi:[1,0,1]
	v_pk_fma_f32 v[10:11], v[46:47], v[50:51], v[10:11] op_sel:[1,1,0] op_sel_hi:[0,1,1] neg_lo:[1,0,0]
	;; [unrolled: 6-line block ×3, first 2 shown]
	v_pk_fma_f32 v[8:9], v[60:61], v[54:55], v[8:9] op_sel:[1,1,0] op_sel_hi:[0,1,1] neg_lo:[1,0,0]
	s_waitcnt vmcnt(9)
	v_pk_fma_f32 v[10:11], v[58:59], v[62:63], v[10:11] op_sel_hi:[1,0,1]
	v_add_u32_e32 v12, 0x240, v12
	v_pk_fma_f32 v[10:11], v[58:59], v[62:63], v[10:11] op_sel:[1,1,0] op_sel_hi:[0,1,1] neg_lo:[1,0,0]
	s_waitcnt vmcnt(7)
	v_pk_fma_f32 v[8:9], v[66:67], v[62:63], v[8:9] op_sel_hi:[1,0,1]
	s_waitcnt vmcnt(6)
	v_pk_fma_f32 v[10:11], v[64:65], v[68:69], v[10:11] op_sel_hi:[1,0,1]
	v_pk_fma_f32 v[8:9], v[66:67], v[62:63], v[8:9] op_sel:[1,1,0] op_sel_hi:[0,1,1] neg_lo:[1,0,0]
	v_pk_fma_f32 v[10:11], v[64:65], v[68:69], v[10:11] op_sel:[1,1,0] op_sel_hi:[0,1,1] neg_lo:[1,0,0]
	s_waitcnt vmcnt(4)
	v_pk_fma_f32 v[8:9], v[38:39], v[68:69], v[8:9] op_sel_hi:[1,0,1]
	s_nop 0
	v_pk_fma_f32 v[8:9], v[38:39], v[68:69], v[8:9] op_sel:[1,1,0] op_sel_hi:[0,1,1] neg_lo:[1,0,0]
	s_waitcnt vmcnt(3)
	v_pk_fma_f32 v[10:11], v[26:27], v[56:57], v[10:11] op_sel_hi:[1,0,1]
	s_waitcnt vmcnt(1)
	v_pk_fma_f32 v[8:9], v[36:37], v[56:57], v[8:9] op_sel_hi:[1,0,1]
	v_pk_fma_f32 v[10:11], v[26:27], v[56:57], v[10:11] op_sel:[1,1,0] op_sel_hi:[0,1,1] neg_lo:[1,0,0]
	v_pk_fma_f32 v[8:9], v[36:37], v[56:57], v[8:9] op_sel:[1,1,0] op_sel_hi:[0,1,1] neg_lo:[1,0,0]
	s_waitcnt vmcnt(0)
	v_pk_fma_f32 v[10:11], v[32:33], v[70:71], v[10:11] op_sel_hi:[1,0,1]
	v_pk_fma_f32 v[8:9], v[34:35], v[70:71], v[8:9] op_sel_hi:[1,0,1]
	v_pk_fma_f32 v[10:11], v[32:33], v[70:71], v[10:11] op_sel:[1,1,0] op_sel_hi:[0,1,1] neg_lo:[1,0,0]
	v_pk_fma_f32 v[8:9], v[34:35], v[70:71], v[8:9] op_sel:[1,1,0] op_sel_hi:[0,1,1] neg_lo:[1,0,0]
	s_andn2_b64 exec, exec, s[2:3]
	s_cbranch_execnz .LBB190_21
; %bb.22:
	s_or_b64 exec, exec, s[2:3]
.LBB190_23:
	s_or_b64 exec, exec, s[4:5]
.LBB190_24:
	v_mov_b32_dpp v12, v8 row_shr:1 row_mask:0xf bank_mask:0xf
	v_add_f32_e32 v8, v8, v12
	v_mov_b32_dpp v0, v10 row_shr:1 row_mask:0xf bank_mask:0xf
	v_add_f32_e32 v0, v10, v0
	;; [unrolled: 2-line block ×5, first 2 shown]
	v_mov_b32_dpp v1, v0 row_shr:2 row_mask:0xf bank_mask:0xf
	v_mov_b32_dpp v11, v10 row_shr:2 row_mask:0xf bank_mask:0xf
	;; [unrolled: 1-line block ×3, first 2 shown]
	v_add_f32_e32 v13, v8, v12
	v_mov_b32_dpp v8, v9 row_shr:1 row_mask:0xf bank_mask:0xf
	v_add_f32_e32 v8, v9, v8
	v_add_f32_e32 v0, v0, v1
	;; [unrolled: 1-line block ×3, first 2 shown]
	v_mov_b32_dpp v9, v8 row_shr:2 row_mask:0xf bank_mask:0xf
	v_add_f32_e32 v8, v8, v9
	v_mov_b32_dpp v1, v0 row_shr:4 row_mask:0xf bank_mask:0xe
	v_mov_b32_dpp v11, v10 row_shr:4 row_mask:0xf bank_mask:0xe
	;; [unrolled: 1-line block ×3, first 2 shown]
	v_add_f32_e32 v0, v0, v1
	v_add_f32_e32 v10, v10, v11
	;; [unrolled: 1-line block ×3, first 2 shown]
	v_mov_b32_dpp v1, v0 row_shr:8 row_mask:0xf bank_mask:0xc
	v_mov_b32_dpp v11, v10 row_shr:8 row_mask:0xf bank_mask:0xc
	;; [unrolled: 1-line block ×3, first 2 shown]
	v_add_f32_e32 v0, v0, v1
	v_add_f32_e32 v10, v10, v11
	;; [unrolled: 1-line block ×3, first 2 shown]
	v_mov_b32_dpp v1, v0 row_bcast:15 row_mask:0xa bank_mask:0xf
	v_mov_b32_dpp v11, v10 row_bcast:15 row_mask:0xa bank_mask:0xf
	;; [unrolled: 1-line block ×4, first 2 shown]
	v_cmp_eq_u32_e32 vcc, 31, v7
	s_and_b64 exec, exec, vcc
	s_cbranch_execz .LBB190_29
; %bb.25:
	s_load_dwordx2 s[2:3], s[0:1], 0x38
	v_add_f32_e32 v8, v0, v1
	v_and_b32_e32 v1, 0x7fffffff, v4
	v_cmp_eq_u32_e32 vcc, 0, v1
	v_cmp_eq_f32_e64 s[0:1], 0, v5
	v_add_f32_e32 v12, v10, v11
	v_add_f32_e32 v0, v13, v14
	;; [unrolled: 1-line block ×3, first 2 shown]
	s_and_b64 s[0:1], vcc, s[0:1]
	s_and_saveexec_b64 s[4:5], s[0:1]
	s_xor_b64 s[0:1], exec, s[4:5]
	s_cbranch_execz .LBB190_27
; %bb.26:
	v_lshlrev_b32_e32 v4, 1, v6
	v_xor_b32_e32 v14, 0x80000000, v3
	v_ashrrev_i32_e32 v5, 31, v4
	v_mov_b32_e32 v15, v2
	s_waitcnt lgkmcnt(0)
	v_lshl_add_u64 v[16:17], v[4:5], 3, s[2:3]
	v_pk_mul_f32 v[4:5], v[12:13], v[14:15] op_sel_hi:[0,1]
	v_pk_mul_f32 v[6:7], v[10:11], v[14:15] op_sel_hi:[0,1]
	v_pk_fma_f32 v[4:5], v[2:3], v[8:9], v[4:5] op_sel_hi:[1,0,1]
	v_pk_fma_f32 v[6:7], v[2:3], v[0:1], v[6:7] op_sel_hi:[1,0,1]
	global_store_dwordx4 v[16:17], v[4:7], off
                                        ; implicit-def: $vgpr3
                                        ; implicit-def: $vgpr4
                                        ; implicit-def: $vgpr6
                                        ; implicit-def: $vgpr8
                                        ; implicit-def: $vgpr12
                                        ; implicit-def: $vgpr0
                                        ; implicit-def: $vgpr10
.LBB190_27:
	s_andn2_saveexec_b64 s[0:1], s[0:1]
	s_cbranch_execz .LBB190_29
; %bb.28:
	v_lshlrev_b32_e32 v6, 1, v6
	v_ashrrev_i32_e32 v7, 31, v6
	s_waitcnt lgkmcnt(0)
	v_lshl_add_u64 v[6:7], v[6:7], 3, s[2:3]
	global_load_dwordx4 v[14:17], v[6:7], off
	v_xor_b32_e32 v18, 0x80000000, v3
	v_mov_b32_e32 v19, v2
	v_pk_mul_f32 v[12:13], v[12:13], v[18:19] op_sel_hi:[0,1]
	v_pk_mul_f32 v[10:11], v[10:11], v[18:19] op_sel_hi:[0,1]
	v_pk_fma_f32 v[8:9], v[2:3], v[8:9], v[12:13] op_sel_hi:[1,0,1]
	v_pk_fma_f32 v[0:1], v[2:3], v[0:1], v[10:11] op_sel_hi:[1,0,1]
	v_xor_b32_e32 v20, 0x80000000, v5
	v_mov_b32_e32 v21, v4
	s_waitcnt vmcnt(0)
	v_pk_fma_f32 v[2:3], v[4:5], v[14:15], v[8:9] op_sel_hi:[1,0,1]
	v_pk_fma_f32 v[4:5], v[4:5], v[16:17], v[0:1] op_sel_hi:[1,0,1]
	v_mov_b32_e32 v8, v17
	v_pk_fma_f32 v[0:1], v[20:21], v[14:15], v[2:3] op_sel:[0,1,0]
	v_pk_fma_f32 v[2:3], v[20:21], v[8:9], v[4:5] op_sel_hi:[1,0,1]
	global_store_dwordx4 v[6:7], v[0:3], off
.LBB190_29:
	s_endpgm
	.section	.rodata,"a",@progbits
	.p2align	6, 0x0
	.amdhsa_kernel _ZN9rocsparseL19gebsrmvn_2xn_kernelILj128ELj9ELj32E21rocsparse_complex_numIfEEEvi20rocsparse_direction_NS_24const_host_device_scalarIT2_EEPKiS8_PKS5_SA_S6_PS5_21rocsparse_index_base_b
		.amdhsa_group_segment_fixed_size 0
		.amdhsa_private_segment_fixed_size 0
		.amdhsa_kernarg_size 72
		.amdhsa_user_sgpr_count 2
		.amdhsa_user_sgpr_dispatch_ptr 0
		.amdhsa_user_sgpr_queue_ptr 0
		.amdhsa_user_sgpr_kernarg_segment_ptr 1
		.amdhsa_user_sgpr_dispatch_id 0
		.amdhsa_user_sgpr_kernarg_preload_length 0
		.amdhsa_user_sgpr_kernarg_preload_offset 0
		.amdhsa_user_sgpr_private_segment_size 0
		.amdhsa_uses_dynamic_stack 0
		.amdhsa_enable_private_segment 0
		.amdhsa_system_sgpr_workgroup_id_x 1
		.amdhsa_system_sgpr_workgroup_id_y 0
		.amdhsa_system_sgpr_workgroup_id_z 0
		.amdhsa_system_sgpr_workgroup_info 0
		.amdhsa_system_vgpr_workitem_id 0
		.amdhsa_next_free_vgpr 72
		.amdhsa_next_free_sgpr 16
		.amdhsa_accum_offset 72
		.amdhsa_reserve_vcc 1
		.amdhsa_float_round_mode_32 0
		.amdhsa_float_round_mode_16_64 0
		.amdhsa_float_denorm_mode_32 3
		.amdhsa_float_denorm_mode_16_64 3
		.amdhsa_dx10_clamp 1
		.amdhsa_ieee_mode 1
		.amdhsa_fp16_overflow 0
		.amdhsa_tg_split 0
		.amdhsa_exception_fp_ieee_invalid_op 0
		.amdhsa_exception_fp_denorm_src 0
		.amdhsa_exception_fp_ieee_div_zero 0
		.amdhsa_exception_fp_ieee_overflow 0
		.amdhsa_exception_fp_ieee_underflow 0
		.amdhsa_exception_fp_ieee_inexact 0
		.amdhsa_exception_int_div_zero 0
	.end_amdhsa_kernel
	.section	.text._ZN9rocsparseL19gebsrmvn_2xn_kernelILj128ELj9ELj32E21rocsparse_complex_numIfEEEvi20rocsparse_direction_NS_24const_host_device_scalarIT2_EEPKiS8_PKS5_SA_S6_PS5_21rocsparse_index_base_b,"axG",@progbits,_ZN9rocsparseL19gebsrmvn_2xn_kernelILj128ELj9ELj32E21rocsparse_complex_numIfEEEvi20rocsparse_direction_NS_24const_host_device_scalarIT2_EEPKiS8_PKS5_SA_S6_PS5_21rocsparse_index_base_b,comdat
.Lfunc_end190:
	.size	_ZN9rocsparseL19gebsrmvn_2xn_kernelILj128ELj9ELj32E21rocsparse_complex_numIfEEEvi20rocsparse_direction_NS_24const_host_device_scalarIT2_EEPKiS8_PKS5_SA_S6_PS5_21rocsparse_index_base_b, .Lfunc_end190-_ZN9rocsparseL19gebsrmvn_2xn_kernelILj128ELj9ELj32E21rocsparse_complex_numIfEEEvi20rocsparse_direction_NS_24const_host_device_scalarIT2_EEPKiS8_PKS5_SA_S6_PS5_21rocsparse_index_base_b
                                        ; -- End function
	.section	.AMDGPU.csdata,"",@progbits
; Kernel info:
; codeLenInByte = 2864
; NumSgprs: 22
; NumVgprs: 72
; NumAgprs: 0
; TotalNumVgprs: 72
; ScratchSize: 0
; MemoryBound: 0
; FloatMode: 240
; IeeeMode: 1
; LDSByteSize: 0 bytes/workgroup (compile time only)
; SGPRBlocks: 2
; VGPRBlocks: 8
; NumSGPRsForWavesPerEU: 22
; NumVGPRsForWavesPerEU: 72
; AccumOffset: 72
; Occupancy: 7
; WaveLimiterHint : 1
; COMPUTE_PGM_RSRC2:SCRATCH_EN: 0
; COMPUTE_PGM_RSRC2:USER_SGPR: 2
; COMPUTE_PGM_RSRC2:TRAP_HANDLER: 0
; COMPUTE_PGM_RSRC2:TGID_X_EN: 1
; COMPUTE_PGM_RSRC2:TGID_Y_EN: 0
; COMPUTE_PGM_RSRC2:TGID_Z_EN: 0
; COMPUTE_PGM_RSRC2:TIDIG_COMP_CNT: 0
; COMPUTE_PGM_RSRC3_GFX90A:ACCUM_OFFSET: 17
; COMPUTE_PGM_RSRC3_GFX90A:TG_SPLIT: 0
	.section	.text._ZN9rocsparseL19gebsrmvn_2xn_kernelILj128ELj9ELj64E21rocsparse_complex_numIfEEEvi20rocsparse_direction_NS_24const_host_device_scalarIT2_EEPKiS8_PKS5_SA_S6_PS5_21rocsparse_index_base_b,"axG",@progbits,_ZN9rocsparseL19gebsrmvn_2xn_kernelILj128ELj9ELj64E21rocsparse_complex_numIfEEEvi20rocsparse_direction_NS_24const_host_device_scalarIT2_EEPKiS8_PKS5_SA_S6_PS5_21rocsparse_index_base_b,comdat
	.globl	_ZN9rocsparseL19gebsrmvn_2xn_kernelILj128ELj9ELj64E21rocsparse_complex_numIfEEEvi20rocsparse_direction_NS_24const_host_device_scalarIT2_EEPKiS8_PKS5_SA_S6_PS5_21rocsparse_index_base_b ; -- Begin function _ZN9rocsparseL19gebsrmvn_2xn_kernelILj128ELj9ELj64E21rocsparse_complex_numIfEEEvi20rocsparse_direction_NS_24const_host_device_scalarIT2_EEPKiS8_PKS5_SA_S6_PS5_21rocsparse_index_base_b
	.p2align	8
	.type	_ZN9rocsparseL19gebsrmvn_2xn_kernelILj128ELj9ELj64E21rocsparse_complex_numIfEEEvi20rocsparse_direction_NS_24const_host_device_scalarIT2_EEPKiS8_PKS5_SA_S6_PS5_21rocsparse_index_base_b,@function
_ZN9rocsparseL19gebsrmvn_2xn_kernelILj128ELj9ELj64E21rocsparse_complex_numIfEEEvi20rocsparse_direction_NS_24const_host_device_scalarIT2_EEPKiS8_PKS5_SA_S6_PS5_21rocsparse_index_base_b: ; @_ZN9rocsparseL19gebsrmvn_2xn_kernelILj128ELj9ELj64E21rocsparse_complex_numIfEEEvi20rocsparse_direction_NS_24const_host_device_scalarIT2_EEPKiS8_PKS5_SA_S6_PS5_21rocsparse_index_base_b
; %bb.0:
	s_load_dwordx2 s[12:13], s[0:1], 0x40
	s_load_dwordx2 s[8:9], s[0:1], 0x8
	s_load_dwordx2 s[6:7], s[0:1], 0x30
	s_waitcnt lgkmcnt(0)
	s_bitcmp1_b32 s13, 0
	s_cselect_b64 s[4:5], -1, 0
	s_xor_b64 s[10:11], s[4:5], -1
	s_and_b64 vcc, exec, s[4:5]
	v_mov_b32_e32 v2, s8
	s_cbranch_vccnz .LBB191_2
; %bb.1:
	v_mov_b64_e32 v[2:3], s[8:9]
	flat_load_dword v2, v[2:3]
.LBB191_2:
	v_cndmask_b32_e64 v1, 0, 1, s[10:11]
	v_cmp_ne_u32_e64 s[4:5], 1, v1
	s_andn2_b64 vcc, exec, s[10:11]
	v_mov_b32_e32 v3, s9
	s_cbranch_vccz .LBB191_16
; %bb.3:
	s_and_b64 vcc, exec, s[4:5]
	v_mov_b32_e32 v4, s6
	s_cbranch_vccz .LBB191_17
.LBB191_4:
	s_and_b64 vcc, exec, s[4:5]
	v_mov_b32_e32 v5, s7
	s_cbranch_vccnz .LBB191_6
.LBB191_5:
	v_mov_b64_e32 v[6:7], s[6:7]
	flat_load_dword v5, v[6:7] offset:4
.LBB191_6:
	s_waitcnt vmcnt(0) lgkmcnt(0)
	v_and_b32_e32 v1, 0x7fffffff, v2
	v_cmp_eq_u32_e32 vcc, 0, v1
	v_cmp_eq_f32_e64 s[4:5], 0, v3
	s_and_b64 s[8:9], vcc, s[4:5]
	s_mov_b64 s[4:5], -1
	s_and_saveexec_b64 s[6:7], s[8:9]
; %bb.7:
	v_and_b32_e32 v1, 0x7fffffff, v5
	v_cmp_neq_f32_e32 vcc, 1.0, v4
	v_cmp_ne_u32_e64 s[4:5], 0, v1
	s_or_b64 s[4:5], vcc, s[4:5]
	s_orn2_b64 s[4:5], s[4:5], exec
; %bb.8:
	s_or_b64 exec, exec, s[6:7]
	s_and_saveexec_b64 s[6:7], s[4:5]
	s_cbranch_execz .LBB191_29
; %bb.9:
	s_load_dwordx2 s[14:15], s[0:1], 0x0
	v_lshrrev_b32_e32 v1, 6, v0
	v_lshl_or_b32 v6, s2, 1, v1
	s_waitcnt lgkmcnt(0)
	v_cmp_gt_i32_e32 vcc, s14, v6
	s_and_b64 exec, exec, vcc
	s_cbranch_execz .LBB191_29
; %bb.10:
	s_load_dwordx8 s[4:11], s[0:1], 0x10
	v_ashrrev_i32_e32 v7, 31, v6
	s_cmp_lg_u32 s15, 0
	s_waitcnt lgkmcnt(0)
	v_lshl_add_u64 v[8:9], v[6:7], 2, s[4:5]
	global_load_dwordx2 v[8:9], v[8:9], off
	v_and_b32_e32 v7, 63, v0
	s_waitcnt vmcnt(0)
	v_subrev_u32_e32 v0, s12, v8
	v_subrev_u32_e32 v18, s12, v9
	v_add_u32_e32 v0, v0, v7
	v_cmp_lt_i32_e64 s[2:3], v0, v18
	s_cbranch_scc0 .LBB191_18
; %bb.11:
	v_mov_b32_e32 v11, 0
	v_mov_b32_e32 v10, v11
	;; [unrolled: 1-line block ×4, first 2 shown]
	s_and_saveexec_b64 s[4:5], s[2:3]
	s_cbranch_execz .LBB191_15
; %bb.12:
	v_mad_u64_u32 v[12:13], s[14:15], v0, 18, 16
	v_mov_b32_e32 v15, 0
	s_mov_b64 s[14:15], 0
	v_mov_b32_e32 v16, v0
	v_mov_b32_e32 v8, v15
	;; [unrolled: 1-line block ×5, first 2 shown]
.LBB191_13:                             ; =>This Inner Loop Header: Depth=1
	v_ashrrev_i32_e32 v17, 31, v16
	v_add_u32_e32 v14, -16, v12
	v_lshl_add_u64 v[24:25], v[16:17], 2, s[6:7]
	v_lshl_add_u64 v[26:27], v[14:15], 3, s[8:9]
	global_load_dword v1, v[24:25], off
	global_load_dwordx4 v[20:23], v[26:27], off
	v_mov_b32_e32 v13, v15
	v_mov_b32_e32 v45, v15
	v_add_u32_e32 v14, -14, v12
	v_lshl_add_u64 v[32:33], v[12:13], 3, s[8:9]
	v_lshl_add_u64 v[34:35], v[14:15], 3, s[8:9]
	global_load_dwordx4 v[24:27], v[32:33], off
	global_load_dwordx4 v[28:31], v[34:35], off
	v_add_u32_e32 v16, 64, v16
	v_cmp_ge_i32_e32 vcc, v16, v18
	s_or_b64 s[14:15], vcc, s[14:15]
	s_waitcnt vmcnt(3)
	v_subrev_u32_e32 v1, s12, v1
	v_lshl_add_u32 v44, v1, 3, v1
	v_lshl_add_u64 v[32:33], v[44:45], 3, s[10:11]
	global_load_dwordx2 v[50:51], v[32:33], off
	v_add_u32_e32 v14, 1, v44
	v_lshl_add_u64 v[32:33], v[14:15], 3, s[10:11]
	global_load_dwordx2 v[52:53], v[32:33], off
	v_add_u32_e32 v14, -12, v12
	v_lshl_add_u64 v[32:33], v[14:15], 3, s[8:9]
	v_add_u32_e32 v14, 2, v44
	v_lshl_add_u64 v[36:37], v[14:15], 3, s[10:11]
	global_load_dwordx4 v[32:35], v[32:33], off
	v_add_u32_e32 v14, -10, v12
	global_load_dwordx2 v[54:55], v[36:37], off
	v_lshl_add_u64 v[36:37], v[14:15], 3, s[8:9]
	v_add_u32_e32 v14, 3, v44
	v_lshl_add_u64 v[40:41], v[14:15], 3, s[10:11]
	v_add_u32_e32 v14, -8, v12
	v_lshl_add_u64 v[58:59], v[14:15], 3, s[8:9]
	v_add_u32_e32 v14, 4, v44
	global_load_dwordx4 v[36:39], v[36:37], off
	v_lshl_add_u64 v[60:61], v[14:15], 3, s[10:11]
	global_load_dwordx2 v[56:57], v[40:41], off
	v_add_u32_e32 v14, -6, v12
	global_load_dwordx4 v[40:43], v[58:59], off
	global_load_dwordx2 v[62:63], v[60:61], off
	v_lshl_add_u64 v[58:59], v[14:15], 3, s[8:9]
	v_add_u32_e32 v14, 5, v44
	s_waitcnt vmcnt(10)
	v_xor_b32_e32 v46, 0x80000000, v23
	v_mov_b32_e32 v47, v22
	v_lshl_add_u64 v[60:61], v[14:15], 3, s[10:11]
	v_add_u32_e32 v14, -4, v12
	s_waitcnt vmcnt(8)
	v_xor_b32_e32 v48, 0x80000000, v31
	v_mov_b32_e32 v49, v30
	s_waitcnt vmcnt(7)
	v_pk_fma_f32 v[22:23], v[22:23], v[50:51], v[8:9] op_sel_hi:[1,0,1]
	v_pk_fma_f32 v[10:11], v[20:21], v[50:51], v[10:11] op_sel_hi:[1,0,1]
	v_pk_fma_f32 v[22:23], v[46:47], v[50:51], v[22:23] op_sel:[0,1,0]
	v_lshl_add_u64 v[46:47], v[14:15], 3, s[8:9]
	v_add_u32_e32 v14, 6, v44
	v_pk_fma_f32 v[20:21], v[20:21], v[50:51], v[10:11] op_sel:[1,1,0] op_sel_hi:[0,1,1] neg_lo:[1,0,0]
	global_load_dwordx4 v[8:11], v[58:59], off
	global_load_dwordx2 v[64:65], v[60:61], off
	v_lshl_add_u64 v[50:51], v[14:15], 3, s[10:11]
	v_add_u32_e32 v14, -2, v12
	s_waitcnt vmcnt(8)
	v_pk_fma_f32 v[20:21], v[28:29], v[52:53], v[20:21] op_sel_hi:[1,0,1]
	v_lshl_add_u64 v[60:61], v[14:15], 3, s[8:9]
	v_add_u32_e32 v14, 7, v44
	v_pk_fma_f32 v[30:31], v[30:31], v[52:53], v[22:23] op_sel_hi:[1,0,1]
	v_pk_fma_f32 v[58:59], v[28:29], v[52:53], v[20:21] op_sel:[1,1,0] op_sel_hi:[0,1,1] neg_lo:[1,0,0]
	v_lshl_add_u64 v[66:67], v[14:15], 3, s[10:11]
	v_add_u32_e32 v14, 8, v44
	global_load_dwordx4 v[20:23], v[46:47], off
	global_load_dwordx2 v[44:45], v[50:51], off
	v_pk_fma_f32 v[46:47], v[48:49], v[52:53], v[30:31] op_sel:[0,1,0]
	global_load_dwordx4 v[28:31], v[60:61], off
	global_load_dwordx2 v[48:49], v[66:67], off
	s_waitcnt vmcnt(11)
	v_xor_b32_e32 v50, 0x80000000, v35
	v_mov_b32_e32 v51, v34
	s_waitcnt vmcnt(10)
	v_pk_fma_f32 v[34:35], v[34:35], v[54:55], v[46:47] op_sel_hi:[1,0,1]
	v_lshl_add_u64 v[46:47], v[14:15], 3, s[10:11]
	global_load_dwordx2 v[46:47], v[46:47], off
	v_pk_fma_f32 v[52:53], v[32:33], v[54:55], v[58:59] op_sel_hi:[1,0,1]
	v_pk_fma_f32 v[34:35], v[50:51], v[54:55], v[34:35] op_sel:[0,1,0]
	v_pk_fma_f32 v[32:33], v[32:33], v[54:55], v[52:53] op_sel:[1,1,0] op_sel_hi:[0,1,1] neg_lo:[1,0,0]
	s_waitcnt vmcnt(10)
	v_xor_b32_e32 v50, 0x80000000, v39
	v_mov_b32_e32 v51, v38
	s_waitcnt vmcnt(9)
	v_pk_fma_f32 v[32:33], v[36:37], v[56:57], v[32:33] op_sel_hi:[1,0,1]
	v_pk_fma_f32 v[34:35], v[38:39], v[56:57], v[34:35] op_sel_hi:[1,0,1]
	v_pk_fma_f32 v[32:33], v[36:37], v[56:57], v[32:33] op_sel:[1,1,0] op_sel_hi:[0,1,1] neg_lo:[1,0,0]
	v_pk_fma_f32 v[34:35], v[50:51], v[56:57], v[34:35] op_sel:[0,1,0]
	s_waitcnt vmcnt(8)
	v_xor_b32_e32 v38, 0x80000000, v43
	v_mov_b32_e32 v39, v42
	s_waitcnt vmcnt(7)
	v_pk_fma_f32 v[32:33], v[40:41], v[62:63], v[32:33] op_sel_hi:[1,0,1]
	v_pk_fma_f32 v[34:35], v[42:43], v[62:63], v[34:35] op_sel_hi:[1,0,1]
	v_pk_fma_f32 v[32:33], v[40:41], v[62:63], v[32:33] op_sel:[1,1,0] op_sel_hi:[0,1,1] neg_lo:[1,0,0]
	v_pk_fma_f32 v[34:35], v[38:39], v[62:63], v[34:35] op_sel:[0,1,0]
	v_xor_b32_e32 v52, 0x80000000, v27
	v_mov_b32_e32 v53, v26
	v_add_u32_e32 v12, 0x480, v12
	s_waitcnt vmcnt(6)
	v_xor_b32_e32 v36, 0x80000000, v11
	v_mov_b32_e32 v37, v10
	s_waitcnt vmcnt(5)
	v_pk_fma_f32 v[32:33], v[8:9], v[64:65], v[32:33] op_sel_hi:[1,0,1]
	v_pk_fma_f32 v[10:11], v[10:11], v[64:65], v[34:35] op_sel_hi:[1,0,1]
	v_pk_fma_f32 v[8:9], v[8:9], v[64:65], v[32:33] op_sel:[1,1,0] op_sel_hi:[0,1,1] neg_lo:[1,0,0]
	v_pk_fma_f32 v[10:11], v[36:37], v[64:65], v[10:11] op_sel:[0,1,0]
	s_waitcnt vmcnt(4)
	v_xor_b32_e32 v34, 0x80000000, v23
	v_mov_b32_e32 v35, v22
	s_waitcnt vmcnt(3)
	v_pk_fma_f32 v[8:9], v[20:21], v[44:45], v[8:9] op_sel_hi:[1,0,1]
	v_pk_fma_f32 v[10:11], v[22:23], v[44:45], v[10:11] op_sel_hi:[1,0,1]
	v_pk_fma_f32 v[8:9], v[20:21], v[44:45], v[8:9] op_sel:[1,1,0] op_sel_hi:[0,1,1] neg_lo:[1,0,0]
	v_pk_fma_f32 v[10:11], v[34:35], v[44:45], v[10:11] op_sel:[0,1,0]
	s_waitcnt vmcnt(2)
	v_xor_b32_e32 v22, 0x80000000, v31
	v_mov_b32_e32 v23, v30
	s_waitcnt vmcnt(1)
	v_pk_fma_f32 v[8:9], v[28:29], v[48:49], v[8:9] op_sel_hi:[1,0,1]
	v_pk_fma_f32 v[10:11], v[30:31], v[48:49], v[10:11] op_sel_hi:[1,0,1]
	v_pk_fma_f32 v[8:9], v[28:29], v[48:49], v[8:9] op_sel:[1,1,0] op_sel_hi:[0,1,1] neg_lo:[1,0,0]
	v_pk_fma_f32 v[10:11], v[22:23], v[48:49], v[10:11] op_sel:[0,1,0]
	s_waitcnt vmcnt(0)
	v_pk_fma_f32 v[8:9], v[24:25], v[46:47], v[8:9] op_sel_hi:[1,0,1]
	v_pk_fma_f32 v[20:21], v[26:27], v[46:47], v[10:11] op_sel_hi:[1,0,1]
	v_pk_fma_f32 v[10:11], v[24:25], v[46:47], v[8:9] op_sel:[1,1,0] op_sel_hi:[0,1,1] neg_lo:[1,0,0]
	v_pk_fma_f32 v[8:9], v[52:53], v[46:47], v[20:21] op_sel:[0,1,0]
	s_andn2_b64 exec, exec, s[14:15]
	s_cbranch_execnz .LBB191_13
; %bb.14:
	s_or_b64 exec, exec, s[14:15]
.LBB191_15:
	s_or_b64 exec, exec, s[4:5]
	s_cbranch_execz .LBB191_19
	s_branch .LBB191_24
.LBB191_16:
	v_mov_b64_e32 v[4:5], s[8:9]
	flat_load_dword v3, v[4:5] offset:4
	s_and_b64 vcc, exec, s[4:5]
	v_mov_b32_e32 v4, s6
	s_cbranch_vccnz .LBB191_4
.LBB191_17:
	v_mov_b64_e32 v[4:5], s[6:7]
	flat_load_dword v4, v[4:5]
	s_and_b64 vcc, exec, s[4:5]
	v_mov_b32_e32 v5, s7
	s_cbranch_vccz .LBB191_5
	s_branch .LBB191_6
.LBB191_18:
                                        ; implicit-def: $vgpr11
                                        ; implicit-def: $vgpr9
.LBB191_19:
	v_mov_b32_e32 v11, 0
	v_mov_b32_e32 v10, v11
	;; [unrolled: 1-line block ×4, first 2 shown]
	s_and_saveexec_b64 s[4:5], s[2:3]
	s_cbranch_execz .LBB191_23
; %bb.20:
	v_mad_u64_u32 v[12:13], s[2:3], v0, 18, 17
	v_mov_b32_e32 v15, 0
	s_mov_b64 s[2:3], 0
	v_mov_b32_e32 v8, v15
	v_mov_b32_e32 v9, v15
	;; [unrolled: 1-line block ×4, first 2 shown]
.LBB191_21:                             ; =>This Inner Loop Header: Depth=1
	v_ashrrev_i32_e32 v1, 31, v0
	v_subrev_u32_e32 v14, 17, v12
	v_add_u32_e32 v20, -8, v12
	v_mov_b32_e32 v21, v15
	v_mov_b32_e32 v13, v15
	v_lshl_add_u64 v[24:25], v[0:1], 2, s[6:7]
	v_lshl_add_u64 v[26:27], v[14:15], 3, s[8:9]
	v_lshl_add_u64 v[28:29], v[20:21], 3, s[8:9]
	v_lshl_add_u64 v[30:31], v[12:13], 3, s[8:9]
	global_load_dword v1, v[24:25], off
	global_load_dwordx4 v[20:23], v[26:27], off
	global_load_dwordx2 v[32:33], v[28:29], off
	global_load_dwordx2 v[34:35], v[30:31], off
	v_mov_b32_e32 v17, v15
	v_add_u32_e32 v0, 64, v0
	v_cmp_ge_i32_e32 vcc, v0, v18
	s_or_b64 s[2:3], vcc, s[2:3]
	s_waitcnt vmcnt(3)
	v_subrev_u32_e32 v1, s12, v1
	v_lshl_add_u32 v16, v1, 3, v1
	v_lshl_add_u64 v[26:27], v[16:17], 3, s[10:11]
	global_load_dwordx2 v[26:27], v[26:27], off
	v_add_u32_e32 v14, 1, v16
	v_lshl_add_u64 v[28:29], v[14:15], 3, s[10:11]
	global_load_dwordx2 v[28:29], v[28:29], off
	v_add_u32_e32 v14, -7, v12
	v_lshl_add_u64 v[30:31], v[14:15], 3, s[8:9]
	v_add_u32_e32 v14, -15, v12
	v_lshl_add_u64 v[36:37], v[14:15], 3, s[8:9]
	v_add_u32_e32 v14, 2, v16
	v_lshl_add_u64 v[38:39], v[14:15], 3, s[10:11]
	v_add_u32_e32 v14, -6, v12
	global_load_dwordx2 v[40:41], v[36:37], off
	global_load_dwordx2 v[42:43], v[30:31], off
	;; [unrolled: 1-line block ×3, first 2 shown]
	v_lshl_add_u64 v[30:31], v[14:15], 3, s[8:9]
	v_add_u32_e32 v14, -14, v12
	v_lshl_add_u64 v[36:37], v[14:15], 3, s[8:9]
	v_add_u32_e32 v14, 3, v16
	v_lshl_add_u64 v[38:39], v[14:15], 3, s[10:11]
	v_add_u32_e32 v14, -5, v12
	global_load_dwordx2 v[46:47], v[36:37], off
	global_load_dwordx2 v[48:49], v[30:31], off
	;; [unrolled: 1-line block ×3, first 2 shown]
	v_lshl_add_u64 v[30:31], v[14:15], 3, s[8:9]
	v_add_u32_e32 v14, -13, v12
	v_lshl_add_u64 v[36:37], v[14:15], 3, s[8:9]
	v_add_u32_e32 v14, 4, v16
	v_lshl_add_u64 v[38:39], v[14:15], 3, s[10:11]
	v_add_u32_e32 v14, -4, v12
	global_load_dwordx2 v[30:31], v[30:31], off
	s_nop 0
	global_load_dwordx2 v[52:53], v[36:37], off
	global_load_dwordx2 v[54:55], v[38:39], off
	v_lshl_add_u64 v[36:37], v[14:15], 3, s[8:9]
	v_add_u32_e32 v14, -12, v12
	v_lshl_add_u64 v[38:39], v[14:15], 3, s[8:9]
	v_add_u32_e32 v14, 5, v16
	v_lshl_add_u64 v[56:57], v[14:15], 3, s[10:11]
	v_add_u32_e32 v14, -3, v12
	global_load_dwordx2 v[58:59], v[38:39], off
	global_load_dwordx2 v[60:61], v[36:37], off
	;; [unrolled: 1-line block ×3, first 2 shown]
	v_lshl_add_u64 v[36:37], v[14:15], 3, s[8:9]
	v_add_u32_e32 v14, -11, v12
	v_lshl_add_u64 v[38:39], v[14:15], 3, s[8:9]
	v_add_u32_e32 v14, 6, v16
	v_lshl_add_u64 v[56:57], v[14:15], 3, s[10:11]
	v_add_u32_e32 v14, -2, v12
	global_load_dwordx2 v[64:65], v[38:39], off
	global_load_dwordx2 v[66:67], v[36:37], off
	;; [unrolled: 1-line block ×3, first 2 shown]
	v_lshl_add_u64 v[36:37], v[14:15], 3, s[8:9]
	v_add_u32_e32 v14, -10, v12
	s_waitcnt vmcnt(19)
	v_xor_b32_e32 v24, 0x80000000, v23
	v_mov_b32_e32 v25, v22
	s_waitcnt vmcnt(16)
	v_pk_fma_f32 v[8:9], v[32:33], v[26:27], v[8:9] op_sel_hi:[1,0,1]
	s_nop 0
	v_pk_fma_f32 v[8:9], v[32:33], v[26:27], v[8:9] op_sel:[1,1,0] op_sel_hi:[0,1,1] neg_lo:[1,0,0]
	v_lshl_add_u64 v[32:33], v[14:15], 3, s[8:9]
	v_add_u32_e32 v14, 7, v16
	v_pk_fma_f32 v[10:11], v[20:21], v[26:27], v[10:11] op_sel_hi:[1,0,1]
	s_waitcnt vmcnt(13)
	v_pk_fma_f32 v[8:9], v[42:43], v[28:29], v[8:9] op_sel_hi:[1,0,1]
	v_pk_fma_f32 v[10:11], v[20:21], v[26:27], v[10:11] op_sel:[1,1,0] op_sel_hi:[0,1,1] neg_lo:[1,0,0]
	v_lshl_add_u64 v[20:21], v[14:15], 3, s[10:11]
	v_add_u32_e32 v14, -1, v12
	global_load_dwordx2 v[26:27], v[32:33], off
	global_load_dwordx2 v[38:39], v[36:37], off
	;; [unrolled: 1-line block ×3, first 2 shown]
	v_lshl_add_u64 v[20:21], v[14:15], 3, s[8:9]
	v_add_u32_e32 v14, -9, v12
	v_pk_fma_f32 v[10:11], v[22:23], v[28:29], v[10:11] op_sel_hi:[1,0,1]
	v_lshl_add_u64 v[22:23], v[14:15], 3, s[8:9]
	v_add_u32_e32 v14, 8, v16
	v_lshl_add_u64 v[16:17], v[14:15], 3, s[10:11]
	global_load_dwordx2 v[32:33], v[22:23], off
	global_load_dwordx2 v[36:37], v[20:21], off
	;; [unrolled: 1-line block ×3, first 2 shown]
	v_pk_fma_f32 v[10:11], v[24:25], v[28:29], v[10:11] op_sel:[0,1,0]
	v_pk_fma_f32 v[8:9], v[42:43], v[28:29], v[8:9] op_sel:[1,1,0] op_sel_hi:[0,1,1] neg_lo:[1,0,0]
	s_waitcnt vmcnt(18)
	v_pk_fma_f32 v[10:11], v[40:41], v[44:45], v[10:11] op_sel_hi:[1,0,1]
	s_waitcnt vmcnt(16)
	v_pk_fma_f32 v[8:9], v[48:49], v[44:45], v[8:9] op_sel_hi:[1,0,1]
	v_pk_fma_f32 v[10:11], v[40:41], v[44:45], v[10:11] op_sel:[1,1,0] op_sel_hi:[0,1,1] neg_lo:[1,0,0]
	v_pk_fma_f32 v[8:9], v[48:49], v[44:45], v[8:9] op_sel:[1,1,0] op_sel_hi:[0,1,1] neg_lo:[1,0,0]
	s_waitcnt vmcnt(15)
	v_pk_fma_f32 v[10:11], v[46:47], v[50:51], v[10:11] op_sel_hi:[1,0,1]
	s_waitcnt vmcnt(14)
	v_pk_fma_f32 v[8:9], v[30:31], v[50:51], v[8:9] op_sel_hi:[1,0,1]
	v_pk_fma_f32 v[10:11], v[46:47], v[50:51], v[10:11] op_sel:[1,1,0] op_sel_hi:[0,1,1] neg_lo:[1,0,0]
	;; [unrolled: 6-line block ×3, first 2 shown]
	v_pk_fma_f32 v[8:9], v[60:61], v[54:55], v[8:9] op_sel:[1,1,0] op_sel_hi:[0,1,1] neg_lo:[1,0,0]
	s_waitcnt vmcnt(9)
	v_pk_fma_f32 v[10:11], v[58:59], v[62:63], v[10:11] op_sel_hi:[1,0,1]
	v_add_u32_e32 v12, 0x480, v12
	v_pk_fma_f32 v[10:11], v[58:59], v[62:63], v[10:11] op_sel:[1,1,0] op_sel_hi:[0,1,1] neg_lo:[1,0,0]
	s_waitcnt vmcnt(7)
	v_pk_fma_f32 v[8:9], v[66:67], v[62:63], v[8:9] op_sel_hi:[1,0,1]
	s_waitcnt vmcnt(6)
	v_pk_fma_f32 v[10:11], v[64:65], v[68:69], v[10:11] op_sel_hi:[1,0,1]
	v_pk_fma_f32 v[8:9], v[66:67], v[62:63], v[8:9] op_sel:[1,1,0] op_sel_hi:[0,1,1] neg_lo:[1,0,0]
	v_pk_fma_f32 v[10:11], v[64:65], v[68:69], v[10:11] op_sel:[1,1,0] op_sel_hi:[0,1,1] neg_lo:[1,0,0]
	s_waitcnt vmcnt(4)
	v_pk_fma_f32 v[8:9], v[38:39], v[68:69], v[8:9] op_sel_hi:[1,0,1]
	s_nop 0
	v_pk_fma_f32 v[8:9], v[38:39], v[68:69], v[8:9] op_sel:[1,1,0] op_sel_hi:[0,1,1] neg_lo:[1,0,0]
	s_waitcnt vmcnt(3)
	v_pk_fma_f32 v[10:11], v[26:27], v[56:57], v[10:11] op_sel_hi:[1,0,1]
	s_waitcnt vmcnt(1)
	v_pk_fma_f32 v[8:9], v[36:37], v[56:57], v[8:9] op_sel_hi:[1,0,1]
	v_pk_fma_f32 v[10:11], v[26:27], v[56:57], v[10:11] op_sel:[1,1,0] op_sel_hi:[0,1,1] neg_lo:[1,0,0]
	v_pk_fma_f32 v[8:9], v[36:37], v[56:57], v[8:9] op_sel:[1,1,0] op_sel_hi:[0,1,1] neg_lo:[1,0,0]
	s_waitcnt vmcnt(0)
	v_pk_fma_f32 v[10:11], v[32:33], v[70:71], v[10:11] op_sel_hi:[1,0,1]
	v_pk_fma_f32 v[8:9], v[34:35], v[70:71], v[8:9] op_sel_hi:[1,0,1]
	v_pk_fma_f32 v[10:11], v[32:33], v[70:71], v[10:11] op_sel:[1,1,0] op_sel_hi:[0,1,1] neg_lo:[1,0,0]
	v_pk_fma_f32 v[8:9], v[34:35], v[70:71], v[8:9] op_sel:[1,1,0] op_sel_hi:[0,1,1] neg_lo:[1,0,0]
	s_andn2_b64 exec, exec, s[2:3]
	s_cbranch_execnz .LBB191_21
; %bb.22:
	s_or_b64 exec, exec, s[2:3]
.LBB191_23:
	s_or_b64 exec, exec, s[4:5]
.LBB191_24:
	v_mov_b32_dpp v12, v8 row_shr:1 row_mask:0xf bank_mask:0xf
	v_add_f32_e32 v8, v8, v12
	v_mov_b32_dpp v0, v10 row_shr:1 row_mask:0xf bank_mask:0xf
	v_add_f32_e32 v0, v10, v0
	;; [unrolled: 2-line block ×5, first 2 shown]
	v_mov_b32_dpp v1, v0 row_shr:2 row_mask:0xf bank_mask:0xf
	v_mov_b32_dpp v11, v10 row_shr:2 row_mask:0xf bank_mask:0xf
	;; [unrolled: 1-line block ×3, first 2 shown]
	v_add_f32_e32 v8, v8, v12
	v_add_f32_e32 v0, v0, v1
	;; [unrolled: 1-line block ×3, first 2 shown]
	v_mov_b32_dpp v12, v8 row_bcast:15 row_mask:0xa bank_mask:0xf
	v_add_f32_e32 v13, v8, v12
	v_mov_b32_dpp v8, v9 row_shr:1 row_mask:0xf bank_mask:0xf
	v_add_f32_e32 v8, v9, v8
	v_mov_b32_dpp v1, v0 row_shr:4 row_mask:0xf bank_mask:0xe
	v_mov_b32_dpp v11, v10 row_shr:4 row_mask:0xf bank_mask:0xe
	;; [unrolled: 1-line block ×3, first 2 shown]
	v_add_f32_e32 v8, v8, v9
	v_add_f32_e32 v0, v0, v1
	;; [unrolled: 1-line block ×3, first 2 shown]
	v_mov_b32_dpp v9, v8 row_shr:4 row_mask:0xf bank_mask:0xe
	v_add_f32_e32 v8, v8, v9
	v_mov_b32_dpp v1, v0 row_shr:8 row_mask:0xf bank_mask:0xc
	v_mov_b32_dpp v11, v10 row_shr:8 row_mask:0xf bank_mask:0xc
	;; [unrolled: 1-line block ×3, first 2 shown]
	v_add_f32_e32 v0, v0, v1
	v_add_f32_e32 v10, v10, v11
	;; [unrolled: 1-line block ×3, first 2 shown]
	v_mov_b32_dpp v1, v0 row_bcast:15 row_mask:0xa bank_mask:0xf
	v_mov_b32_dpp v11, v10 row_bcast:15 row_mask:0xa bank_mask:0xf
	;; [unrolled: 1-line block ×3, first 2 shown]
	v_add_f32_e32 v0, v0, v1
	v_add_f32_e32 v10, v10, v11
	;; [unrolled: 1-line block ×3, first 2 shown]
	v_mov_b32_dpp v1, v0 row_bcast:31 row_mask:0xc bank_mask:0xf
	v_mov_b32_dpp v11, v10 row_bcast:31 row_mask:0xc bank_mask:0xf
	;; [unrolled: 1-line block ×4, first 2 shown]
	v_cmp_eq_u32_e32 vcc, 63, v7
	s_and_b64 exec, exec, vcc
	s_cbranch_execz .LBB191_29
; %bb.25:
	s_load_dwordx2 s[2:3], s[0:1], 0x38
	v_add_f32_e32 v8, v0, v1
	v_and_b32_e32 v1, 0x7fffffff, v4
	v_cmp_eq_u32_e32 vcc, 0, v1
	v_cmp_eq_f32_e64 s[0:1], 0, v5
	v_add_f32_e32 v12, v10, v11
	v_add_f32_e32 v0, v13, v14
	;; [unrolled: 1-line block ×3, first 2 shown]
	s_and_b64 s[0:1], vcc, s[0:1]
	s_and_saveexec_b64 s[4:5], s[0:1]
	s_xor_b64 s[0:1], exec, s[4:5]
	s_cbranch_execz .LBB191_27
; %bb.26:
	v_lshlrev_b32_e32 v4, 1, v6
	v_xor_b32_e32 v14, 0x80000000, v3
	v_ashrrev_i32_e32 v5, 31, v4
	v_mov_b32_e32 v15, v2
	s_waitcnt lgkmcnt(0)
	v_lshl_add_u64 v[16:17], v[4:5], 3, s[2:3]
	v_pk_mul_f32 v[4:5], v[12:13], v[14:15] op_sel_hi:[0,1]
	v_pk_mul_f32 v[6:7], v[10:11], v[14:15] op_sel_hi:[0,1]
	v_pk_fma_f32 v[4:5], v[2:3], v[8:9], v[4:5] op_sel_hi:[1,0,1]
	v_pk_fma_f32 v[6:7], v[2:3], v[0:1], v[6:7] op_sel_hi:[1,0,1]
	global_store_dwordx4 v[16:17], v[4:7], off
                                        ; implicit-def: $vgpr3
                                        ; implicit-def: $vgpr4
                                        ; implicit-def: $vgpr6
                                        ; implicit-def: $vgpr8
                                        ; implicit-def: $vgpr12
                                        ; implicit-def: $vgpr0
                                        ; implicit-def: $vgpr10
.LBB191_27:
	s_andn2_saveexec_b64 s[0:1], s[0:1]
	s_cbranch_execz .LBB191_29
; %bb.28:
	v_lshlrev_b32_e32 v6, 1, v6
	v_ashrrev_i32_e32 v7, 31, v6
	s_waitcnt lgkmcnt(0)
	v_lshl_add_u64 v[6:7], v[6:7], 3, s[2:3]
	global_load_dwordx4 v[14:17], v[6:7], off
	v_xor_b32_e32 v18, 0x80000000, v3
	v_mov_b32_e32 v19, v2
	v_pk_mul_f32 v[12:13], v[12:13], v[18:19] op_sel_hi:[0,1]
	v_pk_mul_f32 v[10:11], v[10:11], v[18:19] op_sel_hi:[0,1]
	v_pk_fma_f32 v[8:9], v[2:3], v[8:9], v[12:13] op_sel_hi:[1,0,1]
	v_pk_fma_f32 v[0:1], v[2:3], v[0:1], v[10:11] op_sel_hi:[1,0,1]
	v_xor_b32_e32 v20, 0x80000000, v5
	v_mov_b32_e32 v21, v4
	s_waitcnt vmcnt(0)
	v_pk_fma_f32 v[2:3], v[4:5], v[14:15], v[8:9] op_sel_hi:[1,0,1]
	v_pk_fma_f32 v[4:5], v[4:5], v[16:17], v[0:1] op_sel_hi:[1,0,1]
	v_mov_b32_e32 v8, v17
	v_pk_fma_f32 v[0:1], v[20:21], v[14:15], v[2:3] op_sel:[0,1,0]
	v_pk_fma_f32 v[2:3], v[20:21], v[8:9], v[4:5] op_sel_hi:[1,0,1]
	global_store_dwordx4 v[6:7], v[0:3], off
.LBB191_29:
	s_endpgm
	.section	.rodata,"a",@progbits
	.p2align	6, 0x0
	.amdhsa_kernel _ZN9rocsparseL19gebsrmvn_2xn_kernelILj128ELj9ELj64E21rocsparse_complex_numIfEEEvi20rocsparse_direction_NS_24const_host_device_scalarIT2_EEPKiS8_PKS5_SA_S6_PS5_21rocsparse_index_base_b
		.amdhsa_group_segment_fixed_size 0
		.amdhsa_private_segment_fixed_size 0
		.amdhsa_kernarg_size 72
		.amdhsa_user_sgpr_count 2
		.amdhsa_user_sgpr_dispatch_ptr 0
		.amdhsa_user_sgpr_queue_ptr 0
		.amdhsa_user_sgpr_kernarg_segment_ptr 1
		.amdhsa_user_sgpr_dispatch_id 0
		.amdhsa_user_sgpr_kernarg_preload_length 0
		.amdhsa_user_sgpr_kernarg_preload_offset 0
		.amdhsa_user_sgpr_private_segment_size 0
		.amdhsa_uses_dynamic_stack 0
		.amdhsa_enable_private_segment 0
		.amdhsa_system_sgpr_workgroup_id_x 1
		.amdhsa_system_sgpr_workgroup_id_y 0
		.amdhsa_system_sgpr_workgroup_id_z 0
		.amdhsa_system_sgpr_workgroup_info 0
		.amdhsa_system_vgpr_workitem_id 0
		.amdhsa_next_free_vgpr 72
		.amdhsa_next_free_sgpr 16
		.amdhsa_accum_offset 72
		.amdhsa_reserve_vcc 1
		.amdhsa_float_round_mode_32 0
		.amdhsa_float_round_mode_16_64 0
		.amdhsa_float_denorm_mode_32 3
		.amdhsa_float_denorm_mode_16_64 3
		.amdhsa_dx10_clamp 1
		.amdhsa_ieee_mode 1
		.amdhsa_fp16_overflow 0
		.amdhsa_tg_split 0
		.amdhsa_exception_fp_ieee_invalid_op 0
		.amdhsa_exception_fp_denorm_src 0
		.amdhsa_exception_fp_ieee_div_zero 0
		.amdhsa_exception_fp_ieee_overflow 0
		.amdhsa_exception_fp_ieee_underflow 0
		.amdhsa_exception_fp_ieee_inexact 0
		.amdhsa_exception_int_div_zero 0
	.end_amdhsa_kernel
	.section	.text._ZN9rocsparseL19gebsrmvn_2xn_kernelILj128ELj9ELj64E21rocsparse_complex_numIfEEEvi20rocsparse_direction_NS_24const_host_device_scalarIT2_EEPKiS8_PKS5_SA_S6_PS5_21rocsparse_index_base_b,"axG",@progbits,_ZN9rocsparseL19gebsrmvn_2xn_kernelILj128ELj9ELj64E21rocsparse_complex_numIfEEEvi20rocsparse_direction_NS_24const_host_device_scalarIT2_EEPKiS8_PKS5_SA_S6_PS5_21rocsparse_index_base_b,comdat
.Lfunc_end191:
	.size	_ZN9rocsparseL19gebsrmvn_2xn_kernelILj128ELj9ELj64E21rocsparse_complex_numIfEEEvi20rocsparse_direction_NS_24const_host_device_scalarIT2_EEPKiS8_PKS5_SA_S6_PS5_21rocsparse_index_base_b, .Lfunc_end191-_ZN9rocsparseL19gebsrmvn_2xn_kernelILj128ELj9ELj64E21rocsparse_complex_numIfEEEvi20rocsparse_direction_NS_24const_host_device_scalarIT2_EEPKiS8_PKS5_SA_S6_PS5_21rocsparse_index_base_b
                                        ; -- End function
	.section	.AMDGPU.csdata,"",@progbits
; Kernel info:
; codeLenInByte = 2912
; NumSgprs: 22
; NumVgprs: 72
; NumAgprs: 0
; TotalNumVgprs: 72
; ScratchSize: 0
; MemoryBound: 0
; FloatMode: 240
; IeeeMode: 1
; LDSByteSize: 0 bytes/workgroup (compile time only)
; SGPRBlocks: 2
; VGPRBlocks: 8
; NumSGPRsForWavesPerEU: 22
; NumVGPRsForWavesPerEU: 72
; AccumOffset: 72
; Occupancy: 7
; WaveLimiterHint : 1
; COMPUTE_PGM_RSRC2:SCRATCH_EN: 0
; COMPUTE_PGM_RSRC2:USER_SGPR: 2
; COMPUTE_PGM_RSRC2:TRAP_HANDLER: 0
; COMPUTE_PGM_RSRC2:TGID_X_EN: 1
; COMPUTE_PGM_RSRC2:TGID_Y_EN: 0
; COMPUTE_PGM_RSRC2:TGID_Z_EN: 0
; COMPUTE_PGM_RSRC2:TIDIG_COMP_CNT: 0
; COMPUTE_PGM_RSRC3_GFX90A:ACCUM_OFFSET: 17
; COMPUTE_PGM_RSRC3_GFX90A:TG_SPLIT: 0
	.section	.text._ZN9rocsparseL19gebsrmvn_2xn_kernelILj128ELj10ELj4E21rocsparse_complex_numIfEEEvi20rocsparse_direction_NS_24const_host_device_scalarIT2_EEPKiS8_PKS5_SA_S6_PS5_21rocsparse_index_base_b,"axG",@progbits,_ZN9rocsparseL19gebsrmvn_2xn_kernelILj128ELj10ELj4E21rocsparse_complex_numIfEEEvi20rocsparse_direction_NS_24const_host_device_scalarIT2_EEPKiS8_PKS5_SA_S6_PS5_21rocsparse_index_base_b,comdat
	.globl	_ZN9rocsparseL19gebsrmvn_2xn_kernelILj128ELj10ELj4E21rocsparse_complex_numIfEEEvi20rocsparse_direction_NS_24const_host_device_scalarIT2_EEPKiS8_PKS5_SA_S6_PS5_21rocsparse_index_base_b ; -- Begin function _ZN9rocsparseL19gebsrmvn_2xn_kernelILj128ELj10ELj4E21rocsparse_complex_numIfEEEvi20rocsparse_direction_NS_24const_host_device_scalarIT2_EEPKiS8_PKS5_SA_S6_PS5_21rocsparse_index_base_b
	.p2align	8
	.type	_ZN9rocsparseL19gebsrmvn_2xn_kernelILj128ELj10ELj4E21rocsparse_complex_numIfEEEvi20rocsparse_direction_NS_24const_host_device_scalarIT2_EEPKiS8_PKS5_SA_S6_PS5_21rocsparse_index_base_b,@function
_ZN9rocsparseL19gebsrmvn_2xn_kernelILj128ELj10ELj4E21rocsparse_complex_numIfEEEvi20rocsparse_direction_NS_24const_host_device_scalarIT2_EEPKiS8_PKS5_SA_S6_PS5_21rocsparse_index_base_b: ; @_ZN9rocsparseL19gebsrmvn_2xn_kernelILj128ELj10ELj4E21rocsparse_complex_numIfEEEvi20rocsparse_direction_NS_24const_host_device_scalarIT2_EEPKiS8_PKS5_SA_S6_PS5_21rocsparse_index_base_b
; %bb.0:
	s_load_dwordx2 s[12:13], s[0:1], 0x40
	s_load_dwordx2 s[8:9], s[0:1], 0x8
	;; [unrolled: 1-line block ×3, first 2 shown]
	s_waitcnt lgkmcnt(0)
	s_bitcmp1_b32 s13, 0
	s_cselect_b64 s[4:5], -1, 0
	s_xor_b64 s[10:11], s[4:5], -1
	s_and_b64 vcc, exec, s[4:5]
	v_mov_b32_e32 v2, s8
	s_cbranch_vccnz .LBB192_2
; %bb.1:
	v_mov_b64_e32 v[2:3], s[8:9]
	flat_load_dword v2, v[2:3]
.LBB192_2:
	v_cndmask_b32_e64 v1, 0, 1, s[10:11]
	v_cmp_ne_u32_e64 s[4:5], 1, v1
	s_andn2_b64 vcc, exec, s[10:11]
	v_mov_b32_e32 v3, s9
	s_cbranch_vccz .LBB192_16
; %bb.3:
	s_and_b64 vcc, exec, s[4:5]
	v_mov_b32_e32 v4, s6
	s_cbranch_vccz .LBB192_17
.LBB192_4:
	s_and_b64 vcc, exec, s[4:5]
	v_mov_b32_e32 v5, s7
	s_cbranch_vccnz .LBB192_6
.LBB192_5:
	v_mov_b64_e32 v[6:7], s[6:7]
	flat_load_dword v5, v[6:7] offset:4
.LBB192_6:
	s_waitcnt vmcnt(0) lgkmcnt(0)
	v_and_b32_e32 v1, 0x7fffffff, v2
	v_cmp_eq_u32_e32 vcc, 0, v1
	v_cmp_eq_f32_e64 s[4:5], 0, v3
	s_and_b64 s[8:9], vcc, s[4:5]
	s_mov_b64 s[4:5], -1
	s_and_saveexec_b64 s[6:7], s[8:9]
; %bb.7:
	v_and_b32_e32 v1, 0x7fffffff, v5
	v_cmp_neq_f32_e32 vcc, 1.0, v4
	v_cmp_ne_u32_e64 s[4:5], 0, v1
	s_or_b64 s[4:5], vcc, s[4:5]
	s_orn2_b64 s[4:5], s[4:5], exec
; %bb.8:
	s_or_b64 exec, exec, s[6:7]
	s_and_saveexec_b64 s[6:7], s[4:5]
	s_cbranch_execz .LBB192_29
; %bb.9:
	s_load_dwordx2 s[14:15], s[0:1], 0x0
	v_lshrrev_b32_e32 v1, 2, v0
	v_lshl_or_b32 v6, s2, 5, v1
	s_waitcnt lgkmcnt(0)
	v_cmp_gt_i32_e32 vcc, s14, v6
	s_and_b64 exec, exec, vcc
	s_cbranch_execz .LBB192_29
; %bb.10:
	s_load_dwordx8 s[4:11], s[0:1], 0x10
	v_ashrrev_i32_e32 v7, 31, v6
	s_cmp_lg_u32 s15, 0
	s_waitcnt lgkmcnt(0)
	v_lshl_add_u64 v[8:9], v[6:7], 2, s[4:5]
	global_load_dwordx2 v[8:9], v[8:9], off
	v_and_b32_e32 v7, 3, v0
	s_waitcnt vmcnt(0)
	v_subrev_u32_e32 v0, s12, v8
	v_subrev_u32_e32 v18, s12, v9
	v_add_u32_e32 v0, v0, v7
	v_cmp_lt_i32_e64 s[2:3], v0, v18
	s_cbranch_scc0 .LBB192_18
; %bb.11:
	v_mov_b32_e32 v11, 0
	v_mov_b32_e32 v10, v11
	;; [unrolled: 1-line block ×4, first 2 shown]
	s_and_saveexec_b64 s[4:5], s[2:3]
	s_cbranch_execz .LBB192_15
; %bb.12:
	v_mad_u64_u32 v[12:13], s[14:15], v0, 20, 18
	v_mov_b32_e32 v15, 0
	s_mov_b64 s[14:15], 0
	v_mov_b32_e32 v16, v0
	v_mov_b32_e32 v8, v15
	;; [unrolled: 1-line block ×5, first 2 shown]
.LBB192_13:                             ; =>This Inner Loop Header: Depth=1
	v_ashrrev_i32_e32 v17, 31, v16
	v_lshl_add_u64 v[20:21], v[16:17], 2, s[6:7]
	global_load_dword v1, v[20:21], off
	v_subrev_u32_e32 v14, 18, v12
	v_mov_b32_e32 v65, v15
	v_lshl_add_u64 v[28:29], v[14:15], 3, s[8:9]
	global_load_dwordx4 v[20:23], v[28:29], off
	global_load_dwordx4 v[24:27], v[28:29], off offset:16
	v_add_u32_e32 v14, -14, v12
	v_lshl_add_u64 v[28:29], v[14:15], 3, s[8:9]
	global_load_dwordx4 v[28:31], v[28:29], off
	v_mov_b32_e32 v13, v15
	v_lshl_add_u64 v[80:81], v[12:13], 3, s[8:9]
	v_add_u32_e32 v16, 4, v16
	v_cmp_ge_i32_e32 vcc, v16, v18
	s_or_b64 s[14:15], vcc, s[14:15]
	s_waitcnt vmcnt(3)
	v_subrev_u32_e32 v1, s12, v1
	v_mul_lo_u32 v64, v1, 10
	v_lshl_add_u64 v[32:33], v[64:65], 3, s[10:11]
	global_load_dwordx4 v[32:35], v[32:33], off
	v_add_u32_e32 v14, 2, v64
	v_lshl_add_u64 v[36:37], v[14:15], 3, s[10:11]
	global_load_dwordx4 v[36:39], v[36:37], off
	v_add_u32_e32 v14, -12, v12
	v_lshl_add_u64 v[40:41], v[14:15], 3, s[8:9]
	v_add_u32_e32 v14, -10, v12
	v_lshl_add_u64 v[44:45], v[14:15], 3, s[8:9]
	v_add_u32_e32 v14, 4, v64
	global_load_dwordx4 v[40:43], v[40:41], off
	v_lshl_add_u64 v[48:49], v[14:15], 3, s[10:11]
	global_load_dwordx4 v[44:47], v[44:45], off
	v_add_u32_e32 v14, -8, v12
	global_load_dwordx4 v[48:51], v[48:49], off
	v_lshl_add_u64 v[52:53], v[14:15], 3, s[8:9]
	v_add_u32_e32 v14, -6, v12
	v_lshl_add_u64 v[56:57], v[14:15], 3, s[8:9]
	v_add_u32_e32 v14, 6, v64
	global_load_dwordx4 v[52:55], v[52:53], off
	v_lshl_add_u64 v[60:61], v[14:15], 3, s[10:11]
	global_load_dwordx4 v[56:59], v[56:57], off
	v_add_u32_e32 v14, -4, v12
	global_load_dwordx4 v[60:63], v[60:61], off
	v_lshl_add_u64 v[66:67], v[14:15], 3, s[8:9]
	v_add_u32_e32 v14, -2, v12
	v_lshl_add_u64 v[82:83], v[14:15], 3, s[8:9]
	v_add_u32_e32 v14, 8, v64
	global_load_dwordx4 v[64:67], v[66:67], off
	v_lshl_add_u64 v[84:85], v[14:15], 3, s[10:11]
	global_load_dwordx4 v[68:71], v[82:83], off
	global_load_dwordx4 v[72:75], v[84:85], off
	;; [unrolled: 1-line block ×3, first 2 shown]
	s_waitcnt vmcnt(14)
	v_xor_b32_e32 v80, 0x80000000, v23
	v_mov_b32_e32 v81, v22
	s_waitcnt vmcnt(13)
	v_xor_b32_e32 v82, 0x80000000, v27
	v_mov_b32_e32 v83, v26
	v_add_u32_e32 v12, 0x50, v12
	s_waitcnt vmcnt(11)
	v_pk_fma_f32 v[10:11], v[20:21], v[32:33], v[10:11] op_sel_hi:[1,0,1]
	v_pk_fma_f32 v[8:9], v[22:23], v[32:33], v[8:9] op_sel_hi:[1,0,1]
	v_pk_fma_f32 v[10:11], v[20:21], v[32:33], v[10:11] op_sel:[1,1,0] op_sel_hi:[0,1,1] neg_lo:[1,0,0]
	v_pk_fma_f32 v[8:9], v[80:81], v[32:33], v[8:9] op_sel:[0,1,0]
	v_mov_b32_e32 v14, v35
	v_pk_fma_f32 v[10:11], v[24:25], v[34:35], v[10:11] op_sel_hi:[1,0,1]
	v_pk_fma_f32 v[8:9], v[26:27], v[34:35], v[8:9] op_sel_hi:[1,0,1]
	v_pk_fma_f32 v[10:11], v[24:25], v[14:15], v[10:11] op_sel:[1,0,0] op_sel_hi:[0,0,1] neg_lo:[1,0,0]
	v_pk_fma_f32 v[8:9], v[82:83], v[14:15], v[8:9] op_sel_hi:[1,0,1]
	v_xor_b32_e32 v22, 0x80000000, v31
	v_mov_b32_e32 v23, v30
	s_waitcnt vmcnt(10)
	v_pk_fma_f32 v[10:11], v[28:29], v[36:37], v[10:11] op_sel_hi:[1,0,1]
	v_pk_fma_f32 v[8:9], v[30:31], v[36:37], v[8:9] op_sel_hi:[1,0,1]
	v_pk_fma_f32 v[10:11], v[28:29], v[36:37], v[10:11] op_sel:[1,1,0] op_sel_hi:[0,1,1] neg_lo:[1,0,0]
	v_pk_fma_f32 v[8:9], v[22:23], v[36:37], v[8:9] op_sel:[0,1,0]
	v_mov_b32_e32 v26, v39
	s_waitcnt vmcnt(9)
	v_xor_b32_e32 v32, 0x80000000, v43
	v_mov_b32_e32 v33, v42
	v_pk_fma_f32 v[10:11], v[40:41], v[38:39], v[10:11] op_sel_hi:[1,0,1]
	v_pk_fma_f32 v[8:9], v[42:43], v[38:39], v[8:9] op_sel_hi:[1,0,1]
	v_pk_fma_f32 v[10:11], v[40:41], v[26:27], v[10:11] op_sel:[1,0,0] op_sel_hi:[0,0,1] neg_lo:[1,0,0]
	v_pk_fma_f32 v[8:9], v[32:33], v[26:27], v[8:9] op_sel_hi:[1,0,1]
	s_waitcnt vmcnt(8)
	v_xor_b32_e32 v24, 0x80000000, v47
	v_mov_b32_e32 v25, v46
	s_waitcnt vmcnt(7)
	v_pk_fma_f32 v[10:11], v[44:45], v[48:49], v[10:11] op_sel_hi:[1,0,1]
	v_pk_fma_f32 v[8:9], v[46:47], v[48:49], v[8:9] op_sel_hi:[1,0,1]
	v_pk_fma_f32 v[10:11], v[44:45], v[48:49], v[10:11] op_sel:[1,1,0] op_sel_hi:[0,1,1] neg_lo:[1,0,0]
	v_pk_fma_f32 v[8:9], v[24:25], v[48:49], v[8:9] op_sel:[0,1,0]
	v_mov_b32_e32 v14, v51
	s_waitcnt vmcnt(6)
	v_xor_b32_e32 v22, 0x80000000, v55
	v_mov_b32_e32 v23, v54
	v_pk_fma_f32 v[10:11], v[52:53], v[50:51], v[10:11] op_sel_hi:[1,0,1]
	v_pk_fma_f32 v[8:9], v[54:55], v[50:51], v[8:9] op_sel_hi:[1,0,1]
	v_pk_fma_f32 v[10:11], v[52:53], v[14:15], v[10:11] op_sel:[1,0,0] op_sel_hi:[0,0,1] neg_lo:[1,0,0]
	v_pk_fma_f32 v[8:9], v[22:23], v[14:15], v[8:9] op_sel_hi:[1,0,1]
	s_waitcnt vmcnt(5)
	;; [unrolled: 16-line block ×3, first 2 shown]
	v_xor_b32_e32 v24, 0x80000000, v71
	v_mov_b32_e32 v25, v70
	s_waitcnt vmcnt(1)
	v_pk_fma_f32 v[10:11], v[68:69], v[72:73], v[10:11] op_sel_hi:[1,0,1]
	v_pk_fma_f32 v[8:9], v[70:71], v[72:73], v[8:9] op_sel_hi:[1,0,1]
	v_pk_fma_f32 v[10:11], v[68:69], v[72:73], v[10:11] op_sel:[1,1,0] op_sel_hi:[0,1,1] neg_lo:[1,0,0]
	v_pk_fma_f32 v[8:9], v[24:25], v[72:73], v[8:9] op_sel:[0,1,0]
	s_waitcnt vmcnt(0)
	v_xor_b32_e32 v20, 0x80000000, v79
	v_mov_b32_e32 v21, v78
	v_mov_b32_e32 v32, v75
	v_pk_fma_f32 v[10:11], v[76:77], v[74:75], v[10:11] op_sel_hi:[1,0,1]
	v_pk_fma_f32 v[8:9], v[78:79], v[74:75], v[8:9] op_sel_hi:[1,0,1]
	v_pk_fma_f32 v[10:11], v[76:77], v[32:33], v[10:11] op_sel:[1,0,0] op_sel_hi:[0,0,1] neg_lo:[1,0,0]
	v_pk_fma_f32 v[8:9], v[20:21], v[32:33], v[8:9] op_sel_hi:[1,0,1]
	s_andn2_b64 exec, exec, s[14:15]
	s_cbranch_execnz .LBB192_13
; %bb.14:
	s_or_b64 exec, exec, s[14:15]
.LBB192_15:
	s_or_b64 exec, exec, s[4:5]
	s_cbranch_execz .LBB192_19
	s_branch .LBB192_24
.LBB192_16:
	v_mov_b64_e32 v[4:5], s[8:9]
	flat_load_dword v3, v[4:5] offset:4
	s_and_b64 vcc, exec, s[4:5]
	v_mov_b32_e32 v4, s6
	s_cbranch_vccnz .LBB192_4
.LBB192_17:
	v_mov_b64_e32 v[4:5], s[6:7]
	flat_load_dword v4, v[4:5]
	s_and_b64 vcc, exec, s[4:5]
	v_mov_b32_e32 v5, s7
	s_cbranch_vccz .LBB192_5
	s_branch .LBB192_6
.LBB192_18:
                                        ; implicit-def: $vgpr11
                                        ; implicit-def: $vgpr9
.LBB192_19:
	v_mov_b32_e32 v11, 0
	v_mov_b32_e32 v10, v11
	;; [unrolled: 1-line block ×4, first 2 shown]
	s_and_saveexec_b64 s[4:5], s[2:3]
	s_cbranch_execz .LBB192_23
; %bb.20:
	v_mad_u64_u32 v[12:13], s[2:3], v0, 20, 19
	v_mov_b32_e32 v15, 0
	s_mov_b64 s[2:3], 0
	v_mov_b32_e32 v8, v15
	v_mov_b32_e32 v9, v15
	;; [unrolled: 1-line block ×4, first 2 shown]
.LBB192_21:                             ; =>This Inner Loop Header: Depth=1
	v_ashrrev_i32_e32 v1, 31, v0
	v_subrev_u32_e32 v14, 19, v12
	v_add_u32_e32 v20, -9, v12
	v_mov_b32_e32 v21, v15
	v_lshl_add_u64 v[28:29], v[0:1], 2, s[6:7]
	v_lshl_add_u64 v[30:31], v[14:15], 3, s[8:9]
	;; [unrolled: 1-line block ×3, first 2 shown]
	global_load_dword v1, v[28:29], off
	global_load_dwordx4 v[20:23], v[30:31], off
	global_load_dwordx4 v[24:27], v[30:31], off offset:16
	v_mov_b32_e32 v13, v15
	v_add_u32_e32 v14, -8, v12
	v_mov_b32_e32 v17, v15
	v_lshl_add_u64 v[34:35], v[12:13], 3, s[8:9]
	v_lshl_add_u64 v[28:29], v[14:15], 3, s[8:9]
	global_load_dwordx2 v[44:45], v[34:35], off
	global_load_dwordx2 v[46:47], v[32:33], off
	;; [unrolled: 1-line block ×3, first 2 shown]
	v_add_u32_e32 v0, 4, v0
	v_cmp_ge_i32_e32 vcc, v0, v18
	s_or_b64 s[2:3], vcc, s[2:3]
	s_waitcnt vmcnt(5)
	v_subrev_u32_e32 v1, s12, v1
	v_mul_lo_u32 v16, v1, 10
	v_lshl_add_u64 v[28:29], v[16:17], 3, s[10:11]
	global_load_dwordx4 v[28:31], v[28:29], off
	v_add_u32_e32 v14, 2, v16
	v_lshl_add_u64 v[32:33], v[14:15], 3, s[10:11]
	global_load_dwordx4 v[32:35], v[32:33], off
	v_add_u32_e32 v14, -7, v12
	v_lshl_add_u64 v[36:37], v[14:15], 3, s[8:9]
	v_add_u32_e32 v14, -6, v12
	v_lshl_add_u64 v[38:39], v[14:15], 3, s[8:9]
	v_add_u32_e32 v14, -15, v12
	global_load_dwordx2 v[52:53], v[36:37], off
	v_lshl_add_u64 v[36:37], v[14:15], 3, s[8:9]
	v_add_u32_e32 v14, 4, v16
	v_lshl_add_u64 v[40:41], v[14:15], 3, s[10:11]
	v_add_u32_e32 v14, -5, v12
	v_lshl_add_u64 v[42:43], v[14:15], 3, s[8:9]
	v_add_u32_e32 v14, -14, v12
	global_load_dwordx2 v[54:55], v[36:37], off
	global_load_dwordx2 v[56:57], v[38:39], off
	;; [unrolled: 1-line block ×3, first 2 shown]
	s_waitcnt vmcnt(10)
	v_xor_b32_e32 v50, 0x80000000, v23
	global_load_dwordx4 v[36:39], v[40:41], off
	v_lshl_add_u64 v[40:41], v[14:15], 3, s[8:9]
	global_load_dwordx2 v[60:61], v[40:41], off
	v_add_u32_e32 v14, -4, v12
	v_lshl_add_u64 v[42:43], v[14:15], 3, s[8:9]
	v_add_u32_e32 v14, -13, v12
	v_lshl_add_u64 v[40:41], v[14:15], 3, s[8:9]
	v_add_u32_e32 v14, 6, v16
	v_lshl_add_u64 v[62:63], v[14:15], 3, s[10:11]
	v_add_u32_e32 v14, -3, v12
	v_lshl_add_u64 v[68:69], v[14:15], 3, s[8:9]
	v_add_u32_e32 v14, -12, v12
	global_load_dwordx2 v[64:65], v[40:41], off
	global_load_dwordx2 v[66:67], v[42:43], off
	v_mov_b32_e32 v51, v22
	global_load_dwordx4 v[40:43], v[62:63], off
	v_lshl_add_u64 v[62:63], v[14:15], 3, s[8:9]
	v_add_u32_e32 v14, -2, v12
	v_lshl_add_u64 v[70:71], v[14:15], 3, s[8:9]
	v_add_u32_e32 v14, -11, v12
	v_lshl_add_u64 v[72:73], v[14:15], 3, s[8:9]
	global_load_dwordx2 v[62:63], v[62:63], off
	v_add_u32_e32 v14, 8, v16
	global_load_dwordx2 v[74:75], v[72:73], off
	global_load_dwordx2 v[76:77], v[70:71], off
	;; [unrolled: 1-line block ×3, first 2 shown]
	v_lshl_add_u64 v[16:17], v[14:15], 3, s[10:11]
	v_add_u32_e32 v14, -1, v12
	s_waitcnt vmcnt(14)
	v_pk_fma_f32 v[10:11], v[20:21], v[28:29], v[10:11] op_sel_hi:[1,0,1]
	s_nop 0
	v_pk_fma_f32 v[10:11], v[20:21], v[28:29], v[10:11] op_sel:[1,1,0] op_sel_hi:[0,1,1] neg_lo:[1,0,0]
	v_pk_fma_f32 v[10:11], v[22:23], v[30:31], v[10:11] op_sel_hi:[1,0,1]
	global_load_dwordx4 v[20:23], v[16:17], off
	v_lshl_add_u64 v[16:17], v[14:15], 3, s[8:9]
	v_add_u32_e32 v14, -10, v12
	v_pk_fma_f32 v[8:9], v[46:47], v[28:29], v[8:9] op_sel_hi:[1,0,1]
	v_add_u32_e32 v12, 0x50, v12
	v_pk_fma_f32 v[8:9], v[46:47], v[28:29], v[8:9] op_sel:[1,1,0] op_sel_hi:[0,1,1] neg_lo:[1,0,0]
	v_lshl_add_u64 v[28:29], v[14:15], 3, s[8:9]
	global_load_dwordx2 v[46:47], v[28:29], off
	global_load_dwordx2 v[68:69], v[16:17], off
	v_pk_fma_f32 v[8:9], v[48:49], v[30:31], v[8:9] op_sel_hi:[1,0,1]
	v_mov_b32_e32 v14, v31
	v_pk_fma_f32 v[10:11], v[50:51], v[14:15], v[10:11] op_sel_hi:[1,0,1]
	v_pk_fma_f32 v[8:9], v[48:49], v[14:15], v[8:9] op_sel:[1,0,0] op_sel_hi:[0,0,1] neg_lo:[1,0,0]
	s_waitcnt vmcnt(16)
	v_pk_fma_f32 v[10:11], v[24:25], v[32:33], v[10:11] op_sel_hi:[1,0,1]
	s_waitcnt vmcnt(15)
	v_pk_fma_f32 v[8:9], v[52:53], v[32:33], v[8:9] op_sel_hi:[1,0,1]
	v_pk_fma_f32 v[10:11], v[24:25], v[32:33], v[10:11] op_sel:[1,1,0] op_sel_hi:[0,1,1] neg_lo:[1,0,0]
	v_pk_fma_f32 v[8:9], v[52:53], v[32:33], v[8:9] op_sel:[1,1,0] op_sel_hi:[0,1,1] neg_lo:[1,0,0]
	v_xor_b32_e32 v16, 0x80000000, v27
	v_mov_b32_e32 v17, v26
	v_mov_b32_e32 v28, v35
	v_pk_fma_f32 v[10:11], v[26:27], v[34:35], v[10:11] op_sel_hi:[1,0,1]
	s_waitcnt vmcnt(13)
	v_pk_fma_f32 v[8:9], v[56:57], v[34:35], v[8:9] op_sel_hi:[1,0,1]
	v_pk_fma_f32 v[10:11], v[16:17], v[28:29], v[10:11] op_sel_hi:[1,0,1]
	v_pk_fma_f32 v[8:9], v[56:57], v[28:29], v[8:9] op_sel:[1,0,0] op_sel_hi:[0,0,1] neg_lo:[1,0,0]
	s_waitcnt vmcnt(11)
	v_pk_fma_f32 v[10:11], v[54:55], v[36:37], v[10:11] op_sel_hi:[1,0,1]
	v_pk_fma_f32 v[8:9], v[58:59], v[36:37], v[8:9] op_sel_hi:[1,0,1]
	v_pk_fma_f32 v[10:11], v[54:55], v[36:37], v[10:11] op_sel:[1,1,0] op_sel_hi:[0,1,1] neg_lo:[1,0,0]
	v_pk_fma_f32 v[8:9], v[58:59], v[36:37], v[8:9] op_sel:[1,1,0] op_sel_hi:[0,1,1] neg_lo:[1,0,0]
	v_mov_b32_e32 v14, v39
	s_waitcnt vmcnt(10)
	v_pk_fma_f32 v[10:11], v[60:61], v[38:39], v[10:11] op_sel_hi:[1,0,1]
	s_waitcnt vmcnt(8)
	v_pk_fma_f32 v[8:9], v[66:67], v[38:39], v[8:9] op_sel_hi:[1,0,1]
	v_pk_fma_f32 v[10:11], v[60:61], v[14:15], v[10:11] op_sel:[1,0,0] op_sel_hi:[0,0,1] neg_lo:[1,0,0]
	v_pk_fma_f32 v[8:9], v[66:67], v[14:15], v[8:9] op_sel:[1,0,0] op_sel_hi:[0,0,1] neg_lo:[1,0,0]
	s_waitcnt vmcnt(7)
	v_pk_fma_f32 v[10:11], v[64:65], v[40:41], v[10:11] op_sel_hi:[1,0,1]
	v_mov_b32_e32 v16, v43
	v_pk_fma_f32 v[10:11], v[64:65], v[40:41], v[10:11] op_sel:[1,1,0] op_sel_hi:[0,1,1] neg_lo:[1,0,0]
	s_waitcnt vmcnt(6)
	v_pk_fma_f32 v[10:11], v[62:63], v[42:43], v[10:11] op_sel_hi:[1,0,1]
	s_nop 0
	v_pk_fma_f32 v[10:11], v[62:63], v[16:17], v[10:11] op_sel:[1,0,0] op_sel_hi:[0,0,1] neg_lo:[1,0,0]
	s_waitcnt vmcnt(3)
	v_pk_fma_f32 v[8:9], v[78:79], v[40:41], v[8:9] op_sel_hi:[1,0,1]
	s_waitcnt vmcnt(2)
	v_pk_fma_f32 v[10:11], v[74:75], v[20:21], v[10:11] op_sel_hi:[1,0,1]
	v_pk_fma_f32 v[8:9], v[78:79], v[40:41], v[8:9] op_sel:[1,1,0] op_sel_hi:[0,1,1] neg_lo:[1,0,0]
	v_pk_fma_f32 v[8:9], v[76:77], v[42:43], v[8:9] op_sel_hi:[1,0,1]
	v_pk_fma_f32 v[10:11], v[74:75], v[20:21], v[10:11] op_sel:[1,1,0] op_sel_hi:[0,1,1] neg_lo:[1,0,0]
	v_pk_fma_f32 v[8:9], v[76:77], v[16:17], v[8:9] op_sel:[1,0,0] op_sel_hi:[0,0,1] neg_lo:[1,0,0]
	v_mov_b32_e32 v14, v23
	s_waitcnt vmcnt(1)
	v_pk_fma_f32 v[10:11], v[46:47], v[22:23], v[10:11] op_sel_hi:[1,0,1]
	s_waitcnt vmcnt(0)
	v_pk_fma_f32 v[8:9], v[68:69], v[20:21], v[8:9] op_sel_hi:[1,0,1]
	v_pk_fma_f32 v[10:11], v[46:47], v[14:15], v[10:11] op_sel:[1,0,0] op_sel_hi:[0,0,1] neg_lo:[1,0,0]
	v_pk_fma_f32 v[8:9], v[68:69], v[20:21], v[8:9] op_sel:[1,1,0] op_sel_hi:[0,1,1] neg_lo:[1,0,0]
	v_pk_fma_f32 v[8:9], v[44:45], v[22:23], v[8:9] op_sel_hi:[1,0,1]
	s_nop 0
	v_pk_fma_f32 v[8:9], v[44:45], v[14:15], v[8:9] op_sel:[1,0,0] op_sel_hi:[0,0,1] neg_lo:[1,0,0]
	s_andn2_b64 exec, exec, s[2:3]
	s_cbranch_execnz .LBB192_21
; %bb.22:
	s_or_b64 exec, exec, s[2:3]
.LBB192_23:
	s_or_b64 exec, exec, s[4:5]
.LBB192_24:
	v_mov_b32_dpp v0, v10 row_shr:1 row_mask:0xf bank_mask:0xf
	v_mov_b32_dpp v12, v8 row_shr:1 row_mask:0xf bank_mask:0xf
	v_add_f32_e32 v0, v10, v0
	v_mov_b32_dpp v10, v11 row_shr:1 row_mask:0xf bank_mask:0xf
	v_add_f32_e32 v13, v8, v12
	;; [unrolled: 2-line block ×3, first 2 shown]
	v_add_f32_e32 v9, v9, v8
	v_mov_b32_dpp v1, v0 row_shr:2 row_mask:0xf bank_mask:0xf
	v_mov_b32_dpp v11, v10 row_shr:2 row_mask:0xf bank_mask:0xf
	;; [unrolled: 1-line block ×4, first 2 shown]
	v_cmp_eq_u32_e32 vcc, 3, v7
	s_and_b64 exec, exec, vcc
	s_cbranch_execz .LBB192_29
; %bb.25:
	s_load_dwordx2 s[2:3], s[0:1], 0x38
	v_add_f32_e32 v8, v0, v1
	v_and_b32_e32 v1, 0x7fffffff, v4
	v_cmp_eq_u32_e32 vcc, 0, v1
	v_cmp_eq_f32_e64 s[0:1], 0, v5
	v_add_f32_e32 v12, v10, v11
	v_add_f32_e32 v0, v13, v14
	;; [unrolled: 1-line block ×3, first 2 shown]
	s_and_b64 s[0:1], vcc, s[0:1]
	s_and_saveexec_b64 s[4:5], s[0:1]
	s_xor_b64 s[0:1], exec, s[4:5]
	s_cbranch_execz .LBB192_27
; %bb.26:
	v_lshlrev_b32_e32 v4, 1, v6
	v_xor_b32_e32 v14, 0x80000000, v3
	v_ashrrev_i32_e32 v5, 31, v4
	v_mov_b32_e32 v15, v2
	s_waitcnt lgkmcnt(0)
	v_lshl_add_u64 v[16:17], v[4:5], 3, s[2:3]
	v_pk_mul_f32 v[4:5], v[12:13], v[14:15] op_sel_hi:[0,1]
	v_pk_mul_f32 v[6:7], v[10:11], v[14:15] op_sel_hi:[0,1]
	v_pk_fma_f32 v[4:5], v[2:3], v[8:9], v[4:5] op_sel_hi:[1,0,1]
	v_pk_fma_f32 v[6:7], v[2:3], v[0:1], v[6:7] op_sel_hi:[1,0,1]
	global_store_dwordx4 v[16:17], v[4:7], off
                                        ; implicit-def: $vgpr3
                                        ; implicit-def: $vgpr4
                                        ; implicit-def: $vgpr6
                                        ; implicit-def: $vgpr8
                                        ; implicit-def: $vgpr12
                                        ; implicit-def: $vgpr0
                                        ; implicit-def: $vgpr10
.LBB192_27:
	s_andn2_saveexec_b64 s[0:1], s[0:1]
	s_cbranch_execz .LBB192_29
; %bb.28:
	v_lshlrev_b32_e32 v6, 1, v6
	v_ashrrev_i32_e32 v7, 31, v6
	s_waitcnt lgkmcnt(0)
	v_lshl_add_u64 v[6:7], v[6:7], 3, s[2:3]
	global_load_dwordx4 v[14:17], v[6:7], off
	v_xor_b32_e32 v18, 0x80000000, v3
	v_mov_b32_e32 v19, v2
	v_pk_mul_f32 v[12:13], v[12:13], v[18:19] op_sel_hi:[0,1]
	v_pk_mul_f32 v[10:11], v[10:11], v[18:19] op_sel_hi:[0,1]
	v_pk_fma_f32 v[8:9], v[2:3], v[8:9], v[12:13] op_sel_hi:[1,0,1]
	v_pk_fma_f32 v[0:1], v[2:3], v[0:1], v[10:11] op_sel_hi:[1,0,1]
	v_xor_b32_e32 v20, 0x80000000, v5
	v_mov_b32_e32 v21, v4
	s_waitcnt vmcnt(0)
	v_pk_fma_f32 v[2:3], v[4:5], v[14:15], v[8:9] op_sel_hi:[1,0,1]
	v_pk_fma_f32 v[4:5], v[4:5], v[16:17], v[0:1] op_sel_hi:[1,0,1]
	v_mov_b32_e32 v8, v17
	v_pk_fma_f32 v[0:1], v[20:21], v[14:15], v[2:3] op_sel:[0,1,0]
	v_pk_fma_f32 v[2:3], v[20:21], v[8:9], v[4:5] op_sel_hi:[1,0,1]
	global_store_dwordx4 v[6:7], v[0:3], off
.LBB192_29:
	s_endpgm
	.section	.rodata,"a",@progbits
	.p2align	6, 0x0
	.amdhsa_kernel _ZN9rocsparseL19gebsrmvn_2xn_kernelILj128ELj10ELj4E21rocsparse_complex_numIfEEEvi20rocsparse_direction_NS_24const_host_device_scalarIT2_EEPKiS8_PKS5_SA_S6_PS5_21rocsparse_index_base_b
		.amdhsa_group_segment_fixed_size 0
		.amdhsa_private_segment_fixed_size 0
		.amdhsa_kernarg_size 72
		.amdhsa_user_sgpr_count 2
		.amdhsa_user_sgpr_dispatch_ptr 0
		.amdhsa_user_sgpr_queue_ptr 0
		.amdhsa_user_sgpr_kernarg_segment_ptr 1
		.amdhsa_user_sgpr_dispatch_id 0
		.amdhsa_user_sgpr_kernarg_preload_length 0
		.amdhsa_user_sgpr_kernarg_preload_offset 0
		.amdhsa_user_sgpr_private_segment_size 0
		.amdhsa_uses_dynamic_stack 0
		.amdhsa_enable_private_segment 0
		.amdhsa_system_sgpr_workgroup_id_x 1
		.amdhsa_system_sgpr_workgroup_id_y 0
		.amdhsa_system_sgpr_workgroup_id_z 0
		.amdhsa_system_sgpr_workgroup_info 0
		.amdhsa_system_vgpr_workitem_id 0
		.amdhsa_next_free_vgpr 86
		.amdhsa_next_free_sgpr 16
		.amdhsa_accum_offset 88
		.amdhsa_reserve_vcc 1
		.amdhsa_float_round_mode_32 0
		.amdhsa_float_round_mode_16_64 0
		.amdhsa_float_denorm_mode_32 3
		.amdhsa_float_denorm_mode_16_64 3
		.amdhsa_dx10_clamp 1
		.amdhsa_ieee_mode 1
		.amdhsa_fp16_overflow 0
		.amdhsa_tg_split 0
		.amdhsa_exception_fp_ieee_invalid_op 0
		.amdhsa_exception_fp_denorm_src 0
		.amdhsa_exception_fp_ieee_div_zero 0
		.amdhsa_exception_fp_ieee_overflow 0
		.amdhsa_exception_fp_ieee_underflow 0
		.amdhsa_exception_fp_ieee_inexact 0
		.amdhsa_exception_int_div_zero 0
	.end_amdhsa_kernel
	.section	.text._ZN9rocsparseL19gebsrmvn_2xn_kernelILj128ELj10ELj4E21rocsparse_complex_numIfEEEvi20rocsparse_direction_NS_24const_host_device_scalarIT2_EEPKiS8_PKS5_SA_S6_PS5_21rocsparse_index_base_b,"axG",@progbits,_ZN9rocsparseL19gebsrmvn_2xn_kernelILj128ELj10ELj4E21rocsparse_complex_numIfEEEvi20rocsparse_direction_NS_24const_host_device_scalarIT2_EEPKiS8_PKS5_SA_S6_PS5_21rocsparse_index_base_b,comdat
.Lfunc_end192:
	.size	_ZN9rocsparseL19gebsrmvn_2xn_kernelILj128ELj10ELj4E21rocsparse_complex_numIfEEEvi20rocsparse_direction_NS_24const_host_device_scalarIT2_EEPKiS8_PKS5_SA_S6_PS5_21rocsparse_index_base_b, .Lfunc_end192-_ZN9rocsparseL19gebsrmvn_2xn_kernelILj128ELj10ELj4E21rocsparse_complex_numIfEEEvi20rocsparse_direction_NS_24const_host_device_scalarIT2_EEPKiS8_PKS5_SA_S6_PS5_21rocsparse_index_base_b
                                        ; -- End function
	.section	.AMDGPU.csdata,"",@progbits
; Kernel info:
; codeLenInByte = 2684
; NumSgprs: 22
; NumVgprs: 86
; NumAgprs: 0
; TotalNumVgprs: 86
; ScratchSize: 0
; MemoryBound: 0
; FloatMode: 240
; IeeeMode: 1
; LDSByteSize: 0 bytes/workgroup (compile time only)
; SGPRBlocks: 2
; VGPRBlocks: 10
; NumSGPRsForWavesPerEU: 22
; NumVGPRsForWavesPerEU: 86
; AccumOffset: 88
; Occupancy: 5
; WaveLimiterHint : 1
; COMPUTE_PGM_RSRC2:SCRATCH_EN: 0
; COMPUTE_PGM_RSRC2:USER_SGPR: 2
; COMPUTE_PGM_RSRC2:TRAP_HANDLER: 0
; COMPUTE_PGM_RSRC2:TGID_X_EN: 1
; COMPUTE_PGM_RSRC2:TGID_Y_EN: 0
; COMPUTE_PGM_RSRC2:TGID_Z_EN: 0
; COMPUTE_PGM_RSRC2:TIDIG_COMP_CNT: 0
; COMPUTE_PGM_RSRC3_GFX90A:ACCUM_OFFSET: 21
; COMPUTE_PGM_RSRC3_GFX90A:TG_SPLIT: 0
	.section	.text._ZN9rocsparseL19gebsrmvn_2xn_kernelILj128ELj10ELj8E21rocsparse_complex_numIfEEEvi20rocsparse_direction_NS_24const_host_device_scalarIT2_EEPKiS8_PKS5_SA_S6_PS5_21rocsparse_index_base_b,"axG",@progbits,_ZN9rocsparseL19gebsrmvn_2xn_kernelILj128ELj10ELj8E21rocsparse_complex_numIfEEEvi20rocsparse_direction_NS_24const_host_device_scalarIT2_EEPKiS8_PKS5_SA_S6_PS5_21rocsparse_index_base_b,comdat
	.globl	_ZN9rocsparseL19gebsrmvn_2xn_kernelILj128ELj10ELj8E21rocsparse_complex_numIfEEEvi20rocsparse_direction_NS_24const_host_device_scalarIT2_EEPKiS8_PKS5_SA_S6_PS5_21rocsparse_index_base_b ; -- Begin function _ZN9rocsparseL19gebsrmvn_2xn_kernelILj128ELj10ELj8E21rocsparse_complex_numIfEEEvi20rocsparse_direction_NS_24const_host_device_scalarIT2_EEPKiS8_PKS5_SA_S6_PS5_21rocsparse_index_base_b
	.p2align	8
	.type	_ZN9rocsparseL19gebsrmvn_2xn_kernelILj128ELj10ELj8E21rocsparse_complex_numIfEEEvi20rocsparse_direction_NS_24const_host_device_scalarIT2_EEPKiS8_PKS5_SA_S6_PS5_21rocsparse_index_base_b,@function
_ZN9rocsparseL19gebsrmvn_2xn_kernelILj128ELj10ELj8E21rocsparse_complex_numIfEEEvi20rocsparse_direction_NS_24const_host_device_scalarIT2_EEPKiS8_PKS5_SA_S6_PS5_21rocsparse_index_base_b: ; @_ZN9rocsparseL19gebsrmvn_2xn_kernelILj128ELj10ELj8E21rocsparse_complex_numIfEEEvi20rocsparse_direction_NS_24const_host_device_scalarIT2_EEPKiS8_PKS5_SA_S6_PS5_21rocsparse_index_base_b
; %bb.0:
	s_load_dwordx2 s[12:13], s[0:1], 0x40
	s_load_dwordx2 s[8:9], s[0:1], 0x8
	;; [unrolled: 1-line block ×3, first 2 shown]
	s_waitcnt lgkmcnt(0)
	s_bitcmp1_b32 s13, 0
	s_cselect_b64 s[4:5], -1, 0
	s_xor_b64 s[10:11], s[4:5], -1
	s_and_b64 vcc, exec, s[4:5]
	v_mov_b32_e32 v2, s8
	s_cbranch_vccnz .LBB193_2
; %bb.1:
	v_mov_b64_e32 v[2:3], s[8:9]
	flat_load_dword v2, v[2:3]
.LBB193_2:
	v_cndmask_b32_e64 v1, 0, 1, s[10:11]
	v_cmp_ne_u32_e64 s[4:5], 1, v1
	s_andn2_b64 vcc, exec, s[10:11]
	v_mov_b32_e32 v3, s9
	s_cbranch_vccz .LBB193_16
; %bb.3:
	s_and_b64 vcc, exec, s[4:5]
	v_mov_b32_e32 v4, s6
	s_cbranch_vccz .LBB193_17
.LBB193_4:
	s_and_b64 vcc, exec, s[4:5]
	v_mov_b32_e32 v5, s7
	s_cbranch_vccnz .LBB193_6
.LBB193_5:
	v_mov_b64_e32 v[6:7], s[6:7]
	flat_load_dword v5, v[6:7] offset:4
.LBB193_6:
	s_waitcnt vmcnt(0) lgkmcnt(0)
	v_and_b32_e32 v1, 0x7fffffff, v2
	v_cmp_eq_u32_e32 vcc, 0, v1
	v_cmp_eq_f32_e64 s[4:5], 0, v3
	s_and_b64 s[8:9], vcc, s[4:5]
	s_mov_b64 s[4:5], -1
	s_and_saveexec_b64 s[6:7], s[8:9]
; %bb.7:
	v_and_b32_e32 v1, 0x7fffffff, v5
	v_cmp_neq_f32_e32 vcc, 1.0, v4
	v_cmp_ne_u32_e64 s[4:5], 0, v1
	s_or_b64 s[4:5], vcc, s[4:5]
	s_orn2_b64 s[4:5], s[4:5], exec
; %bb.8:
	s_or_b64 exec, exec, s[6:7]
	s_and_saveexec_b64 s[6:7], s[4:5]
	s_cbranch_execz .LBB193_29
; %bb.9:
	s_load_dwordx2 s[14:15], s[0:1], 0x0
	v_lshrrev_b32_e32 v1, 3, v0
	v_lshl_or_b32 v6, s2, 4, v1
	s_waitcnt lgkmcnt(0)
	v_cmp_gt_i32_e32 vcc, s14, v6
	s_and_b64 exec, exec, vcc
	s_cbranch_execz .LBB193_29
; %bb.10:
	s_load_dwordx8 s[4:11], s[0:1], 0x10
	v_ashrrev_i32_e32 v7, 31, v6
	s_cmp_lg_u32 s15, 0
	s_waitcnt lgkmcnt(0)
	v_lshl_add_u64 v[8:9], v[6:7], 2, s[4:5]
	global_load_dwordx2 v[8:9], v[8:9], off
	v_and_b32_e32 v7, 7, v0
	s_waitcnt vmcnt(0)
	v_subrev_u32_e32 v0, s12, v8
	v_subrev_u32_e32 v18, s12, v9
	v_add_u32_e32 v0, v0, v7
	v_cmp_lt_i32_e64 s[2:3], v0, v18
	s_cbranch_scc0 .LBB193_18
; %bb.11:
	v_mov_b32_e32 v11, 0
	v_mov_b32_e32 v10, v11
	;; [unrolled: 1-line block ×4, first 2 shown]
	s_and_saveexec_b64 s[4:5], s[2:3]
	s_cbranch_execz .LBB193_15
; %bb.12:
	v_mad_u64_u32 v[12:13], s[14:15], v0, 20, 18
	v_mov_b32_e32 v15, 0
	s_mov_b64 s[14:15], 0
	v_mov_b32_e32 v16, v0
	v_mov_b32_e32 v8, v15
	;; [unrolled: 1-line block ×5, first 2 shown]
.LBB193_13:                             ; =>This Inner Loop Header: Depth=1
	v_ashrrev_i32_e32 v17, 31, v16
	v_lshl_add_u64 v[20:21], v[16:17], 2, s[6:7]
	global_load_dword v1, v[20:21], off
	v_subrev_u32_e32 v14, 18, v12
	v_mov_b32_e32 v65, v15
	v_lshl_add_u64 v[28:29], v[14:15], 3, s[8:9]
	global_load_dwordx4 v[20:23], v[28:29], off
	global_load_dwordx4 v[24:27], v[28:29], off offset:16
	v_add_u32_e32 v14, -14, v12
	v_lshl_add_u64 v[28:29], v[14:15], 3, s[8:9]
	global_load_dwordx4 v[28:31], v[28:29], off
	v_mov_b32_e32 v13, v15
	v_lshl_add_u64 v[80:81], v[12:13], 3, s[8:9]
	v_add_u32_e32 v16, 8, v16
	v_cmp_ge_i32_e32 vcc, v16, v18
	s_or_b64 s[14:15], vcc, s[14:15]
	s_waitcnt vmcnt(3)
	v_subrev_u32_e32 v1, s12, v1
	v_mul_lo_u32 v64, v1, 10
	v_lshl_add_u64 v[32:33], v[64:65], 3, s[10:11]
	global_load_dwordx4 v[32:35], v[32:33], off
	v_add_u32_e32 v14, 2, v64
	v_lshl_add_u64 v[36:37], v[14:15], 3, s[10:11]
	global_load_dwordx4 v[36:39], v[36:37], off
	v_add_u32_e32 v14, -12, v12
	v_lshl_add_u64 v[40:41], v[14:15], 3, s[8:9]
	v_add_u32_e32 v14, -10, v12
	v_lshl_add_u64 v[44:45], v[14:15], 3, s[8:9]
	v_add_u32_e32 v14, 4, v64
	global_load_dwordx4 v[40:43], v[40:41], off
	v_lshl_add_u64 v[48:49], v[14:15], 3, s[10:11]
	global_load_dwordx4 v[44:47], v[44:45], off
	v_add_u32_e32 v14, -8, v12
	global_load_dwordx4 v[48:51], v[48:49], off
	v_lshl_add_u64 v[52:53], v[14:15], 3, s[8:9]
	v_add_u32_e32 v14, -6, v12
	v_lshl_add_u64 v[56:57], v[14:15], 3, s[8:9]
	v_add_u32_e32 v14, 6, v64
	global_load_dwordx4 v[52:55], v[52:53], off
	v_lshl_add_u64 v[60:61], v[14:15], 3, s[10:11]
	global_load_dwordx4 v[56:59], v[56:57], off
	v_add_u32_e32 v14, -4, v12
	global_load_dwordx4 v[60:63], v[60:61], off
	v_lshl_add_u64 v[66:67], v[14:15], 3, s[8:9]
	v_add_u32_e32 v14, -2, v12
	v_lshl_add_u64 v[82:83], v[14:15], 3, s[8:9]
	v_add_u32_e32 v14, 8, v64
	global_load_dwordx4 v[64:67], v[66:67], off
	v_lshl_add_u64 v[84:85], v[14:15], 3, s[10:11]
	global_load_dwordx4 v[68:71], v[82:83], off
	global_load_dwordx4 v[72:75], v[84:85], off
	;; [unrolled: 1-line block ×3, first 2 shown]
	s_waitcnt vmcnt(14)
	v_xor_b32_e32 v80, 0x80000000, v23
	v_mov_b32_e32 v81, v22
	s_waitcnt vmcnt(13)
	v_xor_b32_e32 v82, 0x80000000, v27
	v_mov_b32_e32 v83, v26
	v_add_u32_e32 v12, 0xa0, v12
	s_waitcnt vmcnt(11)
	v_pk_fma_f32 v[10:11], v[20:21], v[32:33], v[10:11] op_sel_hi:[1,0,1]
	v_pk_fma_f32 v[8:9], v[22:23], v[32:33], v[8:9] op_sel_hi:[1,0,1]
	v_pk_fma_f32 v[10:11], v[20:21], v[32:33], v[10:11] op_sel:[1,1,0] op_sel_hi:[0,1,1] neg_lo:[1,0,0]
	v_pk_fma_f32 v[8:9], v[80:81], v[32:33], v[8:9] op_sel:[0,1,0]
	v_mov_b32_e32 v14, v35
	v_pk_fma_f32 v[10:11], v[24:25], v[34:35], v[10:11] op_sel_hi:[1,0,1]
	v_pk_fma_f32 v[8:9], v[26:27], v[34:35], v[8:9] op_sel_hi:[1,0,1]
	v_pk_fma_f32 v[10:11], v[24:25], v[14:15], v[10:11] op_sel:[1,0,0] op_sel_hi:[0,0,1] neg_lo:[1,0,0]
	v_pk_fma_f32 v[8:9], v[82:83], v[14:15], v[8:9] op_sel_hi:[1,0,1]
	v_xor_b32_e32 v22, 0x80000000, v31
	v_mov_b32_e32 v23, v30
	s_waitcnt vmcnt(10)
	v_pk_fma_f32 v[10:11], v[28:29], v[36:37], v[10:11] op_sel_hi:[1,0,1]
	v_pk_fma_f32 v[8:9], v[30:31], v[36:37], v[8:9] op_sel_hi:[1,0,1]
	v_pk_fma_f32 v[10:11], v[28:29], v[36:37], v[10:11] op_sel:[1,1,0] op_sel_hi:[0,1,1] neg_lo:[1,0,0]
	v_pk_fma_f32 v[8:9], v[22:23], v[36:37], v[8:9] op_sel:[0,1,0]
	v_mov_b32_e32 v26, v39
	s_waitcnt vmcnt(9)
	v_xor_b32_e32 v32, 0x80000000, v43
	v_mov_b32_e32 v33, v42
	v_pk_fma_f32 v[10:11], v[40:41], v[38:39], v[10:11] op_sel_hi:[1,0,1]
	v_pk_fma_f32 v[8:9], v[42:43], v[38:39], v[8:9] op_sel_hi:[1,0,1]
	v_pk_fma_f32 v[10:11], v[40:41], v[26:27], v[10:11] op_sel:[1,0,0] op_sel_hi:[0,0,1] neg_lo:[1,0,0]
	v_pk_fma_f32 v[8:9], v[32:33], v[26:27], v[8:9] op_sel_hi:[1,0,1]
	s_waitcnt vmcnt(8)
	v_xor_b32_e32 v24, 0x80000000, v47
	v_mov_b32_e32 v25, v46
	s_waitcnt vmcnt(7)
	v_pk_fma_f32 v[10:11], v[44:45], v[48:49], v[10:11] op_sel_hi:[1,0,1]
	v_pk_fma_f32 v[8:9], v[46:47], v[48:49], v[8:9] op_sel_hi:[1,0,1]
	v_pk_fma_f32 v[10:11], v[44:45], v[48:49], v[10:11] op_sel:[1,1,0] op_sel_hi:[0,1,1] neg_lo:[1,0,0]
	v_pk_fma_f32 v[8:9], v[24:25], v[48:49], v[8:9] op_sel:[0,1,0]
	v_mov_b32_e32 v14, v51
	s_waitcnt vmcnt(6)
	v_xor_b32_e32 v22, 0x80000000, v55
	v_mov_b32_e32 v23, v54
	v_pk_fma_f32 v[10:11], v[52:53], v[50:51], v[10:11] op_sel_hi:[1,0,1]
	v_pk_fma_f32 v[8:9], v[54:55], v[50:51], v[8:9] op_sel_hi:[1,0,1]
	v_pk_fma_f32 v[10:11], v[52:53], v[14:15], v[10:11] op_sel:[1,0,0] op_sel_hi:[0,0,1] neg_lo:[1,0,0]
	v_pk_fma_f32 v[8:9], v[22:23], v[14:15], v[8:9] op_sel_hi:[1,0,1]
	s_waitcnt vmcnt(5)
	;; [unrolled: 16-line block ×3, first 2 shown]
	v_xor_b32_e32 v24, 0x80000000, v71
	v_mov_b32_e32 v25, v70
	s_waitcnt vmcnt(1)
	v_pk_fma_f32 v[10:11], v[68:69], v[72:73], v[10:11] op_sel_hi:[1,0,1]
	v_pk_fma_f32 v[8:9], v[70:71], v[72:73], v[8:9] op_sel_hi:[1,0,1]
	v_pk_fma_f32 v[10:11], v[68:69], v[72:73], v[10:11] op_sel:[1,1,0] op_sel_hi:[0,1,1] neg_lo:[1,0,0]
	v_pk_fma_f32 v[8:9], v[24:25], v[72:73], v[8:9] op_sel:[0,1,0]
	s_waitcnt vmcnt(0)
	v_xor_b32_e32 v20, 0x80000000, v79
	v_mov_b32_e32 v21, v78
	v_mov_b32_e32 v32, v75
	v_pk_fma_f32 v[10:11], v[76:77], v[74:75], v[10:11] op_sel_hi:[1,0,1]
	v_pk_fma_f32 v[8:9], v[78:79], v[74:75], v[8:9] op_sel_hi:[1,0,1]
	v_pk_fma_f32 v[10:11], v[76:77], v[32:33], v[10:11] op_sel:[1,0,0] op_sel_hi:[0,0,1] neg_lo:[1,0,0]
	v_pk_fma_f32 v[8:9], v[20:21], v[32:33], v[8:9] op_sel_hi:[1,0,1]
	s_andn2_b64 exec, exec, s[14:15]
	s_cbranch_execnz .LBB193_13
; %bb.14:
	s_or_b64 exec, exec, s[14:15]
.LBB193_15:
	s_or_b64 exec, exec, s[4:5]
	s_cbranch_execz .LBB193_19
	s_branch .LBB193_24
.LBB193_16:
	v_mov_b64_e32 v[4:5], s[8:9]
	flat_load_dword v3, v[4:5] offset:4
	s_and_b64 vcc, exec, s[4:5]
	v_mov_b32_e32 v4, s6
	s_cbranch_vccnz .LBB193_4
.LBB193_17:
	v_mov_b64_e32 v[4:5], s[6:7]
	flat_load_dword v4, v[4:5]
	s_and_b64 vcc, exec, s[4:5]
	v_mov_b32_e32 v5, s7
	s_cbranch_vccz .LBB193_5
	s_branch .LBB193_6
.LBB193_18:
                                        ; implicit-def: $vgpr11
                                        ; implicit-def: $vgpr9
.LBB193_19:
	v_mov_b32_e32 v11, 0
	v_mov_b32_e32 v10, v11
	;; [unrolled: 1-line block ×4, first 2 shown]
	s_and_saveexec_b64 s[4:5], s[2:3]
	s_cbranch_execz .LBB193_23
; %bb.20:
	v_mad_u64_u32 v[12:13], s[2:3], v0, 20, 19
	v_mov_b32_e32 v15, 0
	s_mov_b64 s[2:3], 0
	v_mov_b32_e32 v8, v15
	v_mov_b32_e32 v9, v15
	;; [unrolled: 1-line block ×4, first 2 shown]
.LBB193_21:                             ; =>This Inner Loop Header: Depth=1
	v_ashrrev_i32_e32 v1, 31, v0
	v_subrev_u32_e32 v14, 19, v12
	v_add_u32_e32 v20, -9, v12
	v_mov_b32_e32 v21, v15
	v_lshl_add_u64 v[28:29], v[0:1], 2, s[6:7]
	v_lshl_add_u64 v[30:31], v[14:15], 3, s[8:9]
	;; [unrolled: 1-line block ×3, first 2 shown]
	global_load_dword v1, v[28:29], off
	global_load_dwordx4 v[20:23], v[30:31], off
	global_load_dwordx4 v[24:27], v[30:31], off offset:16
	v_mov_b32_e32 v13, v15
	v_add_u32_e32 v14, -8, v12
	v_mov_b32_e32 v17, v15
	v_lshl_add_u64 v[34:35], v[12:13], 3, s[8:9]
	v_lshl_add_u64 v[28:29], v[14:15], 3, s[8:9]
	global_load_dwordx2 v[44:45], v[34:35], off
	global_load_dwordx2 v[46:47], v[32:33], off
	global_load_dwordx2 v[48:49], v[28:29], off
	v_add_u32_e32 v0, 8, v0
	v_cmp_ge_i32_e32 vcc, v0, v18
	s_or_b64 s[2:3], vcc, s[2:3]
	s_waitcnt vmcnt(5)
	v_subrev_u32_e32 v1, s12, v1
	v_mul_lo_u32 v16, v1, 10
	v_lshl_add_u64 v[28:29], v[16:17], 3, s[10:11]
	global_load_dwordx4 v[28:31], v[28:29], off
	v_add_u32_e32 v14, 2, v16
	v_lshl_add_u64 v[32:33], v[14:15], 3, s[10:11]
	global_load_dwordx4 v[32:35], v[32:33], off
	v_add_u32_e32 v14, -7, v12
	v_lshl_add_u64 v[36:37], v[14:15], 3, s[8:9]
	v_add_u32_e32 v14, -6, v12
	v_lshl_add_u64 v[38:39], v[14:15], 3, s[8:9]
	v_add_u32_e32 v14, -15, v12
	global_load_dwordx2 v[52:53], v[36:37], off
	v_lshl_add_u64 v[36:37], v[14:15], 3, s[8:9]
	v_add_u32_e32 v14, 4, v16
	v_lshl_add_u64 v[40:41], v[14:15], 3, s[10:11]
	v_add_u32_e32 v14, -5, v12
	v_lshl_add_u64 v[42:43], v[14:15], 3, s[8:9]
	v_add_u32_e32 v14, -14, v12
	global_load_dwordx2 v[54:55], v[36:37], off
	global_load_dwordx2 v[56:57], v[38:39], off
	;; [unrolled: 1-line block ×3, first 2 shown]
	s_waitcnt vmcnt(10)
	v_xor_b32_e32 v50, 0x80000000, v23
	global_load_dwordx4 v[36:39], v[40:41], off
	v_lshl_add_u64 v[40:41], v[14:15], 3, s[8:9]
	global_load_dwordx2 v[60:61], v[40:41], off
	v_add_u32_e32 v14, -4, v12
	v_lshl_add_u64 v[42:43], v[14:15], 3, s[8:9]
	v_add_u32_e32 v14, -13, v12
	v_lshl_add_u64 v[40:41], v[14:15], 3, s[8:9]
	v_add_u32_e32 v14, 6, v16
	v_lshl_add_u64 v[62:63], v[14:15], 3, s[10:11]
	v_add_u32_e32 v14, -3, v12
	v_lshl_add_u64 v[68:69], v[14:15], 3, s[8:9]
	v_add_u32_e32 v14, -12, v12
	global_load_dwordx2 v[64:65], v[40:41], off
	global_load_dwordx2 v[66:67], v[42:43], off
	v_mov_b32_e32 v51, v22
	global_load_dwordx4 v[40:43], v[62:63], off
	v_lshl_add_u64 v[62:63], v[14:15], 3, s[8:9]
	v_add_u32_e32 v14, -2, v12
	v_lshl_add_u64 v[70:71], v[14:15], 3, s[8:9]
	v_add_u32_e32 v14, -11, v12
	v_lshl_add_u64 v[72:73], v[14:15], 3, s[8:9]
	global_load_dwordx2 v[62:63], v[62:63], off
	v_add_u32_e32 v14, 8, v16
	global_load_dwordx2 v[74:75], v[72:73], off
	global_load_dwordx2 v[76:77], v[70:71], off
	;; [unrolled: 1-line block ×3, first 2 shown]
	v_lshl_add_u64 v[16:17], v[14:15], 3, s[10:11]
	v_add_u32_e32 v14, -1, v12
	s_waitcnt vmcnt(14)
	v_pk_fma_f32 v[10:11], v[20:21], v[28:29], v[10:11] op_sel_hi:[1,0,1]
	s_nop 0
	v_pk_fma_f32 v[10:11], v[20:21], v[28:29], v[10:11] op_sel:[1,1,0] op_sel_hi:[0,1,1] neg_lo:[1,0,0]
	v_pk_fma_f32 v[10:11], v[22:23], v[30:31], v[10:11] op_sel_hi:[1,0,1]
	global_load_dwordx4 v[20:23], v[16:17], off
	v_lshl_add_u64 v[16:17], v[14:15], 3, s[8:9]
	v_add_u32_e32 v14, -10, v12
	v_pk_fma_f32 v[8:9], v[46:47], v[28:29], v[8:9] op_sel_hi:[1,0,1]
	v_add_u32_e32 v12, 0xa0, v12
	v_pk_fma_f32 v[8:9], v[46:47], v[28:29], v[8:9] op_sel:[1,1,0] op_sel_hi:[0,1,1] neg_lo:[1,0,0]
	v_lshl_add_u64 v[28:29], v[14:15], 3, s[8:9]
	global_load_dwordx2 v[46:47], v[28:29], off
	global_load_dwordx2 v[68:69], v[16:17], off
	v_pk_fma_f32 v[8:9], v[48:49], v[30:31], v[8:9] op_sel_hi:[1,0,1]
	v_mov_b32_e32 v14, v31
	v_pk_fma_f32 v[10:11], v[50:51], v[14:15], v[10:11] op_sel_hi:[1,0,1]
	v_pk_fma_f32 v[8:9], v[48:49], v[14:15], v[8:9] op_sel:[1,0,0] op_sel_hi:[0,0,1] neg_lo:[1,0,0]
	s_waitcnt vmcnt(16)
	v_pk_fma_f32 v[10:11], v[24:25], v[32:33], v[10:11] op_sel_hi:[1,0,1]
	s_waitcnt vmcnt(15)
	v_pk_fma_f32 v[8:9], v[52:53], v[32:33], v[8:9] op_sel_hi:[1,0,1]
	v_pk_fma_f32 v[10:11], v[24:25], v[32:33], v[10:11] op_sel:[1,1,0] op_sel_hi:[0,1,1] neg_lo:[1,0,0]
	v_pk_fma_f32 v[8:9], v[52:53], v[32:33], v[8:9] op_sel:[1,1,0] op_sel_hi:[0,1,1] neg_lo:[1,0,0]
	v_xor_b32_e32 v16, 0x80000000, v27
	v_mov_b32_e32 v17, v26
	v_mov_b32_e32 v28, v35
	v_pk_fma_f32 v[10:11], v[26:27], v[34:35], v[10:11] op_sel_hi:[1,0,1]
	s_waitcnt vmcnt(13)
	v_pk_fma_f32 v[8:9], v[56:57], v[34:35], v[8:9] op_sel_hi:[1,0,1]
	v_pk_fma_f32 v[10:11], v[16:17], v[28:29], v[10:11] op_sel_hi:[1,0,1]
	v_pk_fma_f32 v[8:9], v[56:57], v[28:29], v[8:9] op_sel:[1,0,0] op_sel_hi:[0,0,1] neg_lo:[1,0,0]
	s_waitcnt vmcnt(11)
	v_pk_fma_f32 v[10:11], v[54:55], v[36:37], v[10:11] op_sel_hi:[1,0,1]
	v_pk_fma_f32 v[8:9], v[58:59], v[36:37], v[8:9] op_sel_hi:[1,0,1]
	v_pk_fma_f32 v[10:11], v[54:55], v[36:37], v[10:11] op_sel:[1,1,0] op_sel_hi:[0,1,1] neg_lo:[1,0,0]
	v_pk_fma_f32 v[8:9], v[58:59], v[36:37], v[8:9] op_sel:[1,1,0] op_sel_hi:[0,1,1] neg_lo:[1,0,0]
	v_mov_b32_e32 v14, v39
	s_waitcnt vmcnt(10)
	v_pk_fma_f32 v[10:11], v[60:61], v[38:39], v[10:11] op_sel_hi:[1,0,1]
	s_waitcnt vmcnt(8)
	v_pk_fma_f32 v[8:9], v[66:67], v[38:39], v[8:9] op_sel_hi:[1,0,1]
	v_pk_fma_f32 v[10:11], v[60:61], v[14:15], v[10:11] op_sel:[1,0,0] op_sel_hi:[0,0,1] neg_lo:[1,0,0]
	v_pk_fma_f32 v[8:9], v[66:67], v[14:15], v[8:9] op_sel:[1,0,0] op_sel_hi:[0,0,1] neg_lo:[1,0,0]
	s_waitcnt vmcnt(7)
	v_pk_fma_f32 v[10:11], v[64:65], v[40:41], v[10:11] op_sel_hi:[1,0,1]
	v_mov_b32_e32 v16, v43
	v_pk_fma_f32 v[10:11], v[64:65], v[40:41], v[10:11] op_sel:[1,1,0] op_sel_hi:[0,1,1] neg_lo:[1,0,0]
	s_waitcnt vmcnt(6)
	v_pk_fma_f32 v[10:11], v[62:63], v[42:43], v[10:11] op_sel_hi:[1,0,1]
	s_nop 0
	v_pk_fma_f32 v[10:11], v[62:63], v[16:17], v[10:11] op_sel:[1,0,0] op_sel_hi:[0,0,1] neg_lo:[1,0,0]
	s_waitcnt vmcnt(3)
	v_pk_fma_f32 v[8:9], v[78:79], v[40:41], v[8:9] op_sel_hi:[1,0,1]
	s_waitcnt vmcnt(2)
	v_pk_fma_f32 v[10:11], v[74:75], v[20:21], v[10:11] op_sel_hi:[1,0,1]
	v_pk_fma_f32 v[8:9], v[78:79], v[40:41], v[8:9] op_sel:[1,1,0] op_sel_hi:[0,1,1] neg_lo:[1,0,0]
	v_pk_fma_f32 v[8:9], v[76:77], v[42:43], v[8:9] op_sel_hi:[1,0,1]
	v_pk_fma_f32 v[10:11], v[74:75], v[20:21], v[10:11] op_sel:[1,1,0] op_sel_hi:[0,1,1] neg_lo:[1,0,0]
	v_pk_fma_f32 v[8:9], v[76:77], v[16:17], v[8:9] op_sel:[1,0,0] op_sel_hi:[0,0,1] neg_lo:[1,0,0]
	v_mov_b32_e32 v14, v23
	s_waitcnt vmcnt(1)
	v_pk_fma_f32 v[10:11], v[46:47], v[22:23], v[10:11] op_sel_hi:[1,0,1]
	s_waitcnt vmcnt(0)
	v_pk_fma_f32 v[8:9], v[68:69], v[20:21], v[8:9] op_sel_hi:[1,0,1]
	v_pk_fma_f32 v[10:11], v[46:47], v[14:15], v[10:11] op_sel:[1,0,0] op_sel_hi:[0,0,1] neg_lo:[1,0,0]
	v_pk_fma_f32 v[8:9], v[68:69], v[20:21], v[8:9] op_sel:[1,1,0] op_sel_hi:[0,1,1] neg_lo:[1,0,0]
	v_pk_fma_f32 v[8:9], v[44:45], v[22:23], v[8:9] op_sel_hi:[1,0,1]
	s_nop 0
	v_pk_fma_f32 v[8:9], v[44:45], v[14:15], v[8:9] op_sel:[1,0,0] op_sel_hi:[0,0,1] neg_lo:[1,0,0]
	s_andn2_b64 exec, exec, s[2:3]
	s_cbranch_execnz .LBB193_21
; %bb.22:
	s_or_b64 exec, exec, s[2:3]
.LBB193_23:
	s_or_b64 exec, exec, s[4:5]
.LBB193_24:
	v_mov_b32_dpp v12, v8 row_shr:1 row_mask:0xf bank_mask:0xf
	v_add_f32_e32 v8, v8, v12
	v_mov_b32_dpp v0, v10 row_shr:1 row_mask:0xf bank_mask:0xf
	v_add_f32_e32 v0, v10, v0
	v_mov_b32_dpp v12, v8 row_shr:2 row_mask:0xf bank_mask:0xf
	v_mov_b32_dpp v10, v11 row_shr:1 row_mask:0xf bank_mask:0xf
	v_add_f32_e32 v13, v8, v12
	v_mov_b32_dpp v8, v9 row_shr:1 row_mask:0xf bank_mask:0xf
	v_add_f32_e32 v10, v11, v10
	v_add_f32_e32 v8, v9, v8
	v_mov_b32_dpp v1, v0 row_shr:2 row_mask:0xf bank_mask:0xf
	v_mov_b32_dpp v11, v10 row_shr:2 row_mask:0xf bank_mask:0xf
	;; [unrolled: 1-line block ×3, first 2 shown]
	v_add_f32_e32 v0, v0, v1
	v_add_f32_e32 v10, v10, v11
	;; [unrolled: 1-line block ×3, first 2 shown]
	v_mov_b32_dpp v1, v0 row_shr:4 row_mask:0xf bank_mask:0xe
	v_mov_b32_dpp v11, v10 row_shr:4 row_mask:0xf bank_mask:0xe
	;; [unrolled: 1-line block ×4, first 2 shown]
	v_cmp_eq_u32_e32 vcc, 7, v7
	s_and_b64 exec, exec, vcc
	s_cbranch_execz .LBB193_29
; %bb.25:
	s_load_dwordx2 s[2:3], s[0:1], 0x38
	v_add_f32_e32 v8, v0, v1
	v_and_b32_e32 v1, 0x7fffffff, v4
	v_cmp_eq_u32_e32 vcc, 0, v1
	v_cmp_eq_f32_e64 s[0:1], 0, v5
	v_add_f32_e32 v12, v10, v11
	v_add_f32_e32 v0, v13, v14
	;; [unrolled: 1-line block ×3, first 2 shown]
	s_and_b64 s[0:1], vcc, s[0:1]
	s_and_saveexec_b64 s[4:5], s[0:1]
	s_xor_b64 s[0:1], exec, s[4:5]
	s_cbranch_execz .LBB193_27
; %bb.26:
	v_lshlrev_b32_e32 v4, 1, v6
	v_xor_b32_e32 v14, 0x80000000, v3
	v_ashrrev_i32_e32 v5, 31, v4
	v_mov_b32_e32 v15, v2
	s_waitcnt lgkmcnt(0)
	v_lshl_add_u64 v[16:17], v[4:5], 3, s[2:3]
	v_pk_mul_f32 v[4:5], v[12:13], v[14:15] op_sel_hi:[0,1]
	v_pk_mul_f32 v[6:7], v[10:11], v[14:15] op_sel_hi:[0,1]
	v_pk_fma_f32 v[4:5], v[2:3], v[8:9], v[4:5] op_sel_hi:[1,0,1]
	v_pk_fma_f32 v[6:7], v[2:3], v[0:1], v[6:7] op_sel_hi:[1,0,1]
	global_store_dwordx4 v[16:17], v[4:7], off
                                        ; implicit-def: $vgpr3
                                        ; implicit-def: $vgpr4
                                        ; implicit-def: $vgpr6
                                        ; implicit-def: $vgpr8
                                        ; implicit-def: $vgpr12
                                        ; implicit-def: $vgpr0
                                        ; implicit-def: $vgpr10
.LBB193_27:
	s_andn2_saveexec_b64 s[0:1], s[0:1]
	s_cbranch_execz .LBB193_29
; %bb.28:
	v_lshlrev_b32_e32 v6, 1, v6
	v_ashrrev_i32_e32 v7, 31, v6
	s_waitcnt lgkmcnt(0)
	v_lshl_add_u64 v[6:7], v[6:7], 3, s[2:3]
	global_load_dwordx4 v[14:17], v[6:7], off
	v_xor_b32_e32 v18, 0x80000000, v3
	v_mov_b32_e32 v19, v2
	v_pk_mul_f32 v[12:13], v[12:13], v[18:19] op_sel_hi:[0,1]
	v_pk_mul_f32 v[10:11], v[10:11], v[18:19] op_sel_hi:[0,1]
	v_pk_fma_f32 v[8:9], v[2:3], v[8:9], v[12:13] op_sel_hi:[1,0,1]
	v_pk_fma_f32 v[0:1], v[2:3], v[0:1], v[10:11] op_sel_hi:[1,0,1]
	v_xor_b32_e32 v20, 0x80000000, v5
	v_mov_b32_e32 v21, v4
	s_waitcnt vmcnt(0)
	v_pk_fma_f32 v[2:3], v[4:5], v[14:15], v[8:9] op_sel_hi:[1,0,1]
	v_pk_fma_f32 v[4:5], v[4:5], v[16:17], v[0:1] op_sel_hi:[1,0,1]
	v_mov_b32_e32 v8, v17
	v_pk_fma_f32 v[0:1], v[20:21], v[14:15], v[2:3] op_sel:[0,1,0]
	v_pk_fma_f32 v[2:3], v[20:21], v[8:9], v[4:5] op_sel_hi:[1,0,1]
	global_store_dwordx4 v[6:7], v[0:3], off
.LBB193_29:
	s_endpgm
	.section	.rodata,"a",@progbits
	.p2align	6, 0x0
	.amdhsa_kernel _ZN9rocsparseL19gebsrmvn_2xn_kernelILj128ELj10ELj8E21rocsparse_complex_numIfEEEvi20rocsparse_direction_NS_24const_host_device_scalarIT2_EEPKiS8_PKS5_SA_S6_PS5_21rocsparse_index_base_b
		.amdhsa_group_segment_fixed_size 0
		.amdhsa_private_segment_fixed_size 0
		.amdhsa_kernarg_size 72
		.amdhsa_user_sgpr_count 2
		.amdhsa_user_sgpr_dispatch_ptr 0
		.amdhsa_user_sgpr_queue_ptr 0
		.amdhsa_user_sgpr_kernarg_segment_ptr 1
		.amdhsa_user_sgpr_dispatch_id 0
		.amdhsa_user_sgpr_kernarg_preload_length 0
		.amdhsa_user_sgpr_kernarg_preload_offset 0
		.amdhsa_user_sgpr_private_segment_size 0
		.amdhsa_uses_dynamic_stack 0
		.amdhsa_enable_private_segment 0
		.amdhsa_system_sgpr_workgroup_id_x 1
		.amdhsa_system_sgpr_workgroup_id_y 0
		.amdhsa_system_sgpr_workgroup_id_z 0
		.amdhsa_system_sgpr_workgroup_info 0
		.amdhsa_system_vgpr_workitem_id 0
		.amdhsa_next_free_vgpr 86
		.amdhsa_next_free_sgpr 16
		.amdhsa_accum_offset 88
		.amdhsa_reserve_vcc 1
		.amdhsa_float_round_mode_32 0
		.amdhsa_float_round_mode_16_64 0
		.amdhsa_float_denorm_mode_32 3
		.amdhsa_float_denorm_mode_16_64 3
		.amdhsa_dx10_clamp 1
		.amdhsa_ieee_mode 1
		.amdhsa_fp16_overflow 0
		.amdhsa_tg_split 0
		.amdhsa_exception_fp_ieee_invalid_op 0
		.amdhsa_exception_fp_denorm_src 0
		.amdhsa_exception_fp_ieee_div_zero 0
		.amdhsa_exception_fp_ieee_overflow 0
		.amdhsa_exception_fp_ieee_underflow 0
		.amdhsa_exception_fp_ieee_inexact 0
		.amdhsa_exception_int_div_zero 0
	.end_amdhsa_kernel
	.section	.text._ZN9rocsparseL19gebsrmvn_2xn_kernelILj128ELj10ELj8E21rocsparse_complex_numIfEEEvi20rocsparse_direction_NS_24const_host_device_scalarIT2_EEPKiS8_PKS5_SA_S6_PS5_21rocsparse_index_base_b,"axG",@progbits,_ZN9rocsparseL19gebsrmvn_2xn_kernelILj128ELj10ELj8E21rocsparse_complex_numIfEEEvi20rocsparse_direction_NS_24const_host_device_scalarIT2_EEPKiS8_PKS5_SA_S6_PS5_21rocsparse_index_base_b,comdat
.Lfunc_end193:
	.size	_ZN9rocsparseL19gebsrmvn_2xn_kernelILj128ELj10ELj8E21rocsparse_complex_numIfEEEvi20rocsparse_direction_NS_24const_host_device_scalarIT2_EEPKiS8_PKS5_SA_S6_PS5_21rocsparse_index_base_b, .Lfunc_end193-_ZN9rocsparseL19gebsrmvn_2xn_kernelILj128ELj10ELj8E21rocsparse_complex_numIfEEEvi20rocsparse_direction_NS_24const_host_device_scalarIT2_EEPKiS8_PKS5_SA_S6_PS5_21rocsparse_index_base_b
                                        ; -- End function
	.section	.AMDGPU.csdata,"",@progbits
; Kernel info:
; codeLenInByte = 2732
; NumSgprs: 22
; NumVgprs: 86
; NumAgprs: 0
; TotalNumVgprs: 86
; ScratchSize: 0
; MemoryBound: 0
; FloatMode: 240
; IeeeMode: 1
; LDSByteSize: 0 bytes/workgroup (compile time only)
; SGPRBlocks: 2
; VGPRBlocks: 10
; NumSGPRsForWavesPerEU: 22
; NumVGPRsForWavesPerEU: 86
; AccumOffset: 88
; Occupancy: 5
; WaveLimiterHint : 1
; COMPUTE_PGM_RSRC2:SCRATCH_EN: 0
; COMPUTE_PGM_RSRC2:USER_SGPR: 2
; COMPUTE_PGM_RSRC2:TRAP_HANDLER: 0
; COMPUTE_PGM_RSRC2:TGID_X_EN: 1
; COMPUTE_PGM_RSRC2:TGID_Y_EN: 0
; COMPUTE_PGM_RSRC2:TGID_Z_EN: 0
; COMPUTE_PGM_RSRC2:TIDIG_COMP_CNT: 0
; COMPUTE_PGM_RSRC3_GFX90A:ACCUM_OFFSET: 21
; COMPUTE_PGM_RSRC3_GFX90A:TG_SPLIT: 0
	.section	.text._ZN9rocsparseL19gebsrmvn_2xn_kernelILj128ELj10ELj16E21rocsparse_complex_numIfEEEvi20rocsparse_direction_NS_24const_host_device_scalarIT2_EEPKiS8_PKS5_SA_S6_PS5_21rocsparse_index_base_b,"axG",@progbits,_ZN9rocsparseL19gebsrmvn_2xn_kernelILj128ELj10ELj16E21rocsparse_complex_numIfEEEvi20rocsparse_direction_NS_24const_host_device_scalarIT2_EEPKiS8_PKS5_SA_S6_PS5_21rocsparse_index_base_b,comdat
	.globl	_ZN9rocsparseL19gebsrmvn_2xn_kernelILj128ELj10ELj16E21rocsparse_complex_numIfEEEvi20rocsparse_direction_NS_24const_host_device_scalarIT2_EEPKiS8_PKS5_SA_S6_PS5_21rocsparse_index_base_b ; -- Begin function _ZN9rocsparseL19gebsrmvn_2xn_kernelILj128ELj10ELj16E21rocsparse_complex_numIfEEEvi20rocsparse_direction_NS_24const_host_device_scalarIT2_EEPKiS8_PKS5_SA_S6_PS5_21rocsparse_index_base_b
	.p2align	8
	.type	_ZN9rocsparseL19gebsrmvn_2xn_kernelILj128ELj10ELj16E21rocsparse_complex_numIfEEEvi20rocsparse_direction_NS_24const_host_device_scalarIT2_EEPKiS8_PKS5_SA_S6_PS5_21rocsparse_index_base_b,@function
_ZN9rocsparseL19gebsrmvn_2xn_kernelILj128ELj10ELj16E21rocsparse_complex_numIfEEEvi20rocsparse_direction_NS_24const_host_device_scalarIT2_EEPKiS8_PKS5_SA_S6_PS5_21rocsparse_index_base_b: ; @_ZN9rocsparseL19gebsrmvn_2xn_kernelILj128ELj10ELj16E21rocsparse_complex_numIfEEEvi20rocsparse_direction_NS_24const_host_device_scalarIT2_EEPKiS8_PKS5_SA_S6_PS5_21rocsparse_index_base_b
; %bb.0:
	s_load_dwordx2 s[12:13], s[0:1], 0x40
	s_load_dwordx2 s[8:9], s[0:1], 0x8
	;; [unrolled: 1-line block ×3, first 2 shown]
	s_waitcnt lgkmcnt(0)
	s_bitcmp1_b32 s13, 0
	s_cselect_b64 s[4:5], -1, 0
	s_xor_b64 s[10:11], s[4:5], -1
	s_and_b64 vcc, exec, s[4:5]
	v_mov_b32_e32 v2, s8
	s_cbranch_vccnz .LBB194_2
; %bb.1:
	v_mov_b64_e32 v[2:3], s[8:9]
	flat_load_dword v2, v[2:3]
.LBB194_2:
	v_cndmask_b32_e64 v1, 0, 1, s[10:11]
	v_cmp_ne_u32_e64 s[4:5], 1, v1
	s_andn2_b64 vcc, exec, s[10:11]
	v_mov_b32_e32 v3, s9
	s_cbranch_vccz .LBB194_16
; %bb.3:
	s_and_b64 vcc, exec, s[4:5]
	v_mov_b32_e32 v4, s6
	s_cbranch_vccz .LBB194_17
.LBB194_4:
	s_and_b64 vcc, exec, s[4:5]
	v_mov_b32_e32 v5, s7
	s_cbranch_vccnz .LBB194_6
.LBB194_5:
	v_mov_b64_e32 v[6:7], s[6:7]
	flat_load_dword v5, v[6:7] offset:4
.LBB194_6:
	s_waitcnt vmcnt(0) lgkmcnt(0)
	v_and_b32_e32 v1, 0x7fffffff, v2
	v_cmp_eq_u32_e32 vcc, 0, v1
	v_cmp_eq_f32_e64 s[4:5], 0, v3
	s_and_b64 s[8:9], vcc, s[4:5]
	s_mov_b64 s[4:5], -1
	s_and_saveexec_b64 s[6:7], s[8:9]
; %bb.7:
	v_and_b32_e32 v1, 0x7fffffff, v5
	v_cmp_neq_f32_e32 vcc, 1.0, v4
	v_cmp_ne_u32_e64 s[4:5], 0, v1
	s_or_b64 s[4:5], vcc, s[4:5]
	s_orn2_b64 s[4:5], s[4:5], exec
; %bb.8:
	s_or_b64 exec, exec, s[6:7]
	s_and_saveexec_b64 s[6:7], s[4:5]
	s_cbranch_execz .LBB194_29
; %bb.9:
	s_load_dwordx2 s[14:15], s[0:1], 0x0
	v_lshrrev_b32_e32 v1, 4, v0
	v_lshl_or_b32 v6, s2, 3, v1
	s_waitcnt lgkmcnt(0)
	v_cmp_gt_i32_e32 vcc, s14, v6
	s_and_b64 exec, exec, vcc
	s_cbranch_execz .LBB194_29
; %bb.10:
	s_load_dwordx8 s[4:11], s[0:1], 0x10
	v_ashrrev_i32_e32 v7, 31, v6
	s_cmp_lg_u32 s15, 0
	s_waitcnt lgkmcnt(0)
	v_lshl_add_u64 v[8:9], v[6:7], 2, s[4:5]
	global_load_dwordx2 v[8:9], v[8:9], off
	v_and_b32_e32 v7, 15, v0
	s_waitcnt vmcnt(0)
	v_subrev_u32_e32 v0, s12, v8
	v_subrev_u32_e32 v18, s12, v9
	v_add_u32_e32 v0, v0, v7
	v_cmp_lt_i32_e64 s[2:3], v0, v18
	s_cbranch_scc0 .LBB194_18
; %bb.11:
	v_mov_b32_e32 v11, 0
	v_mov_b32_e32 v10, v11
	;; [unrolled: 1-line block ×4, first 2 shown]
	s_and_saveexec_b64 s[4:5], s[2:3]
	s_cbranch_execz .LBB194_15
; %bb.12:
	v_mad_u64_u32 v[12:13], s[14:15], v0, 20, 18
	v_mov_b32_e32 v15, 0
	s_mov_b64 s[14:15], 0
	v_mov_b32_e32 v16, v0
	v_mov_b32_e32 v8, v15
	;; [unrolled: 1-line block ×5, first 2 shown]
.LBB194_13:                             ; =>This Inner Loop Header: Depth=1
	v_ashrrev_i32_e32 v17, 31, v16
	v_lshl_add_u64 v[20:21], v[16:17], 2, s[6:7]
	global_load_dword v1, v[20:21], off
	v_subrev_u32_e32 v14, 18, v12
	v_mov_b32_e32 v65, v15
	v_lshl_add_u64 v[28:29], v[14:15], 3, s[8:9]
	global_load_dwordx4 v[20:23], v[28:29], off
	global_load_dwordx4 v[24:27], v[28:29], off offset:16
	v_add_u32_e32 v14, -14, v12
	v_lshl_add_u64 v[28:29], v[14:15], 3, s[8:9]
	global_load_dwordx4 v[28:31], v[28:29], off
	v_mov_b32_e32 v13, v15
	v_lshl_add_u64 v[80:81], v[12:13], 3, s[8:9]
	v_add_u32_e32 v16, 16, v16
	v_cmp_ge_i32_e32 vcc, v16, v18
	s_or_b64 s[14:15], vcc, s[14:15]
	s_waitcnt vmcnt(3)
	v_subrev_u32_e32 v1, s12, v1
	v_mul_lo_u32 v64, v1, 10
	v_lshl_add_u64 v[32:33], v[64:65], 3, s[10:11]
	global_load_dwordx4 v[32:35], v[32:33], off
	v_add_u32_e32 v14, 2, v64
	v_lshl_add_u64 v[36:37], v[14:15], 3, s[10:11]
	global_load_dwordx4 v[36:39], v[36:37], off
	v_add_u32_e32 v14, -12, v12
	v_lshl_add_u64 v[40:41], v[14:15], 3, s[8:9]
	v_add_u32_e32 v14, -10, v12
	v_lshl_add_u64 v[44:45], v[14:15], 3, s[8:9]
	v_add_u32_e32 v14, 4, v64
	global_load_dwordx4 v[40:43], v[40:41], off
	v_lshl_add_u64 v[48:49], v[14:15], 3, s[10:11]
	global_load_dwordx4 v[44:47], v[44:45], off
	v_add_u32_e32 v14, -8, v12
	global_load_dwordx4 v[48:51], v[48:49], off
	v_lshl_add_u64 v[52:53], v[14:15], 3, s[8:9]
	v_add_u32_e32 v14, -6, v12
	v_lshl_add_u64 v[56:57], v[14:15], 3, s[8:9]
	v_add_u32_e32 v14, 6, v64
	global_load_dwordx4 v[52:55], v[52:53], off
	v_lshl_add_u64 v[60:61], v[14:15], 3, s[10:11]
	global_load_dwordx4 v[56:59], v[56:57], off
	v_add_u32_e32 v14, -4, v12
	global_load_dwordx4 v[60:63], v[60:61], off
	v_lshl_add_u64 v[66:67], v[14:15], 3, s[8:9]
	v_add_u32_e32 v14, -2, v12
	v_lshl_add_u64 v[82:83], v[14:15], 3, s[8:9]
	v_add_u32_e32 v14, 8, v64
	global_load_dwordx4 v[64:67], v[66:67], off
	v_lshl_add_u64 v[84:85], v[14:15], 3, s[10:11]
	global_load_dwordx4 v[68:71], v[82:83], off
	global_load_dwordx4 v[72:75], v[84:85], off
	;; [unrolled: 1-line block ×3, first 2 shown]
	s_waitcnt vmcnt(14)
	v_xor_b32_e32 v80, 0x80000000, v23
	v_mov_b32_e32 v81, v22
	s_waitcnt vmcnt(13)
	v_xor_b32_e32 v82, 0x80000000, v27
	v_mov_b32_e32 v83, v26
	v_add_u32_e32 v12, 0x140, v12
	s_waitcnt vmcnt(11)
	v_pk_fma_f32 v[10:11], v[20:21], v[32:33], v[10:11] op_sel_hi:[1,0,1]
	v_pk_fma_f32 v[8:9], v[22:23], v[32:33], v[8:9] op_sel_hi:[1,0,1]
	v_pk_fma_f32 v[10:11], v[20:21], v[32:33], v[10:11] op_sel:[1,1,0] op_sel_hi:[0,1,1] neg_lo:[1,0,0]
	v_pk_fma_f32 v[8:9], v[80:81], v[32:33], v[8:9] op_sel:[0,1,0]
	v_mov_b32_e32 v14, v35
	v_pk_fma_f32 v[10:11], v[24:25], v[34:35], v[10:11] op_sel_hi:[1,0,1]
	v_pk_fma_f32 v[8:9], v[26:27], v[34:35], v[8:9] op_sel_hi:[1,0,1]
	v_pk_fma_f32 v[10:11], v[24:25], v[14:15], v[10:11] op_sel:[1,0,0] op_sel_hi:[0,0,1] neg_lo:[1,0,0]
	v_pk_fma_f32 v[8:9], v[82:83], v[14:15], v[8:9] op_sel_hi:[1,0,1]
	v_xor_b32_e32 v22, 0x80000000, v31
	v_mov_b32_e32 v23, v30
	s_waitcnt vmcnt(10)
	v_pk_fma_f32 v[10:11], v[28:29], v[36:37], v[10:11] op_sel_hi:[1,0,1]
	v_pk_fma_f32 v[8:9], v[30:31], v[36:37], v[8:9] op_sel_hi:[1,0,1]
	v_pk_fma_f32 v[10:11], v[28:29], v[36:37], v[10:11] op_sel:[1,1,0] op_sel_hi:[0,1,1] neg_lo:[1,0,0]
	v_pk_fma_f32 v[8:9], v[22:23], v[36:37], v[8:9] op_sel:[0,1,0]
	v_mov_b32_e32 v26, v39
	s_waitcnt vmcnt(9)
	v_xor_b32_e32 v32, 0x80000000, v43
	v_mov_b32_e32 v33, v42
	v_pk_fma_f32 v[10:11], v[40:41], v[38:39], v[10:11] op_sel_hi:[1,0,1]
	v_pk_fma_f32 v[8:9], v[42:43], v[38:39], v[8:9] op_sel_hi:[1,0,1]
	v_pk_fma_f32 v[10:11], v[40:41], v[26:27], v[10:11] op_sel:[1,0,0] op_sel_hi:[0,0,1] neg_lo:[1,0,0]
	v_pk_fma_f32 v[8:9], v[32:33], v[26:27], v[8:9] op_sel_hi:[1,0,1]
	s_waitcnt vmcnt(8)
	v_xor_b32_e32 v24, 0x80000000, v47
	v_mov_b32_e32 v25, v46
	s_waitcnt vmcnt(7)
	v_pk_fma_f32 v[10:11], v[44:45], v[48:49], v[10:11] op_sel_hi:[1,0,1]
	v_pk_fma_f32 v[8:9], v[46:47], v[48:49], v[8:9] op_sel_hi:[1,0,1]
	v_pk_fma_f32 v[10:11], v[44:45], v[48:49], v[10:11] op_sel:[1,1,0] op_sel_hi:[0,1,1] neg_lo:[1,0,0]
	v_pk_fma_f32 v[8:9], v[24:25], v[48:49], v[8:9] op_sel:[0,1,0]
	v_mov_b32_e32 v14, v51
	s_waitcnt vmcnt(6)
	v_xor_b32_e32 v22, 0x80000000, v55
	v_mov_b32_e32 v23, v54
	v_pk_fma_f32 v[10:11], v[52:53], v[50:51], v[10:11] op_sel_hi:[1,0,1]
	v_pk_fma_f32 v[8:9], v[54:55], v[50:51], v[8:9] op_sel_hi:[1,0,1]
	v_pk_fma_f32 v[10:11], v[52:53], v[14:15], v[10:11] op_sel:[1,0,0] op_sel_hi:[0,0,1] neg_lo:[1,0,0]
	v_pk_fma_f32 v[8:9], v[22:23], v[14:15], v[8:9] op_sel_hi:[1,0,1]
	s_waitcnt vmcnt(5)
	v_xor_b32_e32 v28, 0x80000000, v59
	v_mov_b32_e32 v29, v58
	s_waitcnt vmcnt(4)
	v_pk_fma_f32 v[10:11], v[56:57], v[60:61], v[10:11] op_sel_hi:[1,0,1]
	v_pk_fma_f32 v[8:9], v[58:59], v[60:61], v[8:9] op_sel_hi:[1,0,1]
	v_pk_fma_f32 v[10:11], v[56:57], v[60:61], v[10:11] op_sel:[1,1,0] op_sel_hi:[0,1,1] neg_lo:[1,0,0]
	v_pk_fma_f32 v[8:9], v[28:29], v[60:61], v[8:9] op_sel:[0,1,0]
	v_mov_b32_e32 v26, v63
	s_waitcnt vmcnt(3)
	v_xor_b32_e32 v30, 0x80000000, v67
	v_mov_b32_e32 v31, v66
	v_pk_fma_f32 v[10:11], v[64:65], v[62:63], v[10:11] op_sel_hi:[1,0,1]
	v_pk_fma_f32 v[8:9], v[66:67], v[62:63], v[8:9] op_sel_hi:[1,0,1]
	v_pk_fma_f32 v[10:11], v[64:65], v[26:27], v[10:11] op_sel:[1,0,0] op_sel_hi:[0,0,1] neg_lo:[1,0,0]
	v_pk_fma_f32 v[8:9], v[30:31], v[26:27], v[8:9] op_sel_hi:[1,0,1]
	s_waitcnt vmcnt(2)
	v_xor_b32_e32 v24, 0x80000000, v71
	v_mov_b32_e32 v25, v70
	s_waitcnt vmcnt(1)
	v_pk_fma_f32 v[10:11], v[68:69], v[72:73], v[10:11] op_sel_hi:[1,0,1]
	v_pk_fma_f32 v[8:9], v[70:71], v[72:73], v[8:9] op_sel_hi:[1,0,1]
	v_pk_fma_f32 v[10:11], v[68:69], v[72:73], v[10:11] op_sel:[1,1,0] op_sel_hi:[0,1,1] neg_lo:[1,0,0]
	v_pk_fma_f32 v[8:9], v[24:25], v[72:73], v[8:9] op_sel:[0,1,0]
	s_waitcnt vmcnt(0)
	v_xor_b32_e32 v20, 0x80000000, v79
	v_mov_b32_e32 v21, v78
	v_mov_b32_e32 v32, v75
	v_pk_fma_f32 v[10:11], v[76:77], v[74:75], v[10:11] op_sel_hi:[1,0,1]
	v_pk_fma_f32 v[8:9], v[78:79], v[74:75], v[8:9] op_sel_hi:[1,0,1]
	v_pk_fma_f32 v[10:11], v[76:77], v[32:33], v[10:11] op_sel:[1,0,0] op_sel_hi:[0,0,1] neg_lo:[1,0,0]
	v_pk_fma_f32 v[8:9], v[20:21], v[32:33], v[8:9] op_sel_hi:[1,0,1]
	s_andn2_b64 exec, exec, s[14:15]
	s_cbranch_execnz .LBB194_13
; %bb.14:
	s_or_b64 exec, exec, s[14:15]
.LBB194_15:
	s_or_b64 exec, exec, s[4:5]
	s_cbranch_execz .LBB194_19
	s_branch .LBB194_24
.LBB194_16:
	v_mov_b64_e32 v[4:5], s[8:9]
	flat_load_dword v3, v[4:5] offset:4
	s_and_b64 vcc, exec, s[4:5]
	v_mov_b32_e32 v4, s6
	s_cbranch_vccnz .LBB194_4
.LBB194_17:
	v_mov_b64_e32 v[4:5], s[6:7]
	flat_load_dword v4, v[4:5]
	s_and_b64 vcc, exec, s[4:5]
	v_mov_b32_e32 v5, s7
	s_cbranch_vccz .LBB194_5
	s_branch .LBB194_6
.LBB194_18:
                                        ; implicit-def: $vgpr11
                                        ; implicit-def: $vgpr9
.LBB194_19:
	v_mov_b32_e32 v11, 0
	v_mov_b32_e32 v10, v11
	;; [unrolled: 1-line block ×4, first 2 shown]
	s_and_saveexec_b64 s[4:5], s[2:3]
	s_cbranch_execz .LBB194_23
; %bb.20:
	v_mad_u64_u32 v[12:13], s[2:3], v0, 20, 19
	v_mov_b32_e32 v15, 0
	s_mov_b64 s[2:3], 0
	v_mov_b32_e32 v8, v15
	v_mov_b32_e32 v9, v15
	;; [unrolled: 1-line block ×4, first 2 shown]
.LBB194_21:                             ; =>This Inner Loop Header: Depth=1
	v_ashrrev_i32_e32 v1, 31, v0
	v_subrev_u32_e32 v14, 19, v12
	v_add_u32_e32 v20, -9, v12
	v_mov_b32_e32 v21, v15
	v_lshl_add_u64 v[28:29], v[0:1], 2, s[6:7]
	v_lshl_add_u64 v[30:31], v[14:15], 3, s[8:9]
	;; [unrolled: 1-line block ×3, first 2 shown]
	global_load_dword v1, v[28:29], off
	global_load_dwordx4 v[20:23], v[30:31], off
	global_load_dwordx4 v[24:27], v[30:31], off offset:16
	v_mov_b32_e32 v13, v15
	v_add_u32_e32 v14, -8, v12
	v_mov_b32_e32 v17, v15
	v_lshl_add_u64 v[34:35], v[12:13], 3, s[8:9]
	v_lshl_add_u64 v[28:29], v[14:15], 3, s[8:9]
	global_load_dwordx2 v[44:45], v[34:35], off
	global_load_dwordx2 v[46:47], v[32:33], off
	;; [unrolled: 1-line block ×3, first 2 shown]
	v_add_u32_e32 v0, 16, v0
	v_cmp_ge_i32_e32 vcc, v0, v18
	s_or_b64 s[2:3], vcc, s[2:3]
	s_waitcnt vmcnt(5)
	v_subrev_u32_e32 v1, s12, v1
	v_mul_lo_u32 v16, v1, 10
	v_lshl_add_u64 v[28:29], v[16:17], 3, s[10:11]
	global_load_dwordx4 v[28:31], v[28:29], off
	v_add_u32_e32 v14, 2, v16
	v_lshl_add_u64 v[32:33], v[14:15], 3, s[10:11]
	global_load_dwordx4 v[32:35], v[32:33], off
	v_add_u32_e32 v14, -7, v12
	v_lshl_add_u64 v[36:37], v[14:15], 3, s[8:9]
	v_add_u32_e32 v14, -6, v12
	v_lshl_add_u64 v[38:39], v[14:15], 3, s[8:9]
	v_add_u32_e32 v14, -15, v12
	global_load_dwordx2 v[52:53], v[36:37], off
	v_lshl_add_u64 v[36:37], v[14:15], 3, s[8:9]
	v_add_u32_e32 v14, 4, v16
	v_lshl_add_u64 v[40:41], v[14:15], 3, s[10:11]
	v_add_u32_e32 v14, -5, v12
	v_lshl_add_u64 v[42:43], v[14:15], 3, s[8:9]
	v_add_u32_e32 v14, -14, v12
	global_load_dwordx2 v[54:55], v[36:37], off
	global_load_dwordx2 v[56:57], v[38:39], off
	global_load_dwordx2 v[58:59], v[42:43], off
	s_waitcnt vmcnt(10)
	v_xor_b32_e32 v50, 0x80000000, v23
	global_load_dwordx4 v[36:39], v[40:41], off
	v_lshl_add_u64 v[40:41], v[14:15], 3, s[8:9]
	global_load_dwordx2 v[60:61], v[40:41], off
	v_add_u32_e32 v14, -4, v12
	v_lshl_add_u64 v[42:43], v[14:15], 3, s[8:9]
	v_add_u32_e32 v14, -13, v12
	v_lshl_add_u64 v[40:41], v[14:15], 3, s[8:9]
	v_add_u32_e32 v14, 6, v16
	v_lshl_add_u64 v[62:63], v[14:15], 3, s[10:11]
	v_add_u32_e32 v14, -3, v12
	v_lshl_add_u64 v[68:69], v[14:15], 3, s[8:9]
	v_add_u32_e32 v14, -12, v12
	global_load_dwordx2 v[64:65], v[40:41], off
	global_load_dwordx2 v[66:67], v[42:43], off
	v_mov_b32_e32 v51, v22
	global_load_dwordx4 v[40:43], v[62:63], off
	v_lshl_add_u64 v[62:63], v[14:15], 3, s[8:9]
	v_add_u32_e32 v14, -2, v12
	v_lshl_add_u64 v[70:71], v[14:15], 3, s[8:9]
	v_add_u32_e32 v14, -11, v12
	v_lshl_add_u64 v[72:73], v[14:15], 3, s[8:9]
	global_load_dwordx2 v[62:63], v[62:63], off
	v_add_u32_e32 v14, 8, v16
	global_load_dwordx2 v[74:75], v[72:73], off
	global_load_dwordx2 v[76:77], v[70:71], off
	;; [unrolled: 1-line block ×3, first 2 shown]
	v_lshl_add_u64 v[16:17], v[14:15], 3, s[10:11]
	v_add_u32_e32 v14, -1, v12
	s_waitcnt vmcnt(14)
	v_pk_fma_f32 v[10:11], v[20:21], v[28:29], v[10:11] op_sel_hi:[1,0,1]
	s_nop 0
	v_pk_fma_f32 v[10:11], v[20:21], v[28:29], v[10:11] op_sel:[1,1,0] op_sel_hi:[0,1,1] neg_lo:[1,0,0]
	v_pk_fma_f32 v[10:11], v[22:23], v[30:31], v[10:11] op_sel_hi:[1,0,1]
	global_load_dwordx4 v[20:23], v[16:17], off
	v_lshl_add_u64 v[16:17], v[14:15], 3, s[8:9]
	v_add_u32_e32 v14, -10, v12
	v_pk_fma_f32 v[8:9], v[46:47], v[28:29], v[8:9] op_sel_hi:[1,0,1]
	v_add_u32_e32 v12, 0x140, v12
	v_pk_fma_f32 v[8:9], v[46:47], v[28:29], v[8:9] op_sel:[1,1,0] op_sel_hi:[0,1,1] neg_lo:[1,0,0]
	v_lshl_add_u64 v[28:29], v[14:15], 3, s[8:9]
	global_load_dwordx2 v[46:47], v[28:29], off
	global_load_dwordx2 v[68:69], v[16:17], off
	v_pk_fma_f32 v[8:9], v[48:49], v[30:31], v[8:9] op_sel_hi:[1,0,1]
	v_mov_b32_e32 v14, v31
	v_pk_fma_f32 v[10:11], v[50:51], v[14:15], v[10:11] op_sel_hi:[1,0,1]
	v_pk_fma_f32 v[8:9], v[48:49], v[14:15], v[8:9] op_sel:[1,0,0] op_sel_hi:[0,0,1] neg_lo:[1,0,0]
	s_waitcnt vmcnt(16)
	v_pk_fma_f32 v[10:11], v[24:25], v[32:33], v[10:11] op_sel_hi:[1,0,1]
	s_waitcnt vmcnt(15)
	v_pk_fma_f32 v[8:9], v[52:53], v[32:33], v[8:9] op_sel_hi:[1,0,1]
	v_pk_fma_f32 v[10:11], v[24:25], v[32:33], v[10:11] op_sel:[1,1,0] op_sel_hi:[0,1,1] neg_lo:[1,0,0]
	v_pk_fma_f32 v[8:9], v[52:53], v[32:33], v[8:9] op_sel:[1,1,0] op_sel_hi:[0,1,1] neg_lo:[1,0,0]
	v_xor_b32_e32 v16, 0x80000000, v27
	v_mov_b32_e32 v17, v26
	v_mov_b32_e32 v28, v35
	v_pk_fma_f32 v[10:11], v[26:27], v[34:35], v[10:11] op_sel_hi:[1,0,1]
	s_waitcnt vmcnt(13)
	v_pk_fma_f32 v[8:9], v[56:57], v[34:35], v[8:9] op_sel_hi:[1,0,1]
	v_pk_fma_f32 v[10:11], v[16:17], v[28:29], v[10:11] op_sel_hi:[1,0,1]
	v_pk_fma_f32 v[8:9], v[56:57], v[28:29], v[8:9] op_sel:[1,0,0] op_sel_hi:[0,0,1] neg_lo:[1,0,0]
	s_waitcnt vmcnt(11)
	v_pk_fma_f32 v[10:11], v[54:55], v[36:37], v[10:11] op_sel_hi:[1,0,1]
	v_pk_fma_f32 v[8:9], v[58:59], v[36:37], v[8:9] op_sel_hi:[1,0,1]
	v_pk_fma_f32 v[10:11], v[54:55], v[36:37], v[10:11] op_sel:[1,1,0] op_sel_hi:[0,1,1] neg_lo:[1,0,0]
	v_pk_fma_f32 v[8:9], v[58:59], v[36:37], v[8:9] op_sel:[1,1,0] op_sel_hi:[0,1,1] neg_lo:[1,0,0]
	v_mov_b32_e32 v14, v39
	s_waitcnt vmcnt(10)
	v_pk_fma_f32 v[10:11], v[60:61], v[38:39], v[10:11] op_sel_hi:[1,0,1]
	s_waitcnt vmcnt(8)
	v_pk_fma_f32 v[8:9], v[66:67], v[38:39], v[8:9] op_sel_hi:[1,0,1]
	v_pk_fma_f32 v[10:11], v[60:61], v[14:15], v[10:11] op_sel:[1,0,0] op_sel_hi:[0,0,1] neg_lo:[1,0,0]
	v_pk_fma_f32 v[8:9], v[66:67], v[14:15], v[8:9] op_sel:[1,0,0] op_sel_hi:[0,0,1] neg_lo:[1,0,0]
	s_waitcnt vmcnt(7)
	v_pk_fma_f32 v[10:11], v[64:65], v[40:41], v[10:11] op_sel_hi:[1,0,1]
	v_mov_b32_e32 v16, v43
	v_pk_fma_f32 v[10:11], v[64:65], v[40:41], v[10:11] op_sel:[1,1,0] op_sel_hi:[0,1,1] neg_lo:[1,0,0]
	s_waitcnt vmcnt(6)
	v_pk_fma_f32 v[10:11], v[62:63], v[42:43], v[10:11] op_sel_hi:[1,0,1]
	s_nop 0
	v_pk_fma_f32 v[10:11], v[62:63], v[16:17], v[10:11] op_sel:[1,0,0] op_sel_hi:[0,0,1] neg_lo:[1,0,0]
	s_waitcnt vmcnt(3)
	v_pk_fma_f32 v[8:9], v[78:79], v[40:41], v[8:9] op_sel_hi:[1,0,1]
	s_waitcnt vmcnt(2)
	v_pk_fma_f32 v[10:11], v[74:75], v[20:21], v[10:11] op_sel_hi:[1,0,1]
	v_pk_fma_f32 v[8:9], v[78:79], v[40:41], v[8:9] op_sel:[1,1,0] op_sel_hi:[0,1,1] neg_lo:[1,0,0]
	v_pk_fma_f32 v[8:9], v[76:77], v[42:43], v[8:9] op_sel_hi:[1,0,1]
	v_pk_fma_f32 v[10:11], v[74:75], v[20:21], v[10:11] op_sel:[1,1,0] op_sel_hi:[0,1,1] neg_lo:[1,0,0]
	v_pk_fma_f32 v[8:9], v[76:77], v[16:17], v[8:9] op_sel:[1,0,0] op_sel_hi:[0,0,1] neg_lo:[1,0,0]
	v_mov_b32_e32 v14, v23
	s_waitcnt vmcnt(1)
	v_pk_fma_f32 v[10:11], v[46:47], v[22:23], v[10:11] op_sel_hi:[1,0,1]
	s_waitcnt vmcnt(0)
	v_pk_fma_f32 v[8:9], v[68:69], v[20:21], v[8:9] op_sel_hi:[1,0,1]
	v_pk_fma_f32 v[10:11], v[46:47], v[14:15], v[10:11] op_sel:[1,0,0] op_sel_hi:[0,0,1] neg_lo:[1,0,0]
	v_pk_fma_f32 v[8:9], v[68:69], v[20:21], v[8:9] op_sel:[1,1,0] op_sel_hi:[0,1,1] neg_lo:[1,0,0]
	v_pk_fma_f32 v[8:9], v[44:45], v[22:23], v[8:9] op_sel_hi:[1,0,1]
	s_nop 0
	v_pk_fma_f32 v[8:9], v[44:45], v[14:15], v[8:9] op_sel:[1,0,0] op_sel_hi:[0,0,1] neg_lo:[1,0,0]
	s_andn2_b64 exec, exec, s[2:3]
	s_cbranch_execnz .LBB194_21
; %bb.22:
	s_or_b64 exec, exec, s[2:3]
.LBB194_23:
	s_or_b64 exec, exec, s[4:5]
.LBB194_24:
	v_mov_b32_dpp v12, v8 row_shr:1 row_mask:0xf bank_mask:0xf
	v_add_f32_e32 v8, v8, v12
	v_mov_b32_dpp v0, v10 row_shr:1 row_mask:0xf bank_mask:0xf
	v_add_f32_e32 v0, v10, v0
	;; [unrolled: 2-line block ×6, first 2 shown]
	v_mov_b32_dpp v1, v0 row_shr:2 row_mask:0xf bank_mask:0xf
	v_mov_b32_dpp v11, v10 row_shr:2 row_mask:0xf bank_mask:0xf
	v_mov_b32_dpp v9, v8 row_shr:2 row_mask:0xf bank_mask:0xf
	v_add_f32_e32 v0, v0, v1
	v_add_f32_e32 v10, v10, v11
	;; [unrolled: 1-line block ×3, first 2 shown]
	v_mov_b32_dpp v1, v0 row_shr:4 row_mask:0xf bank_mask:0xe
	v_mov_b32_dpp v11, v10 row_shr:4 row_mask:0xf bank_mask:0xe
	;; [unrolled: 1-line block ×3, first 2 shown]
	v_add_f32_e32 v0, v0, v1
	v_add_f32_e32 v10, v10, v11
	;; [unrolled: 1-line block ×3, first 2 shown]
	v_mov_b32_dpp v1, v0 row_shr:8 row_mask:0xf bank_mask:0xc
	v_mov_b32_dpp v11, v10 row_shr:8 row_mask:0xf bank_mask:0xc
	;; [unrolled: 1-line block ×4, first 2 shown]
	v_cmp_eq_u32_e32 vcc, 15, v7
	s_and_b64 exec, exec, vcc
	s_cbranch_execz .LBB194_29
; %bb.25:
	s_load_dwordx2 s[2:3], s[0:1], 0x38
	v_add_f32_e32 v8, v0, v1
	v_and_b32_e32 v1, 0x7fffffff, v4
	v_cmp_eq_u32_e32 vcc, 0, v1
	v_cmp_eq_f32_e64 s[0:1], 0, v5
	v_add_f32_e32 v12, v10, v11
	v_add_f32_e32 v0, v13, v14
	;; [unrolled: 1-line block ×3, first 2 shown]
	s_and_b64 s[0:1], vcc, s[0:1]
	s_and_saveexec_b64 s[4:5], s[0:1]
	s_xor_b64 s[0:1], exec, s[4:5]
	s_cbranch_execz .LBB194_27
; %bb.26:
	v_lshlrev_b32_e32 v4, 1, v6
	v_xor_b32_e32 v14, 0x80000000, v3
	v_ashrrev_i32_e32 v5, 31, v4
	v_mov_b32_e32 v15, v2
	s_waitcnt lgkmcnt(0)
	v_lshl_add_u64 v[16:17], v[4:5], 3, s[2:3]
	v_pk_mul_f32 v[4:5], v[12:13], v[14:15] op_sel_hi:[0,1]
	v_pk_mul_f32 v[6:7], v[10:11], v[14:15] op_sel_hi:[0,1]
	v_pk_fma_f32 v[4:5], v[2:3], v[8:9], v[4:5] op_sel_hi:[1,0,1]
	v_pk_fma_f32 v[6:7], v[2:3], v[0:1], v[6:7] op_sel_hi:[1,0,1]
	global_store_dwordx4 v[16:17], v[4:7], off
                                        ; implicit-def: $vgpr3
                                        ; implicit-def: $vgpr4
                                        ; implicit-def: $vgpr6
                                        ; implicit-def: $vgpr8
                                        ; implicit-def: $vgpr12
                                        ; implicit-def: $vgpr0
                                        ; implicit-def: $vgpr10
.LBB194_27:
	s_andn2_saveexec_b64 s[0:1], s[0:1]
	s_cbranch_execz .LBB194_29
; %bb.28:
	v_lshlrev_b32_e32 v6, 1, v6
	v_ashrrev_i32_e32 v7, 31, v6
	s_waitcnt lgkmcnt(0)
	v_lshl_add_u64 v[6:7], v[6:7], 3, s[2:3]
	global_load_dwordx4 v[14:17], v[6:7], off
	v_xor_b32_e32 v18, 0x80000000, v3
	v_mov_b32_e32 v19, v2
	v_pk_mul_f32 v[12:13], v[12:13], v[18:19] op_sel_hi:[0,1]
	v_pk_mul_f32 v[10:11], v[10:11], v[18:19] op_sel_hi:[0,1]
	v_pk_fma_f32 v[8:9], v[2:3], v[8:9], v[12:13] op_sel_hi:[1,0,1]
	v_pk_fma_f32 v[0:1], v[2:3], v[0:1], v[10:11] op_sel_hi:[1,0,1]
	v_xor_b32_e32 v20, 0x80000000, v5
	v_mov_b32_e32 v21, v4
	s_waitcnt vmcnt(0)
	v_pk_fma_f32 v[2:3], v[4:5], v[14:15], v[8:9] op_sel_hi:[1,0,1]
	v_pk_fma_f32 v[4:5], v[4:5], v[16:17], v[0:1] op_sel_hi:[1,0,1]
	v_mov_b32_e32 v8, v17
	v_pk_fma_f32 v[0:1], v[20:21], v[14:15], v[2:3] op_sel:[0,1,0]
	v_pk_fma_f32 v[2:3], v[20:21], v[8:9], v[4:5] op_sel_hi:[1,0,1]
	global_store_dwordx4 v[6:7], v[0:3], off
.LBB194_29:
	s_endpgm
	.section	.rodata,"a",@progbits
	.p2align	6, 0x0
	.amdhsa_kernel _ZN9rocsparseL19gebsrmvn_2xn_kernelILj128ELj10ELj16E21rocsparse_complex_numIfEEEvi20rocsparse_direction_NS_24const_host_device_scalarIT2_EEPKiS8_PKS5_SA_S6_PS5_21rocsparse_index_base_b
		.amdhsa_group_segment_fixed_size 0
		.amdhsa_private_segment_fixed_size 0
		.amdhsa_kernarg_size 72
		.amdhsa_user_sgpr_count 2
		.amdhsa_user_sgpr_dispatch_ptr 0
		.amdhsa_user_sgpr_queue_ptr 0
		.amdhsa_user_sgpr_kernarg_segment_ptr 1
		.amdhsa_user_sgpr_dispatch_id 0
		.amdhsa_user_sgpr_kernarg_preload_length 0
		.amdhsa_user_sgpr_kernarg_preload_offset 0
		.amdhsa_user_sgpr_private_segment_size 0
		.amdhsa_uses_dynamic_stack 0
		.amdhsa_enable_private_segment 0
		.amdhsa_system_sgpr_workgroup_id_x 1
		.amdhsa_system_sgpr_workgroup_id_y 0
		.amdhsa_system_sgpr_workgroup_id_z 0
		.amdhsa_system_sgpr_workgroup_info 0
		.amdhsa_system_vgpr_workitem_id 0
		.amdhsa_next_free_vgpr 86
		.amdhsa_next_free_sgpr 16
		.amdhsa_accum_offset 88
		.amdhsa_reserve_vcc 1
		.amdhsa_float_round_mode_32 0
		.amdhsa_float_round_mode_16_64 0
		.amdhsa_float_denorm_mode_32 3
		.amdhsa_float_denorm_mode_16_64 3
		.amdhsa_dx10_clamp 1
		.amdhsa_ieee_mode 1
		.amdhsa_fp16_overflow 0
		.amdhsa_tg_split 0
		.amdhsa_exception_fp_ieee_invalid_op 0
		.amdhsa_exception_fp_denorm_src 0
		.amdhsa_exception_fp_ieee_div_zero 0
		.amdhsa_exception_fp_ieee_overflow 0
		.amdhsa_exception_fp_ieee_underflow 0
		.amdhsa_exception_fp_ieee_inexact 0
		.amdhsa_exception_int_div_zero 0
	.end_amdhsa_kernel
	.section	.text._ZN9rocsparseL19gebsrmvn_2xn_kernelILj128ELj10ELj16E21rocsparse_complex_numIfEEEvi20rocsparse_direction_NS_24const_host_device_scalarIT2_EEPKiS8_PKS5_SA_S6_PS5_21rocsparse_index_base_b,"axG",@progbits,_ZN9rocsparseL19gebsrmvn_2xn_kernelILj128ELj10ELj16E21rocsparse_complex_numIfEEEvi20rocsparse_direction_NS_24const_host_device_scalarIT2_EEPKiS8_PKS5_SA_S6_PS5_21rocsparse_index_base_b,comdat
.Lfunc_end194:
	.size	_ZN9rocsparseL19gebsrmvn_2xn_kernelILj128ELj10ELj16E21rocsparse_complex_numIfEEEvi20rocsparse_direction_NS_24const_host_device_scalarIT2_EEPKiS8_PKS5_SA_S6_PS5_21rocsparse_index_base_b, .Lfunc_end194-_ZN9rocsparseL19gebsrmvn_2xn_kernelILj128ELj10ELj16E21rocsparse_complex_numIfEEEvi20rocsparse_direction_NS_24const_host_device_scalarIT2_EEPKiS8_PKS5_SA_S6_PS5_21rocsparse_index_base_b
                                        ; -- End function
	.section	.AMDGPU.csdata,"",@progbits
; Kernel info:
; codeLenInByte = 2780
; NumSgprs: 22
; NumVgprs: 86
; NumAgprs: 0
; TotalNumVgprs: 86
; ScratchSize: 0
; MemoryBound: 0
; FloatMode: 240
; IeeeMode: 1
; LDSByteSize: 0 bytes/workgroup (compile time only)
; SGPRBlocks: 2
; VGPRBlocks: 10
; NumSGPRsForWavesPerEU: 22
; NumVGPRsForWavesPerEU: 86
; AccumOffset: 88
; Occupancy: 5
; WaveLimiterHint : 1
; COMPUTE_PGM_RSRC2:SCRATCH_EN: 0
; COMPUTE_PGM_RSRC2:USER_SGPR: 2
; COMPUTE_PGM_RSRC2:TRAP_HANDLER: 0
; COMPUTE_PGM_RSRC2:TGID_X_EN: 1
; COMPUTE_PGM_RSRC2:TGID_Y_EN: 0
; COMPUTE_PGM_RSRC2:TGID_Z_EN: 0
; COMPUTE_PGM_RSRC2:TIDIG_COMP_CNT: 0
; COMPUTE_PGM_RSRC3_GFX90A:ACCUM_OFFSET: 21
; COMPUTE_PGM_RSRC3_GFX90A:TG_SPLIT: 0
	.section	.text._ZN9rocsparseL19gebsrmvn_2xn_kernelILj128ELj10ELj32E21rocsparse_complex_numIfEEEvi20rocsparse_direction_NS_24const_host_device_scalarIT2_EEPKiS8_PKS5_SA_S6_PS5_21rocsparse_index_base_b,"axG",@progbits,_ZN9rocsparseL19gebsrmvn_2xn_kernelILj128ELj10ELj32E21rocsparse_complex_numIfEEEvi20rocsparse_direction_NS_24const_host_device_scalarIT2_EEPKiS8_PKS5_SA_S6_PS5_21rocsparse_index_base_b,comdat
	.globl	_ZN9rocsparseL19gebsrmvn_2xn_kernelILj128ELj10ELj32E21rocsparse_complex_numIfEEEvi20rocsparse_direction_NS_24const_host_device_scalarIT2_EEPKiS8_PKS5_SA_S6_PS5_21rocsparse_index_base_b ; -- Begin function _ZN9rocsparseL19gebsrmvn_2xn_kernelILj128ELj10ELj32E21rocsparse_complex_numIfEEEvi20rocsparse_direction_NS_24const_host_device_scalarIT2_EEPKiS8_PKS5_SA_S6_PS5_21rocsparse_index_base_b
	.p2align	8
	.type	_ZN9rocsparseL19gebsrmvn_2xn_kernelILj128ELj10ELj32E21rocsparse_complex_numIfEEEvi20rocsparse_direction_NS_24const_host_device_scalarIT2_EEPKiS8_PKS5_SA_S6_PS5_21rocsparse_index_base_b,@function
_ZN9rocsparseL19gebsrmvn_2xn_kernelILj128ELj10ELj32E21rocsparse_complex_numIfEEEvi20rocsparse_direction_NS_24const_host_device_scalarIT2_EEPKiS8_PKS5_SA_S6_PS5_21rocsparse_index_base_b: ; @_ZN9rocsparseL19gebsrmvn_2xn_kernelILj128ELj10ELj32E21rocsparse_complex_numIfEEEvi20rocsparse_direction_NS_24const_host_device_scalarIT2_EEPKiS8_PKS5_SA_S6_PS5_21rocsparse_index_base_b
; %bb.0:
	s_load_dwordx2 s[12:13], s[0:1], 0x40
	s_load_dwordx2 s[8:9], s[0:1], 0x8
	;; [unrolled: 1-line block ×3, first 2 shown]
	s_waitcnt lgkmcnt(0)
	s_bitcmp1_b32 s13, 0
	s_cselect_b64 s[4:5], -1, 0
	s_xor_b64 s[10:11], s[4:5], -1
	s_and_b64 vcc, exec, s[4:5]
	v_mov_b32_e32 v2, s8
	s_cbranch_vccnz .LBB195_2
; %bb.1:
	v_mov_b64_e32 v[2:3], s[8:9]
	flat_load_dword v2, v[2:3]
.LBB195_2:
	v_cndmask_b32_e64 v1, 0, 1, s[10:11]
	v_cmp_ne_u32_e64 s[4:5], 1, v1
	s_andn2_b64 vcc, exec, s[10:11]
	v_mov_b32_e32 v3, s9
	s_cbranch_vccz .LBB195_16
; %bb.3:
	s_and_b64 vcc, exec, s[4:5]
	v_mov_b32_e32 v4, s6
	s_cbranch_vccz .LBB195_17
.LBB195_4:
	s_and_b64 vcc, exec, s[4:5]
	v_mov_b32_e32 v5, s7
	s_cbranch_vccnz .LBB195_6
.LBB195_5:
	v_mov_b64_e32 v[6:7], s[6:7]
	flat_load_dword v5, v[6:7] offset:4
.LBB195_6:
	s_waitcnt vmcnt(0) lgkmcnt(0)
	v_and_b32_e32 v1, 0x7fffffff, v2
	v_cmp_eq_u32_e32 vcc, 0, v1
	v_cmp_eq_f32_e64 s[4:5], 0, v3
	s_and_b64 s[8:9], vcc, s[4:5]
	s_mov_b64 s[4:5], -1
	s_and_saveexec_b64 s[6:7], s[8:9]
; %bb.7:
	v_and_b32_e32 v1, 0x7fffffff, v5
	v_cmp_neq_f32_e32 vcc, 1.0, v4
	v_cmp_ne_u32_e64 s[4:5], 0, v1
	s_or_b64 s[4:5], vcc, s[4:5]
	s_orn2_b64 s[4:5], s[4:5], exec
; %bb.8:
	s_or_b64 exec, exec, s[6:7]
	s_and_saveexec_b64 s[6:7], s[4:5]
	s_cbranch_execz .LBB195_29
; %bb.9:
	s_load_dwordx2 s[14:15], s[0:1], 0x0
	v_lshrrev_b32_e32 v1, 5, v0
	v_lshl_or_b32 v6, s2, 2, v1
	s_waitcnt lgkmcnt(0)
	v_cmp_gt_i32_e32 vcc, s14, v6
	s_and_b64 exec, exec, vcc
	s_cbranch_execz .LBB195_29
; %bb.10:
	s_load_dwordx8 s[4:11], s[0:1], 0x10
	v_ashrrev_i32_e32 v7, 31, v6
	s_cmp_lg_u32 s15, 0
	s_waitcnt lgkmcnt(0)
	v_lshl_add_u64 v[8:9], v[6:7], 2, s[4:5]
	global_load_dwordx2 v[8:9], v[8:9], off
	v_and_b32_e32 v7, 31, v0
	s_waitcnt vmcnt(0)
	v_subrev_u32_e32 v0, s12, v8
	v_subrev_u32_e32 v18, s12, v9
	v_add_u32_e32 v0, v0, v7
	v_cmp_lt_i32_e64 s[2:3], v0, v18
	s_cbranch_scc0 .LBB195_18
; %bb.11:
	v_mov_b32_e32 v11, 0
	v_mov_b32_e32 v10, v11
	;; [unrolled: 1-line block ×4, first 2 shown]
	s_and_saveexec_b64 s[4:5], s[2:3]
	s_cbranch_execz .LBB195_15
; %bb.12:
	v_mad_u64_u32 v[12:13], s[14:15], v0, 20, 18
	v_mov_b32_e32 v15, 0
	s_mov_b64 s[14:15], 0
	v_mov_b32_e32 v16, v0
	v_mov_b32_e32 v8, v15
	;; [unrolled: 1-line block ×5, first 2 shown]
.LBB195_13:                             ; =>This Inner Loop Header: Depth=1
	v_ashrrev_i32_e32 v17, 31, v16
	v_lshl_add_u64 v[20:21], v[16:17], 2, s[6:7]
	global_load_dword v1, v[20:21], off
	v_subrev_u32_e32 v14, 18, v12
	v_mov_b32_e32 v65, v15
	v_lshl_add_u64 v[28:29], v[14:15], 3, s[8:9]
	global_load_dwordx4 v[20:23], v[28:29], off
	global_load_dwordx4 v[24:27], v[28:29], off offset:16
	v_add_u32_e32 v14, -14, v12
	v_lshl_add_u64 v[28:29], v[14:15], 3, s[8:9]
	global_load_dwordx4 v[28:31], v[28:29], off
	v_mov_b32_e32 v13, v15
	v_lshl_add_u64 v[80:81], v[12:13], 3, s[8:9]
	v_add_u32_e32 v16, 32, v16
	v_cmp_ge_i32_e32 vcc, v16, v18
	s_or_b64 s[14:15], vcc, s[14:15]
	s_waitcnt vmcnt(3)
	v_subrev_u32_e32 v1, s12, v1
	v_mul_lo_u32 v64, v1, 10
	v_lshl_add_u64 v[32:33], v[64:65], 3, s[10:11]
	global_load_dwordx4 v[32:35], v[32:33], off
	v_add_u32_e32 v14, 2, v64
	v_lshl_add_u64 v[36:37], v[14:15], 3, s[10:11]
	global_load_dwordx4 v[36:39], v[36:37], off
	v_add_u32_e32 v14, -12, v12
	v_lshl_add_u64 v[40:41], v[14:15], 3, s[8:9]
	v_add_u32_e32 v14, -10, v12
	v_lshl_add_u64 v[44:45], v[14:15], 3, s[8:9]
	v_add_u32_e32 v14, 4, v64
	global_load_dwordx4 v[40:43], v[40:41], off
	v_lshl_add_u64 v[48:49], v[14:15], 3, s[10:11]
	global_load_dwordx4 v[44:47], v[44:45], off
	v_add_u32_e32 v14, -8, v12
	global_load_dwordx4 v[48:51], v[48:49], off
	v_lshl_add_u64 v[52:53], v[14:15], 3, s[8:9]
	v_add_u32_e32 v14, -6, v12
	v_lshl_add_u64 v[56:57], v[14:15], 3, s[8:9]
	v_add_u32_e32 v14, 6, v64
	global_load_dwordx4 v[52:55], v[52:53], off
	v_lshl_add_u64 v[60:61], v[14:15], 3, s[10:11]
	global_load_dwordx4 v[56:59], v[56:57], off
	v_add_u32_e32 v14, -4, v12
	global_load_dwordx4 v[60:63], v[60:61], off
	v_lshl_add_u64 v[66:67], v[14:15], 3, s[8:9]
	v_add_u32_e32 v14, -2, v12
	v_lshl_add_u64 v[82:83], v[14:15], 3, s[8:9]
	v_add_u32_e32 v14, 8, v64
	global_load_dwordx4 v[64:67], v[66:67], off
	v_lshl_add_u64 v[84:85], v[14:15], 3, s[10:11]
	global_load_dwordx4 v[68:71], v[82:83], off
	global_load_dwordx4 v[72:75], v[84:85], off
	;; [unrolled: 1-line block ×3, first 2 shown]
	s_waitcnt vmcnt(14)
	v_xor_b32_e32 v80, 0x80000000, v23
	v_mov_b32_e32 v81, v22
	s_waitcnt vmcnt(13)
	v_xor_b32_e32 v82, 0x80000000, v27
	v_mov_b32_e32 v83, v26
	v_add_u32_e32 v12, 0x280, v12
	s_waitcnt vmcnt(11)
	v_pk_fma_f32 v[10:11], v[20:21], v[32:33], v[10:11] op_sel_hi:[1,0,1]
	v_pk_fma_f32 v[8:9], v[22:23], v[32:33], v[8:9] op_sel_hi:[1,0,1]
	v_pk_fma_f32 v[10:11], v[20:21], v[32:33], v[10:11] op_sel:[1,1,0] op_sel_hi:[0,1,1] neg_lo:[1,0,0]
	v_pk_fma_f32 v[8:9], v[80:81], v[32:33], v[8:9] op_sel:[0,1,0]
	v_mov_b32_e32 v14, v35
	v_pk_fma_f32 v[10:11], v[24:25], v[34:35], v[10:11] op_sel_hi:[1,0,1]
	v_pk_fma_f32 v[8:9], v[26:27], v[34:35], v[8:9] op_sel_hi:[1,0,1]
	v_pk_fma_f32 v[10:11], v[24:25], v[14:15], v[10:11] op_sel:[1,0,0] op_sel_hi:[0,0,1] neg_lo:[1,0,0]
	v_pk_fma_f32 v[8:9], v[82:83], v[14:15], v[8:9] op_sel_hi:[1,0,1]
	v_xor_b32_e32 v22, 0x80000000, v31
	v_mov_b32_e32 v23, v30
	s_waitcnt vmcnt(10)
	v_pk_fma_f32 v[10:11], v[28:29], v[36:37], v[10:11] op_sel_hi:[1,0,1]
	v_pk_fma_f32 v[8:9], v[30:31], v[36:37], v[8:9] op_sel_hi:[1,0,1]
	v_pk_fma_f32 v[10:11], v[28:29], v[36:37], v[10:11] op_sel:[1,1,0] op_sel_hi:[0,1,1] neg_lo:[1,0,0]
	v_pk_fma_f32 v[8:9], v[22:23], v[36:37], v[8:9] op_sel:[0,1,0]
	v_mov_b32_e32 v26, v39
	s_waitcnt vmcnt(9)
	v_xor_b32_e32 v32, 0x80000000, v43
	v_mov_b32_e32 v33, v42
	v_pk_fma_f32 v[10:11], v[40:41], v[38:39], v[10:11] op_sel_hi:[1,0,1]
	v_pk_fma_f32 v[8:9], v[42:43], v[38:39], v[8:9] op_sel_hi:[1,0,1]
	v_pk_fma_f32 v[10:11], v[40:41], v[26:27], v[10:11] op_sel:[1,0,0] op_sel_hi:[0,0,1] neg_lo:[1,0,0]
	v_pk_fma_f32 v[8:9], v[32:33], v[26:27], v[8:9] op_sel_hi:[1,0,1]
	s_waitcnt vmcnt(8)
	v_xor_b32_e32 v24, 0x80000000, v47
	v_mov_b32_e32 v25, v46
	s_waitcnt vmcnt(7)
	v_pk_fma_f32 v[10:11], v[44:45], v[48:49], v[10:11] op_sel_hi:[1,0,1]
	v_pk_fma_f32 v[8:9], v[46:47], v[48:49], v[8:9] op_sel_hi:[1,0,1]
	v_pk_fma_f32 v[10:11], v[44:45], v[48:49], v[10:11] op_sel:[1,1,0] op_sel_hi:[0,1,1] neg_lo:[1,0,0]
	v_pk_fma_f32 v[8:9], v[24:25], v[48:49], v[8:9] op_sel:[0,1,0]
	v_mov_b32_e32 v14, v51
	s_waitcnt vmcnt(6)
	v_xor_b32_e32 v22, 0x80000000, v55
	v_mov_b32_e32 v23, v54
	v_pk_fma_f32 v[10:11], v[52:53], v[50:51], v[10:11] op_sel_hi:[1,0,1]
	v_pk_fma_f32 v[8:9], v[54:55], v[50:51], v[8:9] op_sel_hi:[1,0,1]
	v_pk_fma_f32 v[10:11], v[52:53], v[14:15], v[10:11] op_sel:[1,0,0] op_sel_hi:[0,0,1] neg_lo:[1,0,0]
	v_pk_fma_f32 v[8:9], v[22:23], v[14:15], v[8:9] op_sel_hi:[1,0,1]
	s_waitcnt vmcnt(5)
	;; [unrolled: 16-line block ×3, first 2 shown]
	v_xor_b32_e32 v24, 0x80000000, v71
	v_mov_b32_e32 v25, v70
	s_waitcnt vmcnt(1)
	v_pk_fma_f32 v[10:11], v[68:69], v[72:73], v[10:11] op_sel_hi:[1,0,1]
	v_pk_fma_f32 v[8:9], v[70:71], v[72:73], v[8:9] op_sel_hi:[1,0,1]
	v_pk_fma_f32 v[10:11], v[68:69], v[72:73], v[10:11] op_sel:[1,1,0] op_sel_hi:[0,1,1] neg_lo:[1,0,0]
	v_pk_fma_f32 v[8:9], v[24:25], v[72:73], v[8:9] op_sel:[0,1,0]
	s_waitcnt vmcnt(0)
	v_xor_b32_e32 v20, 0x80000000, v79
	v_mov_b32_e32 v21, v78
	v_mov_b32_e32 v32, v75
	v_pk_fma_f32 v[10:11], v[76:77], v[74:75], v[10:11] op_sel_hi:[1,0,1]
	v_pk_fma_f32 v[8:9], v[78:79], v[74:75], v[8:9] op_sel_hi:[1,0,1]
	v_pk_fma_f32 v[10:11], v[76:77], v[32:33], v[10:11] op_sel:[1,0,0] op_sel_hi:[0,0,1] neg_lo:[1,0,0]
	v_pk_fma_f32 v[8:9], v[20:21], v[32:33], v[8:9] op_sel_hi:[1,0,1]
	s_andn2_b64 exec, exec, s[14:15]
	s_cbranch_execnz .LBB195_13
; %bb.14:
	s_or_b64 exec, exec, s[14:15]
.LBB195_15:
	s_or_b64 exec, exec, s[4:5]
	s_cbranch_execz .LBB195_19
	s_branch .LBB195_24
.LBB195_16:
	v_mov_b64_e32 v[4:5], s[8:9]
	flat_load_dword v3, v[4:5] offset:4
	s_and_b64 vcc, exec, s[4:5]
	v_mov_b32_e32 v4, s6
	s_cbranch_vccnz .LBB195_4
.LBB195_17:
	v_mov_b64_e32 v[4:5], s[6:7]
	flat_load_dword v4, v[4:5]
	s_and_b64 vcc, exec, s[4:5]
	v_mov_b32_e32 v5, s7
	s_cbranch_vccz .LBB195_5
	s_branch .LBB195_6
.LBB195_18:
                                        ; implicit-def: $vgpr11
                                        ; implicit-def: $vgpr9
.LBB195_19:
	v_mov_b32_e32 v11, 0
	v_mov_b32_e32 v10, v11
	;; [unrolled: 1-line block ×4, first 2 shown]
	s_and_saveexec_b64 s[4:5], s[2:3]
	s_cbranch_execz .LBB195_23
; %bb.20:
	v_mad_u64_u32 v[12:13], s[2:3], v0, 20, 19
	v_mov_b32_e32 v15, 0
	s_mov_b64 s[2:3], 0
	v_mov_b32_e32 v8, v15
	v_mov_b32_e32 v9, v15
	;; [unrolled: 1-line block ×4, first 2 shown]
.LBB195_21:                             ; =>This Inner Loop Header: Depth=1
	v_ashrrev_i32_e32 v1, 31, v0
	v_subrev_u32_e32 v14, 19, v12
	v_add_u32_e32 v20, -9, v12
	v_mov_b32_e32 v21, v15
	v_lshl_add_u64 v[28:29], v[0:1], 2, s[6:7]
	v_lshl_add_u64 v[30:31], v[14:15], 3, s[8:9]
	;; [unrolled: 1-line block ×3, first 2 shown]
	global_load_dword v1, v[28:29], off
	global_load_dwordx4 v[20:23], v[30:31], off
	global_load_dwordx4 v[24:27], v[30:31], off offset:16
	v_mov_b32_e32 v13, v15
	v_add_u32_e32 v14, -8, v12
	v_mov_b32_e32 v17, v15
	v_lshl_add_u64 v[34:35], v[12:13], 3, s[8:9]
	v_lshl_add_u64 v[28:29], v[14:15], 3, s[8:9]
	global_load_dwordx2 v[44:45], v[34:35], off
	global_load_dwordx2 v[46:47], v[32:33], off
	;; [unrolled: 1-line block ×3, first 2 shown]
	v_add_u32_e32 v0, 32, v0
	v_cmp_ge_i32_e32 vcc, v0, v18
	s_or_b64 s[2:3], vcc, s[2:3]
	s_waitcnt vmcnt(5)
	v_subrev_u32_e32 v1, s12, v1
	v_mul_lo_u32 v16, v1, 10
	v_lshl_add_u64 v[28:29], v[16:17], 3, s[10:11]
	global_load_dwordx4 v[28:31], v[28:29], off
	v_add_u32_e32 v14, 2, v16
	v_lshl_add_u64 v[32:33], v[14:15], 3, s[10:11]
	global_load_dwordx4 v[32:35], v[32:33], off
	v_add_u32_e32 v14, -7, v12
	v_lshl_add_u64 v[36:37], v[14:15], 3, s[8:9]
	v_add_u32_e32 v14, -6, v12
	v_lshl_add_u64 v[38:39], v[14:15], 3, s[8:9]
	v_add_u32_e32 v14, -15, v12
	global_load_dwordx2 v[52:53], v[36:37], off
	v_lshl_add_u64 v[36:37], v[14:15], 3, s[8:9]
	v_add_u32_e32 v14, 4, v16
	v_lshl_add_u64 v[40:41], v[14:15], 3, s[10:11]
	v_add_u32_e32 v14, -5, v12
	v_lshl_add_u64 v[42:43], v[14:15], 3, s[8:9]
	v_add_u32_e32 v14, -14, v12
	global_load_dwordx2 v[54:55], v[36:37], off
	global_load_dwordx2 v[56:57], v[38:39], off
	;; [unrolled: 1-line block ×3, first 2 shown]
	s_waitcnt vmcnt(10)
	v_xor_b32_e32 v50, 0x80000000, v23
	global_load_dwordx4 v[36:39], v[40:41], off
	v_lshl_add_u64 v[40:41], v[14:15], 3, s[8:9]
	global_load_dwordx2 v[60:61], v[40:41], off
	v_add_u32_e32 v14, -4, v12
	v_lshl_add_u64 v[42:43], v[14:15], 3, s[8:9]
	v_add_u32_e32 v14, -13, v12
	v_lshl_add_u64 v[40:41], v[14:15], 3, s[8:9]
	v_add_u32_e32 v14, 6, v16
	v_lshl_add_u64 v[62:63], v[14:15], 3, s[10:11]
	v_add_u32_e32 v14, -3, v12
	v_lshl_add_u64 v[68:69], v[14:15], 3, s[8:9]
	v_add_u32_e32 v14, -12, v12
	global_load_dwordx2 v[64:65], v[40:41], off
	global_load_dwordx2 v[66:67], v[42:43], off
	v_mov_b32_e32 v51, v22
	global_load_dwordx4 v[40:43], v[62:63], off
	v_lshl_add_u64 v[62:63], v[14:15], 3, s[8:9]
	v_add_u32_e32 v14, -2, v12
	v_lshl_add_u64 v[70:71], v[14:15], 3, s[8:9]
	v_add_u32_e32 v14, -11, v12
	v_lshl_add_u64 v[72:73], v[14:15], 3, s[8:9]
	global_load_dwordx2 v[62:63], v[62:63], off
	v_add_u32_e32 v14, 8, v16
	global_load_dwordx2 v[74:75], v[72:73], off
	global_load_dwordx2 v[76:77], v[70:71], off
	;; [unrolled: 1-line block ×3, first 2 shown]
	v_lshl_add_u64 v[16:17], v[14:15], 3, s[10:11]
	v_add_u32_e32 v14, -1, v12
	s_waitcnt vmcnt(14)
	v_pk_fma_f32 v[10:11], v[20:21], v[28:29], v[10:11] op_sel_hi:[1,0,1]
	s_nop 0
	v_pk_fma_f32 v[10:11], v[20:21], v[28:29], v[10:11] op_sel:[1,1,0] op_sel_hi:[0,1,1] neg_lo:[1,0,0]
	v_pk_fma_f32 v[10:11], v[22:23], v[30:31], v[10:11] op_sel_hi:[1,0,1]
	global_load_dwordx4 v[20:23], v[16:17], off
	v_lshl_add_u64 v[16:17], v[14:15], 3, s[8:9]
	v_add_u32_e32 v14, -10, v12
	v_pk_fma_f32 v[8:9], v[46:47], v[28:29], v[8:9] op_sel_hi:[1,0,1]
	v_add_u32_e32 v12, 0x280, v12
	v_pk_fma_f32 v[8:9], v[46:47], v[28:29], v[8:9] op_sel:[1,1,0] op_sel_hi:[0,1,1] neg_lo:[1,0,0]
	v_lshl_add_u64 v[28:29], v[14:15], 3, s[8:9]
	global_load_dwordx2 v[46:47], v[28:29], off
	global_load_dwordx2 v[68:69], v[16:17], off
	v_pk_fma_f32 v[8:9], v[48:49], v[30:31], v[8:9] op_sel_hi:[1,0,1]
	v_mov_b32_e32 v14, v31
	v_pk_fma_f32 v[10:11], v[50:51], v[14:15], v[10:11] op_sel_hi:[1,0,1]
	v_pk_fma_f32 v[8:9], v[48:49], v[14:15], v[8:9] op_sel:[1,0,0] op_sel_hi:[0,0,1] neg_lo:[1,0,0]
	s_waitcnt vmcnt(16)
	v_pk_fma_f32 v[10:11], v[24:25], v[32:33], v[10:11] op_sel_hi:[1,0,1]
	s_waitcnt vmcnt(15)
	v_pk_fma_f32 v[8:9], v[52:53], v[32:33], v[8:9] op_sel_hi:[1,0,1]
	v_pk_fma_f32 v[10:11], v[24:25], v[32:33], v[10:11] op_sel:[1,1,0] op_sel_hi:[0,1,1] neg_lo:[1,0,0]
	v_pk_fma_f32 v[8:9], v[52:53], v[32:33], v[8:9] op_sel:[1,1,0] op_sel_hi:[0,1,1] neg_lo:[1,0,0]
	v_xor_b32_e32 v16, 0x80000000, v27
	v_mov_b32_e32 v17, v26
	v_mov_b32_e32 v28, v35
	v_pk_fma_f32 v[10:11], v[26:27], v[34:35], v[10:11] op_sel_hi:[1,0,1]
	s_waitcnt vmcnt(13)
	v_pk_fma_f32 v[8:9], v[56:57], v[34:35], v[8:9] op_sel_hi:[1,0,1]
	v_pk_fma_f32 v[10:11], v[16:17], v[28:29], v[10:11] op_sel_hi:[1,0,1]
	v_pk_fma_f32 v[8:9], v[56:57], v[28:29], v[8:9] op_sel:[1,0,0] op_sel_hi:[0,0,1] neg_lo:[1,0,0]
	s_waitcnt vmcnt(11)
	v_pk_fma_f32 v[10:11], v[54:55], v[36:37], v[10:11] op_sel_hi:[1,0,1]
	v_pk_fma_f32 v[8:9], v[58:59], v[36:37], v[8:9] op_sel_hi:[1,0,1]
	v_pk_fma_f32 v[10:11], v[54:55], v[36:37], v[10:11] op_sel:[1,1,0] op_sel_hi:[0,1,1] neg_lo:[1,0,0]
	v_pk_fma_f32 v[8:9], v[58:59], v[36:37], v[8:9] op_sel:[1,1,0] op_sel_hi:[0,1,1] neg_lo:[1,0,0]
	v_mov_b32_e32 v14, v39
	s_waitcnt vmcnt(10)
	v_pk_fma_f32 v[10:11], v[60:61], v[38:39], v[10:11] op_sel_hi:[1,0,1]
	s_waitcnt vmcnt(8)
	v_pk_fma_f32 v[8:9], v[66:67], v[38:39], v[8:9] op_sel_hi:[1,0,1]
	v_pk_fma_f32 v[10:11], v[60:61], v[14:15], v[10:11] op_sel:[1,0,0] op_sel_hi:[0,0,1] neg_lo:[1,0,0]
	v_pk_fma_f32 v[8:9], v[66:67], v[14:15], v[8:9] op_sel:[1,0,0] op_sel_hi:[0,0,1] neg_lo:[1,0,0]
	s_waitcnt vmcnt(7)
	v_pk_fma_f32 v[10:11], v[64:65], v[40:41], v[10:11] op_sel_hi:[1,0,1]
	v_mov_b32_e32 v16, v43
	v_pk_fma_f32 v[10:11], v[64:65], v[40:41], v[10:11] op_sel:[1,1,0] op_sel_hi:[0,1,1] neg_lo:[1,0,0]
	s_waitcnt vmcnt(6)
	v_pk_fma_f32 v[10:11], v[62:63], v[42:43], v[10:11] op_sel_hi:[1,0,1]
	s_nop 0
	v_pk_fma_f32 v[10:11], v[62:63], v[16:17], v[10:11] op_sel:[1,0,0] op_sel_hi:[0,0,1] neg_lo:[1,0,0]
	s_waitcnt vmcnt(3)
	v_pk_fma_f32 v[8:9], v[78:79], v[40:41], v[8:9] op_sel_hi:[1,0,1]
	s_waitcnt vmcnt(2)
	v_pk_fma_f32 v[10:11], v[74:75], v[20:21], v[10:11] op_sel_hi:[1,0,1]
	v_pk_fma_f32 v[8:9], v[78:79], v[40:41], v[8:9] op_sel:[1,1,0] op_sel_hi:[0,1,1] neg_lo:[1,0,0]
	v_pk_fma_f32 v[8:9], v[76:77], v[42:43], v[8:9] op_sel_hi:[1,0,1]
	v_pk_fma_f32 v[10:11], v[74:75], v[20:21], v[10:11] op_sel:[1,1,0] op_sel_hi:[0,1,1] neg_lo:[1,0,0]
	v_pk_fma_f32 v[8:9], v[76:77], v[16:17], v[8:9] op_sel:[1,0,0] op_sel_hi:[0,0,1] neg_lo:[1,0,0]
	v_mov_b32_e32 v14, v23
	s_waitcnt vmcnt(1)
	v_pk_fma_f32 v[10:11], v[46:47], v[22:23], v[10:11] op_sel_hi:[1,0,1]
	s_waitcnt vmcnt(0)
	v_pk_fma_f32 v[8:9], v[68:69], v[20:21], v[8:9] op_sel_hi:[1,0,1]
	v_pk_fma_f32 v[10:11], v[46:47], v[14:15], v[10:11] op_sel:[1,0,0] op_sel_hi:[0,0,1] neg_lo:[1,0,0]
	v_pk_fma_f32 v[8:9], v[68:69], v[20:21], v[8:9] op_sel:[1,1,0] op_sel_hi:[0,1,1] neg_lo:[1,0,0]
	v_pk_fma_f32 v[8:9], v[44:45], v[22:23], v[8:9] op_sel_hi:[1,0,1]
	s_nop 0
	v_pk_fma_f32 v[8:9], v[44:45], v[14:15], v[8:9] op_sel:[1,0,0] op_sel_hi:[0,0,1] neg_lo:[1,0,0]
	s_andn2_b64 exec, exec, s[2:3]
	s_cbranch_execnz .LBB195_21
; %bb.22:
	s_or_b64 exec, exec, s[2:3]
.LBB195_23:
	s_or_b64 exec, exec, s[4:5]
.LBB195_24:
	v_mov_b32_dpp v12, v8 row_shr:1 row_mask:0xf bank_mask:0xf
	v_add_f32_e32 v8, v8, v12
	v_mov_b32_dpp v0, v10 row_shr:1 row_mask:0xf bank_mask:0xf
	v_add_f32_e32 v0, v10, v0
	;; [unrolled: 2-line block ×5, first 2 shown]
	v_mov_b32_dpp v1, v0 row_shr:2 row_mask:0xf bank_mask:0xf
	v_mov_b32_dpp v11, v10 row_shr:2 row_mask:0xf bank_mask:0xf
	;; [unrolled: 1-line block ×3, first 2 shown]
	v_add_f32_e32 v13, v8, v12
	v_mov_b32_dpp v8, v9 row_shr:1 row_mask:0xf bank_mask:0xf
	v_add_f32_e32 v8, v9, v8
	v_add_f32_e32 v0, v0, v1
	;; [unrolled: 1-line block ×3, first 2 shown]
	v_mov_b32_dpp v9, v8 row_shr:2 row_mask:0xf bank_mask:0xf
	v_add_f32_e32 v8, v8, v9
	v_mov_b32_dpp v1, v0 row_shr:4 row_mask:0xf bank_mask:0xe
	v_mov_b32_dpp v11, v10 row_shr:4 row_mask:0xf bank_mask:0xe
	;; [unrolled: 1-line block ×3, first 2 shown]
	v_add_f32_e32 v0, v0, v1
	v_add_f32_e32 v10, v10, v11
	;; [unrolled: 1-line block ×3, first 2 shown]
	v_mov_b32_dpp v1, v0 row_shr:8 row_mask:0xf bank_mask:0xc
	v_mov_b32_dpp v11, v10 row_shr:8 row_mask:0xf bank_mask:0xc
	;; [unrolled: 1-line block ×3, first 2 shown]
	v_add_f32_e32 v0, v0, v1
	v_add_f32_e32 v10, v10, v11
	;; [unrolled: 1-line block ×3, first 2 shown]
	v_mov_b32_dpp v1, v0 row_bcast:15 row_mask:0xa bank_mask:0xf
	v_mov_b32_dpp v11, v10 row_bcast:15 row_mask:0xa bank_mask:0xf
	;; [unrolled: 1-line block ×4, first 2 shown]
	v_cmp_eq_u32_e32 vcc, 31, v7
	s_and_b64 exec, exec, vcc
	s_cbranch_execz .LBB195_29
; %bb.25:
	s_load_dwordx2 s[2:3], s[0:1], 0x38
	v_add_f32_e32 v8, v0, v1
	v_and_b32_e32 v1, 0x7fffffff, v4
	v_cmp_eq_u32_e32 vcc, 0, v1
	v_cmp_eq_f32_e64 s[0:1], 0, v5
	v_add_f32_e32 v12, v10, v11
	v_add_f32_e32 v0, v13, v14
	;; [unrolled: 1-line block ×3, first 2 shown]
	s_and_b64 s[0:1], vcc, s[0:1]
	s_and_saveexec_b64 s[4:5], s[0:1]
	s_xor_b64 s[0:1], exec, s[4:5]
	s_cbranch_execz .LBB195_27
; %bb.26:
	v_lshlrev_b32_e32 v4, 1, v6
	v_xor_b32_e32 v14, 0x80000000, v3
	v_ashrrev_i32_e32 v5, 31, v4
	v_mov_b32_e32 v15, v2
	s_waitcnt lgkmcnt(0)
	v_lshl_add_u64 v[16:17], v[4:5], 3, s[2:3]
	v_pk_mul_f32 v[4:5], v[12:13], v[14:15] op_sel_hi:[0,1]
	v_pk_mul_f32 v[6:7], v[10:11], v[14:15] op_sel_hi:[0,1]
	v_pk_fma_f32 v[4:5], v[2:3], v[8:9], v[4:5] op_sel_hi:[1,0,1]
	v_pk_fma_f32 v[6:7], v[2:3], v[0:1], v[6:7] op_sel_hi:[1,0,1]
	global_store_dwordx4 v[16:17], v[4:7], off
                                        ; implicit-def: $vgpr3
                                        ; implicit-def: $vgpr4
                                        ; implicit-def: $vgpr6
                                        ; implicit-def: $vgpr8
                                        ; implicit-def: $vgpr12
                                        ; implicit-def: $vgpr0
                                        ; implicit-def: $vgpr10
.LBB195_27:
	s_andn2_saveexec_b64 s[0:1], s[0:1]
	s_cbranch_execz .LBB195_29
; %bb.28:
	v_lshlrev_b32_e32 v6, 1, v6
	v_ashrrev_i32_e32 v7, 31, v6
	s_waitcnt lgkmcnt(0)
	v_lshl_add_u64 v[6:7], v[6:7], 3, s[2:3]
	global_load_dwordx4 v[14:17], v[6:7], off
	v_xor_b32_e32 v18, 0x80000000, v3
	v_mov_b32_e32 v19, v2
	v_pk_mul_f32 v[12:13], v[12:13], v[18:19] op_sel_hi:[0,1]
	v_pk_mul_f32 v[10:11], v[10:11], v[18:19] op_sel_hi:[0,1]
	v_pk_fma_f32 v[8:9], v[2:3], v[8:9], v[12:13] op_sel_hi:[1,0,1]
	v_pk_fma_f32 v[0:1], v[2:3], v[0:1], v[10:11] op_sel_hi:[1,0,1]
	v_xor_b32_e32 v20, 0x80000000, v5
	v_mov_b32_e32 v21, v4
	s_waitcnt vmcnt(0)
	v_pk_fma_f32 v[2:3], v[4:5], v[14:15], v[8:9] op_sel_hi:[1,0,1]
	v_pk_fma_f32 v[4:5], v[4:5], v[16:17], v[0:1] op_sel_hi:[1,0,1]
	v_mov_b32_e32 v8, v17
	v_pk_fma_f32 v[0:1], v[20:21], v[14:15], v[2:3] op_sel:[0,1,0]
	v_pk_fma_f32 v[2:3], v[20:21], v[8:9], v[4:5] op_sel_hi:[1,0,1]
	global_store_dwordx4 v[6:7], v[0:3], off
.LBB195_29:
	s_endpgm
	.section	.rodata,"a",@progbits
	.p2align	6, 0x0
	.amdhsa_kernel _ZN9rocsparseL19gebsrmvn_2xn_kernelILj128ELj10ELj32E21rocsparse_complex_numIfEEEvi20rocsparse_direction_NS_24const_host_device_scalarIT2_EEPKiS8_PKS5_SA_S6_PS5_21rocsparse_index_base_b
		.amdhsa_group_segment_fixed_size 0
		.amdhsa_private_segment_fixed_size 0
		.amdhsa_kernarg_size 72
		.amdhsa_user_sgpr_count 2
		.amdhsa_user_sgpr_dispatch_ptr 0
		.amdhsa_user_sgpr_queue_ptr 0
		.amdhsa_user_sgpr_kernarg_segment_ptr 1
		.amdhsa_user_sgpr_dispatch_id 0
		.amdhsa_user_sgpr_kernarg_preload_length 0
		.amdhsa_user_sgpr_kernarg_preload_offset 0
		.amdhsa_user_sgpr_private_segment_size 0
		.amdhsa_uses_dynamic_stack 0
		.amdhsa_enable_private_segment 0
		.amdhsa_system_sgpr_workgroup_id_x 1
		.amdhsa_system_sgpr_workgroup_id_y 0
		.amdhsa_system_sgpr_workgroup_id_z 0
		.amdhsa_system_sgpr_workgroup_info 0
		.amdhsa_system_vgpr_workitem_id 0
		.amdhsa_next_free_vgpr 86
		.amdhsa_next_free_sgpr 16
		.amdhsa_accum_offset 88
		.amdhsa_reserve_vcc 1
		.amdhsa_float_round_mode_32 0
		.amdhsa_float_round_mode_16_64 0
		.amdhsa_float_denorm_mode_32 3
		.amdhsa_float_denorm_mode_16_64 3
		.amdhsa_dx10_clamp 1
		.amdhsa_ieee_mode 1
		.amdhsa_fp16_overflow 0
		.amdhsa_tg_split 0
		.amdhsa_exception_fp_ieee_invalid_op 0
		.amdhsa_exception_fp_denorm_src 0
		.amdhsa_exception_fp_ieee_div_zero 0
		.amdhsa_exception_fp_ieee_overflow 0
		.amdhsa_exception_fp_ieee_underflow 0
		.amdhsa_exception_fp_ieee_inexact 0
		.amdhsa_exception_int_div_zero 0
	.end_amdhsa_kernel
	.section	.text._ZN9rocsparseL19gebsrmvn_2xn_kernelILj128ELj10ELj32E21rocsparse_complex_numIfEEEvi20rocsparse_direction_NS_24const_host_device_scalarIT2_EEPKiS8_PKS5_SA_S6_PS5_21rocsparse_index_base_b,"axG",@progbits,_ZN9rocsparseL19gebsrmvn_2xn_kernelILj128ELj10ELj32E21rocsparse_complex_numIfEEEvi20rocsparse_direction_NS_24const_host_device_scalarIT2_EEPKiS8_PKS5_SA_S6_PS5_21rocsparse_index_base_b,comdat
.Lfunc_end195:
	.size	_ZN9rocsparseL19gebsrmvn_2xn_kernelILj128ELj10ELj32E21rocsparse_complex_numIfEEEvi20rocsparse_direction_NS_24const_host_device_scalarIT2_EEPKiS8_PKS5_SA_S6_PS5_21rocsparse_index_base_b, .Lfunc_end195-_ZN9rocsparseL19gebsrmvn_2xn_kernelILj128ELj10ELj32E21rocsparse_complex_numIfEEEvi20rocsparse_direction_NS_24const_host_device_scalarIT2_EEPKiS8_PKS5_SA_S6_PS5_21rocsparse_index_base_b
                                        ; -- End function
	.section	.AMDGPU.csdata,"",@progbits
; Kernel info:
; codeLenInByte = 2828
; NumSgprs: 22
; NumVgprs: 86
; NumAgprs: 0
; TotalNumVgprs: 86
; ScratchSize: 0
; MemoryBound: 0
; FloatMode: 240
; IeeeMode: 1
; LDSByteSize: 0 bytes/workgroup (compile time only)
; SGPRBlocks: 2
; VGPRBlocks: 10
; NumSGPRsForWavesPerEU: 22
; NumVGPRsForWavesPerEU: 86
; AccumOffset: 88
; Occupancy: 5
; WaveLimiterHint : 1
; COMPUTE_PGM_RSRC2:SCRATCH_EN: 0
; COMPUTE_PGM_RSRC2:USER_SGPR: 2
; COMPUTE_PGM_RSRC2:TRAP_HANDLER: 0
; COMPUTE_PGM_RSRC2:TGID_X_EN: 1
; COMPUTE_PGM_RSRC2:TGID_Y_EN: 0
; COMPUTE_PGM_RSRC2:TGID_Z_EN: 0
; COMPUTE_PGM_RSRC2:TIDIG_COMP_CNT: 0
; COMPUTE_PGM_RSRC3_GFX90A:ACCUM_OFFSET: 21
; COMPUTE_PGM_RSRC3_GFX90A:TG_SPLIT: 0
	.section	.text._ZN9rocsparseL19gebsrmvn_2xn_kernelILj128ELj10ELj64E21rocsparse_complex_numIfEEEvi20rocsparse_direction_NS_24const_host_device_scalarIT2_EEPKiS8_PKS5_SA_S6_PS5_21rocsparse_index_base_b,"axG",@progbits,_ZN9rocsparseL19gebsrmvn_2xn_kernelILj128ELj10ELj64E21rocsparse_complex_numIfEEEvi20rocsparse_direction_NS_24const_host_device_scalarIT2_EEPKiS8_PKS5_SA_S6_PS5_21rocsparse_index_base_b,comdat
	.globl	_ZN9rocsparseL19gebsrmvn_2xn_kernelILj128ELj10ELj64E21rocsparse_complex_numIfEEEvi20rocsparse_direction_NS_24const_host_device_scalarIT2_EEPKiS8_PKS5_SA_S6_PS5_21rocsparse_index_base_b ; -- Begin function _ZN9rocsparseL19gebsrmvn_2xn_kernelILj128ELj10ELj64E21rocsparse_complex_numIfEEEvi20rocsparse_direction_NS_24const_host_device_scalarIT2_EEPKiS8_PKS5_SA_S6_PS5_21rocsparse_index_base_b
	.p2align	8
	.type	_ZN9rocsparseL19gebsrmvn_2xn_kernelILj128ELj10ELj64E21rocsparse_complex_numIfEEEvi20rocsparse_direction_NS_24const_host_device_scalarIT2_EEPKiS8_PKS5_SA_S6_PS5_21rocsparse_index_base_b,@function
_ZN9rocsparseL19gebsrmvn_2xn_kernelILj128ELj10ELj64E21rocsparse_complex_numIfEEEvi20rocsparse_direction_NS_24const_host_device_scalarIT2_EEPKiS8_PKS5_SA_S6_PS5_21rocsparse_index_base_b: ; @_ZN9rocsparseL19gebsrmvn_2xn_kernelILj128ELj10ELj64E21rocsparse_complex_numIfEEEvi20rocsparse_direction_NS_24const_host_device_scalarIT2_EEPKiS8_PKS5_SA_S6_PS5_21rocsparse_index_base_b
; %bb.0:
	s_load_dwordx2 s[12:13], s[0:1], 0x40
	s_load_dwordx2 s[8:9], s[0:1], 0x8
	;; [unrolled: 1-line block ×3, first 2 shown]
	s_waitcnt lgkmcnt(0)
	s_bitcmp1_b32 s13, 0
	s_cselect_b64 s[4:5], -1, 0
	s_xor_b64 s[10:11], s[4:5], -1
	s_and_b64 vcc, exec, s[4:5]
	v_mov_b32_e32 v2, s8
	s_cbranch_vccnz .LBB196_2
; %bb.1:
	v_mov_b64_e32 v[2:3], s[8:9]
	flat_load_dword v2, v[2:3]
.LBB196_2:
	v_cndmask_b32_e64 v1, 0, 1, s[10:11]
	v_cmp_ne_u32_e64 s[4:5], 1, v1
	s_andn2_b64 vcc, exec, s[10:11]
	v_mov_b32_e32 v3, s9
	s_cbranch_vccz .LBB196_16
; %bb.3:
	s_and_b64 vcc, exec, s[4:5]
	v_mov_b32_e32 v4, s6
	s_cbranch_vccz .LBB196_17
.LBB196_4:
	s_and_b64 vcc, exec, s[4:5]
	v_mov_b32_e32 v5, s7
	s_cbranch_vccnz .LBB196_6
.LBB196_5:
	v_mov_b64_e32 v[6:7], s[6:7]
	flat_load_dword v5, v[6:7] offset:4
.LBB196_6:
	s_waitcnt vmcnt(0) lgkmcnt(0)
	v_and_b32_e32 v1, 0x7fffffff, v2
	v_cmp_eq_u32_e32 vcc, 0, v1
	v_cmp_eq_f32_e64 s[4:5], 0, v3
	s_and_b64 s[8:9], vcc, s[4:5]
	s_mov_b64 s[4:5], -1
	s_and_saveexec_b64 s[6:7], s[8:9]
; %bb.7:
	v_and_b32_e32 v1, 0x7fffffff, v5
	v_cmp_neq_f32_e32 vcc, 1.0, v4
	v_cmp_ne_u32_e64 s[4:5], 0, v1
	s_or_b64 s[4:5], vcc, s[4:5]
	s_orn2_b64 s[4:5], s[4:5], exec
; %bb.8:
	s_or_b64 exec, exec, s[6:7]
	s_and_saveexec_b64 s[6:7], s[4:5]
	s_cbranch_execz .LBB196_29
; %bb.9:
	s_load_dwordx2 s[14:15], s[0:1], 0x0
	v_lshrrev_b32_e32 v1, 6, v0
	v_lshl_or_b32 v6, s2, 1, v1
	s_waitcnt lgkmcnt(0)
	v_cmp_gt_i32_e32 vcc, s14, v6
	s_and_b64 exec, exec, vcc
	s_cbranch_execz .LBB196_29
; %bb.10:
	s_load_dwordx8 s[4:11], s[0:1], 0x10
	v_ashrrev_i32_e32 v7, 31, v6
	s_cmp_lg_u32 s15, 0
	s_waitcnt lgkmcnt(0)
	v_lshl_add_u64 v[8:9], v[6:7], 2, s[4:5]
	global_load_dwordx2 v[8:9], v[8:9], off
	v_and_b32_e32 v7, 63, v0
	s_waitcnt vmcnt(0)
	v_subrev_u32_e32 v0, s12, v8
	v_subrev_u32_e32 v18, s12, v9
	v_add_u32_e32 v0, v0, v7
	v_cmp_lt_i32_e64 s[2:3], v0, v18
	s_cbranch_scc0 .LBB196_18
; %bb.11:
	v_mov_b32_e32 v11, 0
	v_mov_b32_e32 v10, v11
	;; [unrolled: 1-line block ×4, first 2 shown]
	s_and_saveexec_b64 s[4:5], s[2:3]
	s_cbranch_execz .LBB196_15
; %bb.12:
	v_mad_u64_u32 v[12:13], s[14:15], v0, 20, 18
	v_mov_b32_e32 v15, 0
	s_mov_b64 s[14:15], 0
	v_mov_b32_e32 v16, v0
	v_mov_b32_e32 v8, v15
	v_mov_b32_e32 v9, v15
	v_mov_b32_e32 v10, v15
	v_mov_b32_e32 v11, v15
.LBB196_13:                             ; =>This Inner Loop Header: Depth=1
	v_ashrrev_i32_e32 v17, 31, v16
	v_lshl_add_u64 v[20:21], v[16:17], 2, s[6:7]
	global_load_dword v1, v[20:21], off
	v_subrev_u32_e32 v14, 18, v12
	v_mov_b32_e32 v65, v15
	v_lshl_add_u64 v[28:29], v[14:15], 3, s[8:9]
	global_load_dwordx4 v[20:23], v[28:29], off
	global_load_dwordx4 v[24:27], v[28:29], off offset:16
	v_add_u32_e32 v14, -14, v12
	v_lshl_add_u64 v[28:29], v[14:15], 3, s[8:9]
	global_load_dwordx4 v[28:31], v[28:29], off
	v_mov_b32_e32 v13, v15
	v_lshl_add_u64 v[80:81], v[12:13], 3, s[8:9]
	v_add_u32_e32 v16, 64, v16
	v_cmp_ge_i32_e32 vcc, v16, v18
	s_or_b64 s[14:15], vcc, s[14:15]
	s_waitcnt vmcnt(3)
	v_subrev_u32_e32 v1, s12, v1
	v_mul_lo_u32 v64, v1, 10
	v_lshl_add_u64 v[32:33], v[64:65], 3, s[10:11]
	global_load_dwordx4 v[32:35], v[32:33], off
	v_add_u32_e32 v14, 2, v64
	v_lshl_add_u64 v[36:37], v[14:15], 3, s[10:11]
	global_load_dwordx4 v[36:39], v[36:37], off
	v_add_u32_e32 v14, -12, v12
	v_lshl_add_u64 v[40:41], v[14:15], 3, s[8:9]
	v_add_u32_e32 v14, -10, v12
	v_lshl_add_u64 v[44:45], v[14:15], 3, s[8:9]
	v_add_u32_e32 v14, 4, v64
	global_load_dwordx4 v[40:43], v[40:41], off
	v_lshl_add_u64 v[48:49], v[14:15], 3, s[10:11]
	global_load_dwordx4 v[44:47], v[44:45], off
	v_add_u32_e32 v14, -8, v12
	global_load_dwordx4 v[48:51], v[48:49], off
	v_lshl_add_u64 v[52:53], v[14:15], 3, s[8:9]
	v_add_u32_e32 v14, -6, v12
	v_lshl_add_u64 v[56:57], v[14:15], 3, s[8:9]
	v_add_u32_e32 v14, 6, v64
	global_load_dwordx4 v[52:55], v[52:53], off
	v_lshl_add_u64 v[60:61], v[14:15], 3, s[10:11]
	global_load_dwordx4 v[56:59], v[56:57], off
	v_add_u32_e32 v14, -4, v12
	global_load_dwordx4 v[60:63], v[60:61], off
	v_lshl_add_u64 v[66:67], v[14:15], 3, s[8:9]
	v_add_u32_e32 v14, -2, v12
	v_lshl_add_u64 v[82:83], v[14:15], 3, s[8:9]
	v_add_u32_e32 v14, 8, v64
	global_load_dwordx4 v[64:67], v[66:67], off
	v_lshl_add_u64 v[84:85], v[14:15], 3, s[10:11]
	global_load_dwordx4 v[68:71], v[82:83], off
	global_load_dwordx4 v[72:75], v[84:85], off
	;; [unrolled: 1-line block ×3, first 2 shown]
	s_waitcnt vmcnt(14)
	v_xor_b32_e32 v80, 0x80000000, v23
	v_mov_b32_e32 v81, v22
	s_waitcnt vmcnt(13)
	v_xor_b32_e32 v82, 0x80000000, v27
	v_mov_b32_e32 v83, v26
	v_add_u32_e32 v12, 0x500, v12
	s_waitcnt vmcnt(11)
	v_pk_fma_f32 v[10:11], v[20:21], v[32:33], v[10:11] op_sel_hi:[1,0,1]
	v_pk_fma_f32 v[8:9], v[22:23], v[32:33], v[8:9] op_sel_hi:[1,0,1]
	v_pk_fma_f32 v[10:11], v[20:21], v[32:33], v[10:11] op_sel:[1,1,0] op_sel_hi:[0,1,1] neg_lo:[1,0,0]
	v_pk_fma_f32 v[8:9], v[80:81], v[32:33], v[8:9] op_sel:[0,1,0]
	v_mov_b32_e32 v14, v35
	v_pk_fma_f32 v[10:11], v[24:25], v[34:35], v[10:11] op_sel_hi:[1,0,1]
	v_pk_fma_f32 v[8:9], v[26:27], v[34:35], v[8:9] op_sel_hi:[1,0,1]
	v_pk_fma_f32 v[10:11], v[24:25], v[14:15], v[10:11] op_sel:[1,0,0] op_sel_hi:[0,0,1] neg_lo:[1,0,0]
	v_pk_fma_f32 v[8:9], v[82:83], v[14:15], v[8:9] op_sel_hi:[1,0,1]
	v_xor_b32_e32 v22, 0x80000000, v31
	v_mov_b32_e32 v23, v30
	s_waitcnt vmcnt(10)
	v_pk_fma_f32 v[10:11], v[28:29], v[36:37], v[10:11] op_sel_hi:[1,0,1]
	v_pk_fma_f32 v[8:9], v[30:31], v[36:37], v[8:9] op_sel_hi:[1,0,1]
	v_pk_fma_f32 v[10:11], v[28:29], v[36:37], v[10:11] op_sel:[1,1,0] op_sel_hi:[0,1,1] neg_lo:[1,0,0]
	v_pk_fma_f32 v[8:9], v[22:23], v[36:37], v[8:9] op_sel:[0,1,0]
	v_mov_b32_e32 v26, v39
	s_waitcnt vmcnt(9)
	v_xor_b32_e32 v32, 0x80000000, v43
	v_mov_b32_e32 v33, v42
	v_pk_fma_f32 v[10:11], v[40:41], v[38:39], v[10:11] op_sel_hi:[1,0,1]
	v_pk_fma_f32 v[8:9], v[42:43], v[38:39], v[8:9] op_sel_hi:[1,0,1]
	v_pk_fma_f32 v[10:11], v[40:41], v[26:27], v[10:11] op_sel:[1,0,0] op_sel_hi:[0,0,1] neg_lo:[1,0,0]
	v_pk_fma_f32 v[8:9], v[32:33], v[26:27], v[8:9] op_sel_hi:[1,0,1]
	s_waitcnt vmcnt(8)
	v_xor_b32_e32 v24, 0x80000000, v47
	v_mov_b32_e32 v25, v46
	s_waitcnt vmcnt(7)
	v_pk_fma_f32 v[10:11], v[44:45], v[48:49], v[10:11] op_sel_hi:[1,0,1]
	v_pk_fma_f32 v[8:9], v[46:47], v[48:49], v[8:9] op_sel_hi:[1,0,1]
	v_pk_fma_f32 v[10:11], v[44:45], v[48:49], v[10:11] op_sel:[1,1,0] op_sel_hi:[0,1,1] neg_lo:[1,0,0]
	v_pk_fma_f32 v[8:9], v[24:25], v[48:49], v[8:9] op_sel:[0,1,0]
	v_mov_b32_e32 v14, v51
	s_waitcnt vmcnt(6)
	v_xor_b32_e32 v22, 0x80000000, v55
	v_mov_b32_e32 v23, v54
	v_pk_fma_f32 v[10:11], v[52:53], v[50:51], v[10:11] op_sel_hi:[1,0,1]
	v_pk_fma_f32 v[8:9], v[54:55], v[50:51], v[8:9] op_sel_hi:[1,0,1]
	v_pk_fma_f32 v[10:11], v[52:53], v[14:15], v[10:11] op_sel:[1,0,0] op_sel_hi:[0,0,1] neg_lo:[1,0,0]
	v_pk_fma_f32 v[8:9], v[22:23], v[14:15], v[8:9] op_sel_hi:[1,0,1]
	s_waitcnt vmcnt(5)
	;; [unrolled: 16-line block ×3, first 2 shown]
	v_xor_b32_e32 v24, 0x80000000, v71
	v_mov_b32_e32 v25, v70
	s_waitcnt vmcnt(1)
	v_pk_fma_f32 v[10:11], v[68:69], v[72:73], v[10:11] op_sel_hi:[1,0,1]
	v_pk_fma_f32 v[8:9], v[70:71], v[72:73], v[8:9] op_sel_hi:[1,0,1]
	v_pk_fma_f32 v[10:11], v[68:69], v[72:73], v[10:11] op_sel:[1,1,0] op_sel_hi:[0,1,1] neg_lo:[1,0,0]
	v_pk_fma_f32 v[8:9], v[24:25], v[72:73], v[8:9] op_sel:[0,1,0]
	s_waitcnt vmcnt(0)
	v_xor_b32_e32 v20, 0x80000000, v79
	v_mov_b32_e32 v21, v78
	v_mov_b32_e32 v32, v75
	v_pk_fma_f32 v[10:11], v[76:77], v[74:75], v[10:11] op_sel_hi:[1,0,1]
	v_pk_fma_f32 v[8:9], v[78:79], v[74:75], v[8:9] op_sel_hi:[1,0,1]
	v_pk_fma_f32 v[10:11], v[76:77], v[32:33], v[10:11] op_sel:[1,0,0] op_sel_hi:[0,0,1] neg_lo:[1,0,0]
	v_pk_fma_f32 v[8:9], v[20:21], v[32:33], v[8:9] op_sel_hi:[1,0,1]
	s_andn2_b64 exec, exec, s[14:15]
	s_cbranch_execnz .LBB196_13
; %bb.14:
	s_or_b64 exec, exec, s[14:15]
.LBB196_15:
	s_or_b64 exec, exec, s[4:5]
	s_cbranch_execz .LBB196_19
	s_branch .LBB196_24
.LBB196_16:
	v_mov_b64_e32 v[4:5], s[8:9]
	flat_load_dword v3, v[4:5] offset:4
	s_and_b64 vcc, exec, s[4:5]
	v_mov_b32_e32 v4, s6
	s_cbranch_vccnz .LBB196_4
.LBB196_17:
	v_mov_b64_e32 v[4:5], s[6:7]
	flat_load_dword v4, v[4:5]
	s_and_b64 vcc, exec, s[4:5]
	v_mov_b32_e32 v5, s7
	s_cbranch_vccz .LBB196_5
	s_branch .LBB196_6
.LBB196_18:
                                        ; implicit-def: $vgpr11
                                        ; implicit-def: $vgpr9
.LBB196_19:
	v_mov_b32_e32 v11, 0
	v_mov_b32_e32 v10, v11
	;; [unrolled: 1-line block ×4, first 2 shown]
	s_and_saveexec_b64 s[4:5], s[2:3]
	s_cbranch_execz .LBB196_23
; %bb.20:
	v_mad_u64_u32 v[12:13], s[2:3], v0, 20, 19
	v_mov_b32_e32 v15, 0
	s_mov_b64 s[2:3], 0
	v_mov_b32_e32 v8, v15
	v_mov_b32_e32 v9, v15
	;; [unrolled: 1-line block ×4, first 2 shown]
.LBB196_21:                             ; =>This Inner Loop Header: Depth=1
	v_ashrrev_i32_e32 v1, 31, v0
	v_subrev_u32_e32 v14, 19, v12
	v_add_u32_e32 v20, -9, v12
	v_mov_b32_e32 v21, v15
	v_lshl_add_u64 v[28:29], v[0:1], 2, s[6:7]
	v_lshl_add_u64 v[30:31], v[14:15], 3, s[8:9]
	;; [unrolled: 1-line block ×3, first 2 shown]
	global_load_dword v1, v[28:29], off
	global_load_dwordx4 v[20:23], v[30:31], off
	global_load_dwordx4 v[24:27], v[30:31], off offset:16
	v_mov_b32_e32 v13, v15
	v_add_u32_e32 v14, -8, v12
	v_mov_b32_e32 v17, v15
	v_lshl_add_u64 v[34:35], v[12:13], 3, s[8:9]
	v_lshl_add_u64 v[28:29], v[14:15], 3, s[8:9]
	global_load_dwordx2 v[44:45], v[34:35], off
	global_load_dwordx2 v[46:47], v[32:33], off
	;; [unrolled: 1-line block ×3, first 2 shown]
	v_add_u32_e32 v0, 64, v0
	v_cmp_ge_i32_e32 vcc, v0, v18
	s_or_b64 s[2:3], vcc, s[2:3]
	s_waitcnt vmcnt(5)
	v_subrev_u32_e32 v1, s12, v1
	v_mul_lo_u32 v16, v1, 10
	v_lshl_add_u64 v[28:29], v[16:17], 3, s[10:11]
	global_load_dwordx4 v[28:31], v[28:29], off
	v_add_u32_e32 v14, 2, v16
	v_lshl_add_u64 v[32:33], v[14:15], 3, s[10:11]
	global_load_dwordx4 v[32:35], v[32:33], off
	v_add_u32_e32 v14, -7, v12
	v_lshl_add_u64 v[36:37], v[14:15], 3, s[8:9]
	v_add_u32_e32 v14, -6, v12
	v_lshl_add_u64 v[38:39], v[14:15], 3, s[8:9]
	v_add_u32_e32 v14, -15, v12
	global_load_dwordx2 v[52:53], v[36:37], off
	v_lshl_add_u64 v[36:37], v[14:15], 3, s[8:9]
	v_add_u32_e32 v14, 4, v16
	v_lshl_add_u64 v[40:41], v[14:15], 3, s[10:11]
	v_add_u32_e32 v14, -5, v12
	v_lshl_add_u64 v[42:43], v[14:15], 3, s[8:9]
	v_add_u32_e32 v14, -14, v12
	global_load_dwordx2 v[54:55], v[36:37], off
	global_load_dwordx2 v[56:57], v[38:39], off
	;; [unrolled: 1-line block ×3, first 2 shown]
	s_waitcnt vmcnt(10)
	v_xor_b32_e32 v50, 0x80000000, v23
	global_load_dwordx4 v[36:39], v[40:41], off
	v_lshl_add_u64 v[40:41], v[14:15], 3, s[8:9]
	global_load_dwordx2 v[60:61], v[40:41], off
	v_add_u32_e32 v14, -4, v12
	v_lshl_add_u64 v[42:43], v[14:15], 3, s[8:9]
	v_add_u32_e32 v14, -13, v12
	v_lshl_add_u64 v[40:41], v[14:15], 3, s[8:9]
	v_add_u32_e32 v14, 6, v16
	v_lshl_add_u64 v[62:63], v[14:15], 3, s[10:11]
	v_add_u32_e32 v14, -3, v12
	v_lshl_add_u64 v[68:69], v[14:15], 3, s[8:9]
	v_add_u32_e32 v14, -12, v12
	global_load_dwordx2 v[64:65], v[40:41], off
	global_load_dwordx2 v[66:67], v[42:43], off
	v_mov_b32_e32 v51, v22
	global_load_dwordx4 v[40:43], v[62:63], off
	v_lshl_add_u64 v[62:63], v[14:15], 3, s[8:9]
	v_add_u32_e32 v14, -2, v12
	v_lshl_add_u64 v[70:71], v[14:15], 3, s[8:9]
	v_add_u32_e32 v14, -11, v12
	v_lshl_add_u64 v[72:73], v[14:15], 3, s[8:9]
	global_load_dwordx2 v[62:63], v[62:63], off
	v_add_u32_e32 v14, 8, v16
	global_load_dwordx2 v[74:75], v[72:73], off
	global_load_dwordx2 v[76:77], v[70:71], off
	;; [unrolled: 1-line block ×3, first 2 shown]
	v_lshl_add_u64 v[16:17], v[14:15], 3, s[10:11]
	v_add_u32_e32 v14, -1, v12
	s_waitcnt vmcnt(14)
	v_pk_fma_f32 v[10:11], v[20:21], v[28:29], v[10:11] op_sel_hi:[1,0,1]
	s_nop 0
	v_pk_fma_f32 v[10:11], v[20:21], v[28:29], v[10:11] op_sel:[1,1,0] op_sel_hi:[0,1,1] neg_lo:[1,0,0]
	v_pk_fma_f32 v[10:11], v[22:23], v[30:31], v[10:11] op_sel_hi:[1,0,1]
	global_load_dwordx4 v[20:23], v[16:17], off
	v_lshl_add_u64 v[16:17], v[14:15], 3, s[8:9]
	v_add_u32_e32 v14, -10, v12
	v_pk_fma_f32 v[8:9], v[46:47], v[28:29], v[8:9] op_sel_hi:[1,0,1]
	v_add_u32_e32 v12, 0x500, v12
	v_pk_fma_f32 v[8:9], v[46:47], v[28:29], v[8:9] op_sel:[1,1,0] op_sel_hi:[0,1,1] neg_lo:[1,0,0]
	v_lshl_add_u64 v[28:29], v[14:15], 3, s[8:9]
	global_load_dwordx2 v[46:47], v[28:29], off
	global_load_dwordx2 v[68:69], v[16:17], off
	v_pk_fma_f32 v[8:9], v[48:49], v[30:31], v[8:9] op_sel_hi:[1,0,1]
	v_mov_b32_e32 v14, v31
	v_pk_fma_f32 v[10:11], v[50:51], v[14:15], v[10:11] op_sel_hi:[1,0,1]
	v_pk_fma_f32 v[8:9], v[48:49], v[14:15], v[8:9] op_sel:[1,0,0] op_sel_hi:[0,0,1] neg_lo:[1,0,0]
	s_waitcnt vmcnt(16)
	v_pk_fma_f32 v[10:11], v[24:25], v[32:33], v[10:11] op_sel_hi:[1,0,1]
	s_waitcnt vmcnt(15)
	v_pk_fma_f32 v[8:9], v[52:53], v[32:33], v[8:9] op_sel_hi:[1,0,1]
	v_pk_fma_f32 v[10:11], v[24:25], v[32:33], v[10:11] op_sel:[1,1,0] op_sel_hi:[0,1,1] neg_lo:[1,0,0]
	v_pk_fma_f32 v[8:9], v[52:53], v[32:33], v[8:9] op_sel:[1,1,0] op_sel_hi:[0,1,1] neg_lo:[1,0,0]
	v_xor_b32_e32 v16, 0x80000000, v27
	v_mov_b32_e32 v17, v26
	v_mov_b32_e32 v28, v35
	v_pk_fma_f32 v[10:11], v[26:27], v[34:35], v[10:11] op_sel_hi:[1,0,1]
	s_waitcnt vmcnt(13)
	v_pk_fma_f32 v[8:9], v[56:57], v[34:35], v[8:9] op_sel_hi:[1,0,1]
	v_pk_fma_f32 v[10:11], v[16:17], v[28:29], v[10:11] op_sel_hi:[1,0,1]
	v_pk_fma_f32 v[8:9], v[56:57], v[28:29], v[8:9] op_sel:[1,0,0] op_sel_hi:[0,0,1] neg_lo:[1,0,0]
	s_waitcnt vmcnt(11)
	v_pk_fma_f32 v[10:11], v[54:55], v[36:37], v[10:11] op_sel_hi:[1,0,1]
	v_pk_fma_f32 v[8:9], v[58:59], v[36:37], v[8:9] op_sel_hi:[1,0,1]
	v_pk_fma_f32 v[10:11], v[54:55], v[36:37], v[10:11] op_sel:[1,1,0] op_sel_hi:[0,1,1] neg_lo:[1,0,0]
	v_pk_fma_f32 v[8:9], v[58:59], v[36:37], v[8:9] op_sel:[1,1,0] op_sel_hi:[0,1,1] neg_lo:[1,0,0]
	v_mov_b32_e32 v14, v39
	s_waitcnt vmcnt(10)
	v_pk_fma_f32 v[10:11], v[60:61], v[38:39], v[10:11] op_sel_hi:[1,0,1]
	s_waitcnt vmcnt(8)
	v_pk_fma_f32 v[8:9], v[66:67], v[38:39], v[8:9] op_sel_hi:[1,0,1]
	v_pk_fma_f32 v[10:11], v[60:61], v[14:15], v[10:11] op_sel:[1,0,0] op_sel_hi:[0,0,1] neg_lo:[1,0,0]
	v_pk_fma_f32 v[8:9], v[66:67], v[14:15], v[8:9] op_sel:[1,0,0] op_sel_hi:[0,0,1] neg_lo:[1,0,0]
	s_waitcnt vmcnt(7)
	v_pk_fma_f32 v[10:11], v[64:65], v[40:41], v[10:11] op_sel_hi:[1,0,1]
	v_mov_b32_e32 v16, v43
	v_pk_fma_f32 v[10:11], v[64:65], v[40:41], v[10:11] op_sel:[1,1,0] op_sel_hi:[0,1,1] neg_lo:[1,0,0]
	s_waitcnt vmcnt(6)
	v_pk_fma_f32 v[10:11], v[62:63], v[42:43], v[10:11] op_sel_hi:[1,0,1]
	s_nop 0
	v_pk_fma_f32 v[10:11], v[62:63], v[16:17], v[10:11] op_sel:[1,0,0] op_sel_hi:[0,0,1] neg_lo:[1,0,0]
	s_waitcnt vmcnt(3)
	v_pk_fma_f32 v[8:9], v[78:79], v[40:41], v[8:9] op_sel_hi:[1,0,1]
	s_waitcnt vmcnt(2)
	v_pk_fma_f32 v[10:11], v[74:75], v[20:21], v[10:11] op_sel_hi:[1,0,1]
	v_pk_fma_f32 v[8:9], v[78:79], v[40:41], v[8:9] op_sel:[1,1,0] op_sel_hi:[0,1,1] neg_lo:[1,0,0]
	v_pk_fma_f32 v[8:9], v[76:77], v[42:43], v[8:9] op_sel_hi:[1,0,1]
	v_pk_fma_f32 v[10:11], v[74:75], v[20:21], v[10:11] op_sel:[1,1,0] op_sel_hi:[0,1,1] neg_lo:[1,0,0]
	v_pk_fma_f32 v[8:9], v[76:77], v[16:17], v[8:9] op_sel:[1,0,0] op_sel_hi:[0,0,1] neg_lo:[1,0,0]
	v_mov_b32_e32 v14, v23
	s_waitcnt vmcnt(1)
	v_pk_fma_f32 v[10:11], v[46:47], v[22:23], v[10:11] op_sel_hi:[1,0,1]
	s_waitcnt vmcnt(0)
	v_pk_fma_f32 v[8:9], v[68:69], v[20:21], v[8:9] op_sel_hi:[1,0,1]
	v_pk_fma_f32 v[10:11], v[46:47], v[14:15], v[10:11] op_sel:[1,0,0] op_sel_hi:[0,0,1] neg_lo:[1,0,0]
	v_pk_fma_f32 v[8:9], v[68:69], v[20:21], v[8:9] op_sel:[1,1,0] op_sel_hi:[0,1,1] neg_lo:[1,0,0]
	v_pk_fma_f32 v[8:9], v[44:45], v[22:23], v[8:9] op_sel_hi:[1,0,1]
	s_nop 0
	v_pk_fma_f32 v[8:9], v[44:45], v[14:15], v[8:9] op_sel:[1,0,0] op_sel_hi:[0,0,1] neg_lo:[1,0,0]
	s_andn2_b64 exec, exec, s[2:3]
	s_cbranch_execnz .LBB196_21
; %bb.22:
	s_or_b64 exec, exec, s[2:3]
.LBB196_23:
	s_or_b64 exec, exec, s[4:5]
.LBB196_24:
	v_mov_b32_dpp v12, v8 row_shr:1 row_mask:0xf bank_mask:0xf
	v_add_f32_e32 v8, v8, v12
	v_mov_b32_dpp v0, v10 row_shr:1 row_mask:0xf bank_mask:0xf
	v_add_f32_e32 v0, v10, v0
	;; [unrolled: 2-line block ×5, first 2 shown]
	v_mov_b32_dpp v1, v0 row_shr:2 row_mask:0xf bank_mask:0xf
	v_mov_b32_dpp v11, v10 row_shr:2 row_mask:0xf bank_mask:0xf
	;; [unrolled: 1-line block ×3, first 2 shown]
	v_add_f32_e32 v8, v8, v12
	v_add_f32_e32 v0, v0, v1
	;; [unrolled: 1-line block ×3, first 2 shown]
	v_mov_b32_dpp v12, v8 row_bcast:15 row_mask:0xa bank_mask:0xf
	v_add_f32_e32 v13, v8, v12
	v_mov_b32_dpp v8, v9 row_shr:1 row_mask:0xf bank_mask:0xf
	v_add_f32_e32 v8, v9, v8
	v_mov_b32_dpp v1, v0 row_shr:4 row_mask:0xf bank_mask:0xe
	v_mov_b32_dpp v11, v10 row_shr:4 row_mask:0xf bank_mask:0xe
	;; [unrolled: 1-line block ×3, first 2 shown]
	v_add_f32_e32 v8, v8, v9
	v_add_f32_e32 v0, v0, v1
	;; [unrolled: 1-line block ×3, first 2 shown]
	v_mov_b32_dpp v9, v8 row_shr:4 row_mask:0xf bank_mask:0xe
	v_add_f32_e32 v8, v8, v9
	v_mov_b32_dpp v1, v0 row_shr:8 row_mask:0xf bank_mask:0xc
	v_mov_b32_dpp v11, v10 row_shr:8 row_mask:0xf bank_mask:0xc
	;; [unrolled: 1-line block ×3, first 2 shown]
	v_add_f32_e32 v0, v0, v1
	v_add_f32_e32 v10, v10, v11
	v_add_f32_e32 v8, v8, v9
	v_mov_b32_dpp v1, v0 row_bcast:15 row_mask:0xa bank_mask:0xf
	v_mov_b32_dpp v11, v10 row_bcast:15 row_mask:0xa bank_mask:0xf
	;; [unrolled: 1-line block ×3, first 2 shown]
	v_add_f32_e32 v0, v0, v1
	v_add_f32_e32 v10, v10, v11
	;; [unrolled: 1-line block ×3, first 2 shown]
	v_mov_b32_dpp v1, v0 row_bcast:31 row_mask:0xc bank_mask:0xf
	v_mov_b32_dpp v11, v10 row_bcast:31 row_mask:0xc bank_mask:0xf
	;; [unrolled: 1-line block ×4, first 2 shown]
	v_cmp_eq_u32_e32 vcc, 63, v7
	s_and_b64 exec, exec, vcc
	s_cbranch_execz .LBB196_29
; %bb.25:
	s_load_dwordx2 s[2:3], s[0:1], 0x38
	v_add_f32_e32 v8, v0, v1
	v_and_b32_e32 v1, 0x7fffffff, v4
	v_cmp_eq_u32_e32 vcc, 0, v1
	v_cmp_eq_f32_e64 s[0:1], 0, v5
	v_add_f32_e32 v12, v10, v11
	v_add_f32_e32 v0, v13, v14
	;; [unrolled: 1-line block ×3, first 2 shown]
	s_and_b64 s[0:1], vcc, s[0:1]
	s_and_saveexec_b64 s[4:5], s[0:1]
	s_xor_b64 s[0:1], exec, s[4:5]
	s_cbranch_execz .LBB196_27
; %bb.26:
	v_lshlrev_b32_e32 v4, 1, v6
	v_xor_b32_e32 v14, 0x80000000, v3
	v_ashrrev_i32_e32 v5, 31, v4
	v_mov_b32_e32 v15, v2
	s_waitcnt lgkmcnt(0)
	v_lshl_add_u64 v[16:17], v[4:5], 3, s[2:3]
	v_pk_mul_f32 v[4:5], v[12:13], v[14:15] op_sel_hi:[0,1]
	v_pk_mul_f32 v[6:7], v[10:11], v[14:15] op_sel_hi:[0,1]
	v_pk_fma_f32 v[4:5], v[2:3], v[8:9], v[4:5] op_sel_hi:[1,0,1]
	v_pk_fma_f32 v[6:7], v[2:3], v[0:1], v[6:7] op_sel_hi:[1,0,1]
	global_store_dwordx4 v[16:17], v[4:7], off
                                        ; implicit-def: $vgpr3
                                        ; implicit-def: $vgpr4
                                        ; implicit-def: $vgpr6
                                        ; implicit-def: $vgpr8
                                        ; implicit-def: $vgpr12
                                        ; implicit-def: $vgpr0
                                        ; implicit-def: $vgpr10
.LBB196_27:
	s_andn2_saveexec_b64 s[0:1], s[0:1]
	s_cbranch_execz .LBB196_29
; %bb.28:
	v_lshlrev_b32_e32 v6, 1, v6
	v_ashrrev_i32_e32 v7, 31, v6
	s_waitcnt lgkmcnt(0)
	v_lshl_add_u64 v[6:7], v[6:7], 3, s[2:3]
	global_load_dwordx4 v[14:17], v[6:7], off
	v_xor_b32_e32 v18, 0x80000000, v3
	v_mov_b32_e32 v19, v2
	v_pk_mul_f32 v[12:13], v[12:13], v[18:19] op_sel_hi:[0,1]
	v_pk_mul_f32 v[10:11], v[10:11], v[18:19] op_sel_hi:[0,1]
	v_pk_fma_f32 v[8:9], v[2:3], v[8:9], v[12:13] op_sel_hi:[1,0,1]
	v_pk_fma_f32 v[0:1], v[2:3], v[0:1], v[10:11] op_sel_hi:[1,0,1]
	v_xor_b32_e32 v20, 0x80000000, v5
	v_mov_b32_e32 v21, v4
	s_waitcnt vmcnt(0)
	v_pk_fma_f32 v[2:3], v[4:5], v[14:15], v[8:9] op_sel_hi:[1,0,1]
	v_pk_fma_f32 v[4:5], v[4:5], v[16:17], v[0:1] op_sel_hi:[1,0,1]
	v_mov_b32_e32 v8, v17
	v_pk_fma_f32 v[0:1], v[20:21], v[14:15], v[2:3] op_sel:[0,1,0]
	v_pk_fma_f32 v[2:3], v[20:21], v[8:9], v[4:5] op_sel_hi:[1,0,1]
	global_store_dwordx4 v[6:7], v[0:3], off
.LBB196_29:
	s_endpgm
	.section	.rodata,"a",@progbits
	.p2align	6, 0x0
	.amdhsa_kernel _ZN9rocsparseL19gebsrmvn_2xn_kernelILj128ELj10ELj64E21rocsparse_complex_numIfEEEvi20rocsparse_direction_NS_24const_host_device_scalarIT2_EEPKiS8_PKS5_SA_S6_PS5_21rocsparse_index_base_b
		.amdhsa_group_segment_fixed_size 0
		.amdhsa_private_segment_fixed_size 0
		.amdhsa_kernarg_size 72
		.amdhsa_user_sgpr_count 2
		.amdhsa_user_sgpr_dispatch_ptr 0
		.amdhsa_user_sgpr_queue_ptr 0
		.amdhsa_user_sgpr_kernarg_segment_ptr 1
		.amdhsa_user_sgpr_dispatch_id 0
		.amdhsa_user_sgpr_kernarg_preload_length 0
		.amdhsa_user_sgpr_kernarg_preload_offset 0
		.amdhsa_user_sgpr_private_segment_size 0
		.amdhsa_uses_dynamic_stack 0
		.amdhsa_enable_private_segment 0
		.amdhsa_system_sgpr_workgroup_id_x 1
		.amdhsa_system_sgpr_workgroup_id_y 0
		.amdhsa_system_sgpr_workgroup_id_z 0
		.amdhsa_system_sgpr_workgroup_info 0
		.amdhsa_system_vgpr_workitem_id 0
		.amdhsa_next_free_vgpr 86
		.amdhsa_next_free_sgpr 16
		.amdhsa_accum_offset 88
		.amdhsa_reserve_vcc 1
		.amdhsa_float_round_mode_32 0
		.amdhsa_float_round_mode_16_64 0
		.amdhsa_float_denorm_mode_32 3
		.amdhsa_float_denorm_mode_16_64 3
		.amdhsa_dx10_clamp 1
		.amdhsa_ieee_mode 1
		.amdhsa_fp16_overflow 0
		.amdhsa_tg_split 0
		.amdhsa_exception_fp_ieee_invalid_op 0
		.amdhsa_exception_fp_denorm_src 0
		.amdhsa_exception_fp_ieee_div_zero 0
		.amdhsa_exception_fp_ieee_overflow 0
		.amdhsa_exception_fp_ieee_underflow 0
		.amdhsa_exception_fp_ieee_inexact 0
		.amdhsa_exception_int_div_zero 0
	.end_amdhsa_kernel
	.section	.text._ZN9rocsparseL19gebsrmvn_2xn_kernelILj128ELj10ELj64E21rocsparse_complex_numIfEEEvi20rocsparse_direction_NS_24const_host_device_scalarIT2_EEPKiS8_PKS5_SA_S6_PS5_21rocsparse_index_base_b,"axG",@progbits,_ZN9rocsparseL19gebsrmvn_2xn_kernelILj128ELj10ELj64E21rocsparse_complex_numIfEEEvi20rocsparse_direction_NS_24const_host_device_scalarIT2_EEPKiS8_PKS5_SA_S6_PS5_21rocsparse_index_base_b,comdat
.Lfunc_end196:
	.size	_ZN9rocsparseL19gebsrmvn_2xn_kernelILj128ELj10ELj64E21rocsparse_complex_numIfEEEvi20rocsparse_direction_NS_24const_host_device_scalarIT2_EEPKiS8_PKS5_SA_S6_PS5_21rocsparse_index_base_b, .Lfunc_end196-_ZN9rocsparseL19gebsrmvn_2xn_kernelILj128ELj10ELj64E21rocsparse_complex_numIfEEEvi20rocsparse_direction_NS_24const_host_device_scalarIT2_EEPKiS8_PKS5_SA_S6_PS5_21rocsparse_index_base_b
                                        ; -- End function
	.section	.AMDGPU.csdata,"",@progbits
; Kernel info:
; codeLenInByte = 2876
; NumSgprs: 22
; NumVgprs: 86
; NumAgprs: 0
; TotalNumVgprs: 86
; ScratchSize: 0
; MemoryBound: 0
; FloatMode: 240
; IeeeMode: 1
; LDSByteSize: 0 bytes/workgroup (compile time only)
; SGPRBlocks: 2
; VGPRBlocks: 10
; NumSGPRsForWavesPerEU: 22
; NumVGPRsForWavesPerEU: 86
; AccumOffset: 88
; Occupancy: 5
; WaveLimiterHint : 1
; COMPUTE_PGM_RSRC2:SCRATCH_EN: 0
; COMPUTE_PGM_RSRC2:USER_SGPR: 2
; COMPUTE_PGM_RSRC2:TRAP_HANDLER: 0
; COMPUTE_PGM_RSRC2:TGID_X_EN: 1
; COMPUTE_PGM_RSRC2:TGID_Y_EN: 0
; COMPUTE_PGM_RSRC2:TGID_Z_EN: 0
; COMPUTE_PGM_RSRC2:TIDIG_COMP_CNT: 0
; COMPUTE_PGM_RSRC3_GFX90A:ACCUM_OFFSET: 21
; COMPUTE_PGM_RSRC3_GFX90A:TG_SPLIT: 0
	.section	.text._ZN9rocsparseL19gebsrmvn_2xn_kernelILj128ELj11ELj4E21rocsparse_complex_numIfEEEvi20rocsparse_direction_NS_24const_host_device_scalarIT2_EEPKiS8_PKS5_SA_S6_PS5_21rocsparse_index_base_b,"axG",@progbits,_ZN9rocsparseL19gebsrmvn_2xn_kernelILj128ELj11ELj4E21rocsparse_complex_numIfEEEvi20rocsparse_direction_NS_24const_host_device_scalarIT2_EEPKiS8_PKS5_SA_S6_PS5_21rocsparse_index_base_b,comdat
	.globl	_ZN9rocsparseL19gebsrmvn_2xn_kernelILj128ELj11ELj4E21rocsparse_complex_numIfEEEvi20rocsparse_direction_NS_24const_host_device_scalarIT2_EEPKiS8_PKS5_SA_S6_PS5_21rocsparse_index_base_b ; -- Begin function _ZN9rocsparseL19gebsrmvn_2xn_kernelILj128ELj11ELj4E21rocsparse_complex_numIfEEEvi20rocsparse_direction_NS_24const_host_device_scalarIT2_EEPKiS8_PKS5_SA_S6_PS5_21rocsparse_index_base_b
	.p2align	8
	.type	_ZN9rocsparseL19gebsrmvn_2xn_kernelILj128ELj11ELj4E21rocsparse_complex_numIfEEEvi20rocsparse_direction_NS_24const_host_device_scalarIT2_EEPKiS8_PKS5_SA_S6_PS5_21rocsparse_index_base_b,@function
_ZN9rocsparseL19gebsrmvn_2xn_kernelILj128ELj11ELj4E21rocsparse_complex_numIfEEEvi20rocsparse_direction_NS_24const_host_device_scalarIT2_EEPKiS8_PKS5_SA_S6_PS5_21rocsparse_index_base_b: ; @_ZN9rocsparseL19gebsrmvn_2xn_kernelILj128ELj11ELj4E21rocsparse_complex_numIfEEEvi20rocsparse_direction_NS_24const_host_device_scalarIT2_EEPKiS8_PKS5_SA_S6_PS5_21rocsparse_index_base_b
; %bb.0:
	s_load_dwordx2 s[12:13], s[0:1], 0x40
	s_load_dwordx2 s[8:9], s[0:1], 0x8
	;; [unrolled: 1-line block ×3, first 2 shown]
	s_waitcnt lgkmcnt(0)
	s_bitcmp1_b32 s13, 0
	s_cselect_b64 s[4:5], -1, 0
	s_xor_b64 s[10:11], s[4:5], -1
	s_and_b64 vcc, exec, s[4:5]
	v_mov_b32_e32 v2, s8
	s_cbranch_vccnz .LBB197_2
; %bb.1:
	v_mov_b64_e32 v[2:3], s[8:9]
	flat_load_dword v2, v[2:3]
.LBB197_2:
	v_cndmask_b32_e64 v1, 0, 1, s[10:11]
	v_cmp_ne_u32_e64 s[4:5], 1, v1
	s_andn2_b64 vcc, exec, s[10:11]
	v_mov_b32_e32 v3, s9
	s_cbranch_vccz .LBB197_16
; %bb.3:
	s_and_b64 vcc, exec, s[4:5]
	v_mov_b32_e32 v4, s6
	s_cbranch_vccz .LBB197_17
.LBB197_4:
	s_and_b64 vcc, exec, s[4:5]
	v_mov_b32_e32 v5, s7
	s_cbranch_vccnz .LBB197_6
.LBB197_5:
	v_mov_b64_e32 v[6:7], s[6:7]
	flat_load_dword v5, v[6:7] offset:4
.LBB197_6:
	s_waitcnt vmcnt(0) lgkmcnt(0)
	v_and_b32_e32 v1, 0x7fffffff, v2
	v_cmp_eq_u32_e32 vcc, 0, v1
	v_cmp_eq_f32_e64 s[4:5], 0, v3
	s_and_b64 s[8:9], vcc, s[4:5]
	s_mov_b64 s[4:5], -1
	s_and_saveexec_b64 s[6:7], s[8:9]
; %bb.7:
	v_and_b32_e32 v1, 0x7fffffff, v5
	v_cmp_neq_f32_e32 vcc, 1.0, v4
	v_cmp_ne_u32_e64 s[4:5], 0, v1
	s_or_b64 s[4:5], vcc, s[4:5]
	s_orn2_b64 s[4:5], s[4:5], exec
; %bb.8:
	s_or_b64 exec, exec, s[6:7]
	s_and_saveexec_b64 s[6:7], s[4:5]
	s_cbranch_execz .LBB197_29
; %bb.9:
	s_load_dwordx2 s[14:15], s[0:1], 0x0
	v_lshrrev_b32_e32 v1, 2, v0
	v_lshl_or_b32 v6, s2, 5, v1
	s_waitcnt lgkmcnt(0)
	v_cmp_gt_i32_e32 vcc, s14, v6
	s_and_b64 exec, exec, vcc
	s_cbranch_execz .LBB197_29
; %bb.10:
	s_load_dwordx8 s[4:11], s[0:1], 0x10
	v_ashrrev_i32_e32 v7, 31, v6
	s_cmp_lg_u32 s15, 0
	s_waitcnt lgkmcnt(0)
	v_lshl_add_u64 v[8:9], v[6:7], 2, s[4:5]
	global_load_dwordx2 v[8:9], v[8:9], off
	v_and_b32_e32 v7, 3, v0
	s_waitcnt vmcnt(0)
	v_subrev_u32_e32 v0, s12, v8
	v_subrev_u32_e32 v22, s12, v9
	v_add_u32_e32 v0, v0, v7
	v_cmp_lt_i32_e64 s[2:3], v0, v22
	s_cbranch_scc0 .LBB197_18
; %bb.11:
	v_mov_b32_e32 v9, 0
	v_mov_b32_e32 v8, v9
	v_mov_b32_e32 v11, v9
	v_mov_b32_e32 v10, v9
	s_and_saveexec_b64 s[4:5], s[2:3]
	s_cbranch_execz .LBB197_15
; %bb.12:
	v_mov_b32_e32 v13, 0
	v_mul_lo_u32 v12, v0, 22
	s_mov_b64 s[14:15], 0
	v_mov_b32_e32 v14, v0
	v_mov_b32_e32 v10, v13
	;; [unrolled: 1-line block ×5, first 2 shown]
.LBB197_13:                             ; =>This Inner Loop Header: Depth=1
	v_ashrrev_i32_e32 v15, 31, v14
	v_lshl_add_u64 v[58:59], v[14:15], 2, s[6:7]
	global_load_dword v1, v[58:59], off
	v_mov_b32_e32 v17, v13
	v_lshl_add_u64 v[24:25], v[12:13], 3, s[8:9]
	global_load_dwordx4 v[24:27], v[24:25], off
	v_mov_b32_e32 v31, v13
	v_add_u32_e32 v28, 2, v12
	v_mov_b32_e32 v29, v13
	v_add_u32_e32 v32, 4, v12
	v_mov_b32_e32 v33, v13
	v_mov_b32_e32 v35, v13
	v_add_u32_e32 v36, 6, v12
	v_mov_b32_e32 v37, v13
	;; [unrolled: 3-line block ×3, first 2 shown]
	v_add_u32_e32 v40, 10, v12
	v_mov_b32_e32 v41, v13
	v_add_u32_e32 v42, 12, v12
	v_mov_b32_e32 v43, v13
	;; [unrolled: 2-line block ×4, first 2 shown]
	v_mov_b32_e32 v19, v13
	v_add_u32_e32 v56, 18, v12
	v_mov_b32_e32 v57, v13
	v_mov_b32_e32 v49, v13
	v_mov_b32_e32 v51, v13
	v_mov_b32_e32 v53, v13
	v_mov_b32_e32 v55, v13
	v_mov_b32_e32 v63, v13
	v_lshl_add_u64 v[56:57], v[56:57], 3, s[8:9]
	v_add_u32_e32 v14, 4, v14
	v_cmp_ge_i32_e32 vcc, v14, v22
	s_or_b64 s[14:15], vcc, s[14:15]
	s_waitcnt vmcnt(1)
	v_subrev_u32_e32 v1, s12, v1
	v_mul_lo_u32 v16, v1, 11
	v_lshl_add_u64 v[60:61], v[16:17], 3, s[10:11]
	global_load_dwordx2 v[60:61], v[60:61], off
	v_add_u32_e32 v30, 1, v16
	v_lshl_add_u64 v[30:31], v[30:31], 3, s[10:11]
	global_load_dwordx2 v[30:31], v[30:31], off
	s_waitcnt vmcnt(2)
	v_xor_b32_e32 v58, 0x80000000, v27
	v_mov_b32_e32 v59, v26
	v_add_u32_e32 v34, 2, v16
	v_add_u32_e32 v20, 3, v16
	v_lshl_add_u64 v[20:21], v[20:21], 3, s[10:11]
	v_add_u32_e32 v18, 4, v16
	v_add_u32_e32 v48, 5, v16
	;; [unrolled: 1-line block ×7, first 2 shown]
	v_lshl_add_u64 v[18:19], v[18:19], 3, s[10:11]
	v_lshl_add_u64 v[48:49], v[48:49], 3, s[10:11]
	;; [unrolled: 1-line block ×6, first 2 shown]
	s_waitcnt vmcnt(1)
	v_pk_fma_f32 v[8:9], v[24:25], v[60:61], v[8:9] op_sel_hi:[1,0,1]
	v_pk_fma_f32 v[10:11], v[26:27], v[60:61], v[10:11] op_sel_hi:[1,0,1]
	v_pk_fma_f32 v[24:25], v[24:25], v[60:61], v[8:9] op_sel:[1,1,0] op_sel_hi:[0,1,1] neg_lo:[1,0,0]
	v_lshl_add_u64 v[8:9], v[28:29], 3, s[8:9]
	v_pk_fma_f32 v[28:29], v[58:59], v[60:61], v[10:11] op_sel:[0,1,0]
	global_load_dwordx4 v[8:11], v[8:9], off
	v_add_u32_e32 v26, 20, v12
	v_mov_b32_e32 v27, v13
	v_lshl_add_u64 v[64:65], v[26:27], 3, s[8:9]
	v_add_u32_e32 v12, 0x58, v12
	s_waitcnt vmcnt(0)
	v_xor_b32_e32 v58, 0x80000000, v11
	v_mov_b32_e32 v59, v10
	v_pk_fma_f32 v[24:25], v[8:9], v[30:31], v[24:25] op_sel_hi:[1,0,1]
	v_pk_fma_f32 v[28:29], v[10:11], v[30:31], v[28:29] op_sel_hi:[1,0,1]
	v_pk_fma_f32 v[60:61], v[8:9], v[30:31], v[24:25] op_sel:[1,1,0] op_sel_hi:[0,1,1] neg_lo:[1,0,0]
	v_lshl_add_u64 v[8:9], v[32:33], 3, s[8:9]
	v_pk_fma_f32 v[28:29], v[58:59], v[30:31], v[28:29] op_sel:[0,1,0]
	v_lshl_add_u64 v[30:31], v[34:35], 3, s[10:11]
	global_load_dwordx4 v[8:11], v[8:9], off
	v_lshl_add_u64 v[24:25], v[36:37], 3, s[8:9]
	global_load_dwordx4 v[24:27], v[24:25], off
	v_lshl_add_u64 v[32:33], v[38:39], 3, s[8:9]
	global_load_dwordx2 v[34:35], v[30:31], off
	v_lshl_add_u64 v[36:37], v[40:41], 3, s[8:9]
	v_lshl_add_u64 v[38:39], v[42:43], 3, s[8:9]
	;; [unrolled: 1-line block ×4, first 2 shown]
	s_waitcnt vmcnt(2)
	v_xor_b32_e32 v44, 0x80000000, v11
	v_mov_b32_e32 v45, v10
	s_waitcnt vmcnt(0)
	v_pk_fma_f32 v[30:31], v[8:9], v[34:35], v[60:61] op_sel_hi:[1,0,1]
	v_pk_fma_f32 v[46:47], v[10:11], v[34:35], v[28:29] op_sel_hi:[1,0,1]
	v_pk_fma_f32 v[58:59], v[8:9], v[34:35], v[30:31] op_sel:[1,1,0] op_sel_hi:[0,1,1] neg_lo:[1,0,0]
	global_load_dwordx4 v[8:11], v[32:33], off
	global_load_dwordx4 v[28:31], v[36:37], off
	v_pk_fma_f32 v[36:37], v[44:45], v[34:35], v[46:47] op_sel:[0,1,0]
	global_load_dwordx2 v[20:21], v[20:21], off
	v_xor_b32_e32 v44, 0x80000000, v27
	global_load_dwordx4 v[32:35], v[38:39], off
	v_mov_b32_e32 v45, v26
	s_waitcnt vmcnt(1)
	v_pk_fma_f32 v[38:39], v[24:25], v[20:21], v[58:59] op_sel_hi:[1,0,1]
	v_pk_fma_f32 v[46:47], v[26:27], v[20:21], v[36:37] op_sel_hi:[1,0,1]
	v_pk_fma_f32 v[58:59], v[24:25], v[20:21], v[38:39] op_sel:[1,1,0] op_sel_hi:[0,1,1] neg_lo:[1,0,0]
	global_load_dwordx4 v[24:27], v[40:41], off
	global_load_dwordx4 v[36:39], v[42:43], off
	v_pk_fma_f32 v[20:21], v[44:45], v[20:21], v[46:47] op_sel:[0,1,0]
	global_load_dwordx4 v[40:43], v[56:57], off
	global_load_dwordx4 v[44:47], v[64:65], off
	v_lshl_add_u64 v[56:57], v[62:63], 3, s[10:11]
	global_load_dwordx2 v[60:61], v[18:19], off
	global_load_dwordx2 v[62:63], v[48:49], off
	;; [unrolled: 1-line block ×7, first 2 shown]
	v_xor_b32_e32 v16, 0x80000000, v11
	v_mov_b32_e32 v17, v10
	s_waitcnt vmcnt(6)
	v_pk_fma_f32 v[18:19], v[8:9], v[60:61], v[58:59] op_sel_hi:[1,0,1]
	v_pk_fma_f32 v[10:11], v[10:11], v[60:61], v[20:21] op_sel_hi:[1,0,1]
	v_pk_fma_f32 v[8:9], v[8:9], v[60:61], v[18:19] op_sel:[1,1,0] op_sel_hi:[0,1,1] neg_lo:[1,0,0]
	v_pk_fma_f32 v[10:11], v[16:17], v[60:61], v[10:11] op_sel:[0,1,0]
	v_xor_b32_e32 v18, 0x80000000, v31
	v_mov_b32_e32 v19, v30
	s_waitcnt vmcnt(5)
	v_pk_fma_f32 v[8:9], v[28:29], v[62:63], v[8:9] op_sel_hi:[1,0,1]
	v_pk_fma_f32 v[10:11], v[30:31], v[62:63], v[10:11] op_sel_hi:[1,0,1]
	v_pk_fma_f32 v[8:9], v[28:29], v[62:63], v[8:9] op_sel:[1,1,0] op_sel_hi:[0,1,1] neg_lo:[1,0,0]
	v_pk_fma_f32 v[10:11], v[18:19], v[62:63], v[10:11] op_sel:[0,1,0]
	;; [unrolled: 7-line block ×7, first 2 shown]
	s_andn2_b64 exec, exec, s[14:15]
	s_cbranch_execnz .LBB197_13
; %bb.14:
	s_or_b64 exec, exec, s[14:15]
.LBB197_15:
	s_or_b64 exec, exec, s[4:5]
	s_cbranch_execz .LBB197_19
	s_branch .LBB197_24
.LBB197_16:
	v_mov_b64_e32 v[4:5], s[8:9]
	flat_load_dword v3, v[4:5] offset:4
	s_and_b64 vcc, exec, s[4:5]
	v_mov_b32_e32 v4, s6
	s_cbranch_vccnz .LBB197_4
.LBB197_17:
	v_mov_b64_e32 v[4:5], s[6:7]
	flat_load_dword v4, v[4:5]
	s_and_b64 vcc, exec, s[4:5]
	v_mov_b32_e32 v5, s7
	s_cbranch_vccz .LBB197_5
	s_branch .LBB197_6
.LBB197_18:
                                        ; implicit-def: $vgpr9
                                        ; implicit-def: $vgpr11
.LBB197_19:
	v_mov_b32_e32 v9, 0
	v_mov_b32_e32 v8, v9
	;; [unrolled: 1-line block ×4, first 2 shown]
	s_and_saveexec_b64 s[4:5], s[2:3]
	s_cbranch_execz .LBB197_23
; %bb.20:
	v_mad_u64_u32 v[12:13], s[2:3], v0, 22, 21
	v_mov_b32_e32 v15, 0
	s_mov_b64 s[2:3], 0
	v_mov_b32_e32 v10, v15
	v_mov_b32_e32 v11, v15
	;; [unrolled: 1-line block ×4, first 2 shown]
.LBB197_21:                             ; =>This Inner Loop Header: Depth=1
	v_ashrrev_i32_e32 v1, 31, v0
	v_subrev_u32_e32 v14, 21, v12
	v_add_u32_e32 v18, -10, v12
	v_mov_b32_e32 v19, v15
	v_mov_b32_e32 v13, v15
	v_lshl_add_u64 v[24:25], v[0:1], 2, s[6:7]
	v_lshl_add_u64 v[26:27], v[14:15], 3, s[8:9]
	;; [unrolled: 1-line block ×4, first 2 shown]
	global_load_dword v1, v[24:25], off
	global_load_dwordx4 v[18:21], v[26:27], off
	global_load_dwordx2 v[32:33], v[28:29], off
	global_load_dwordx2 v[34:35], v[30:31], off
	v_mov_b32_e32 v17, v15
	v_add_u32_e32 v0, 4, v0
	v_cmp_ge_i32_e32 vcc, v0, v22
	s_or_b64 s[2:3], vcc, s[2:3]
	s_waitcnt vmcnt(3)
	v_subrev_u32_e32 v1, s12, v1
	v_mul_lo_u32 v16, v1, 11
	v_lshl_add_u64 v[26:27], v[16:17], 3, s[10:11]
	global_load_dwordx2 v[26:27], v[26:27], off
	v_add_u32_e32 v14, 1, v16
	v_lshl_add_u64 v[28:29], v[14:15], 3, s[10:11]
	global_load_dwordx2 v[28:29], v[28:29], off
	v_add_u32_e32 v14, -9, v12
	v_lshl_add_u64 v[30:31], v[14:15], 3, s[8:9]
	v_subrev_u32_e32 v14, 19, v12
	global_load_dwordx2 v[30:31], v[30:31], off
	v_lshl_add_u64 v[36:37], v[14:15], 3, s[8:9]
	v_add_u32_e32 v14, 2, v16
	v_lshl_add_u64 v[38:39], v[14:15], 3, s[10:11]
	v_add_u32_e32 v14, -8, v12
	global_load_dwordx2 v[36:37], v[36:37], off
	v_lshl_add_u64 v[40:41], v[14:15], 3, s[8:9]
	global_load_dwordx2 v[38:39], v[38:39], off
	v_subrev_u32_e32 v14, 18, v12
	global_load_dwordx2 v[40:41], v[40:41], off
	v_lshl_add_u64 v[42:43], v[14:15], 3, s[8:9]
	v_add_u32_e32 v14, 3, v16
	v_lshl_add_u64 v[44:45], v[14:15], 3, s[10:11]
	v_add_u32_e32 v14, -7, v12
	v_lshl_add_u64 v[46:47], v[14:15], 3, s[8:9]
	v_subrev_u32_e32 v14, 17, v12
	v_lshl_add_u64 v[48:49], v[14:15], 3, s[8:9]
	v_add_u32_e32 v14, 4, v16
	v_lshl_add_u64 v[50:51], v[14:15], 3, s[10:11]
	v_add_u32_e32 v14, -6, v12
	v_lshl_add_u64 v[52:53], v[14:15], 3, s[8:9]
	v_add_u32_e32 v14, -16, v12
	v_lshl_add_u64 v[54:55], v[14:15], 3, s[8:9]
	v_add_u32_e32 v14, 5, v16
	v_lshl_add_u64 v[56:57], v[14:15], 3, s[10:11]
	v_add_u32_e32 v14, -5, v12
	v_lshl_add_u64 v[58:59], v[14:15], 3, s[8:9]
	v_add_u32_e32 v14, -15, v12
	global_load_dwordx2 v[42:43], v[42:43], off
	v_lshl_add_u64 v[60:61], v[14:15], 3, s[8:9]
	global_load_dwordx2 v[44:45], v[44:45], off
	v_add_u32_e32 v14, 6, v16
	global_load_dwordx2 v[46:47], v[46:47], off
	v_lshl_add_u64 v[62:63], v[14:15], 3, s[10:11]
	global_load_dwordx2 v[48:49], v[48:49], off
	v_add_u32_e32 v14, -4, v12
	global_load_dwordx2 v[50:51], v[50:51], off
	v_lshl_add_u64 v[64:65], v[14:15], 3, s[8:9]
	global_load_dwordx2 v[52:53], v[52:53], off
	v_add_u32_e32 v14, -14, v12
	global_load_dwordx2 v[54:55], v[54:55], off
	s_waitcnt vmcnt(15)
	v_xor_b32_e32 v24, 0x80000000, v21
	global_load_dwordx2 v[56:57], v[56:57], off
	v_mov_b32_e32 v25, v20
	global_load_dwordx2 v[58:59], v[58:59], off
	s_waitcnt vmcnt(14)
	v_pk_fma_f32 v[10:11], v[32:33], v[26:27], v[10:11] op_sel_hi:[1,0,1]
	global_load_dwordx2 v[60:61], v[60:61], off
	v_pk_fma_f32 v[10:11], v[32:33], v[26:27], v[10:11] op_sel:[1,1,0] op_sel_hi:[0,1,1] neg_lo:[1,0,0]
	v_lshl_add_u64 v[32:33], v[14:15], 3, s[8:9]
	v_add_u32_e32 v14, 7, v16
	v_pk_fma_f32 v[8:9], v[18:19], v[26:27], v[8:9] op_sel_hi:[1,0,1]
	global_load_dwordx2 v[62:63], v[62:63], off
	v_pk_fma_f32 v[8:9], v[18:19], v[26:27], v[8:9] op_sel:[1,1,0] op_sel_hi:[0,1,1] neg_lo:[1,0,0]
	v_lshl_add_u64 v[18:19], v[14:15], 3, s[10:11]
	v_add_u32_e32 v14, -3, v12
	s_waitcnt vmcnt(15)
	v_pk_fma_f32 v[8:9], v[20:21], v[28:29], v[8:9] op_sel_hi:[1,0,1]
	v_lshl_add_u64 v[20:21], v[14:15], 3, s[8:9]
	v_add_u32_e32 v14, -13, v12
	global_load_dwordx2 v[64:65], v[64:65], off
	v_pk_fma_f32 v[8:9], v[24:25], v[28:29], v[8:9] op_sel:[0,1,0]
	global_load_dwordx2 v[26:27], v[32:33], off
	v_lshl_add_u64 v[32:33], v[14:15], 3, s[8:9]
	v_add_u32_e32 v14, 8, v16
	v_lshl_add_u64 v[24:25], v[14:15], 3, s[10:11]
	v_add_u32_e32 v14, -2, v12
	s_waitcnt vmcnt(16)
	v_pk_fma_f32 v[10:11], v[30:31], v[28:29], v[10:11] op_sel_hi:[1,0,1]
	global_load_dwordx2 v[18:19], v[18:19], off
	v_pk_fma_f32 v[10:11], v[30:31], v[28:29], v[10:11] op_sel:[1,1,0] op_sel_hi:[0,1,1] neg_lo:[1,0,0]
	global_load_dwordx2 v[20:21], v[20:21], off
	v_lshl_add_u64 v[28:29], v[14:15], 3, s[8:9]
	v_add_u32_e32 v14, -12, v12
	v_lshl_add_u64 v[30:31], v[14:15], 3, s[8:9]
	v_add_u32_e32 v14, 9, v16
	s_waitcnt vmcnt(16)
	v_pk_fma_f32 v[8:9], v[36:37], v[38:39], v[8:9] op_sel_hi:[1,0,1]
	global_load_dwordx2 v[32:33], v[32:33], off
	v_pk_fma_f32 v[8:9], v[36:37], v[38:39], v[8:9] op_sel:[1,1,0] op_sel_hi:[0,1,1] neg_lo:[1,0,0]
	global_load_dwordx2 v[30:31], v[30:31], off
	v_lshl_add_u64 v[36:37], v[14:15], 3, s[10:11]
	global_load_dwordx2 v[24:25], v[24:25], off
	v_add_u32_e32 v14, -1, v12
	global_load_dwordx2 v[28:29], v[28:29], off
	s_waitcnt vmcnt(19)
	v_pk_fma_f32 v[10:11], v[40:41], v[38:39], v[10:11] op_sel_hi:[1,0,1]
	global_load_dwordx2 v[36:37], v[36:37], off
	v_pk_fma_f32 v[10:11], v[40:41], v[38:39], v[10:11] op_sel:[1,1,0] op_sel_hi:[0,1,1] neg_lo:[1,0,0]
	v_lshl_add_u64 v[38:39], v[14:15], 3, s[8:9]
	v_add_u32_e32 v14, -11, v12
	v_lshl_add_u64 v[40:41], v[14:15], 3, s[8:9]
	v_add_u32_e32 v14, 10, v16
	global_load_dwordx2 v[16:17], v[38:39], off
	v_lshl_add_u64 v[38:39], v[14:15], 3, s[10:11]
	global_load_dwordx2 v[66:67], v[40:41], off
	global_load_dwordx2 v[68:69], v[38:39], off
	s_waitcnt vmcnt(21)
	v_pk_fma_f32 v[8:9], v[42:43], v[44:45], v[8:9] op_sel_hi:[1,0,1]
	s_waitcnt vmcnt(20)
	v_pk_fma_f32 v[10:11], v[46:47], v[44:45], v[10:11] op_sel_hi:[1,0,1]
	v_pk_fma_f32 v[8:9], v[42:43], v[44:45], v[8:9] op_sel:[1,1,0] op_sel_hi:[0,1,1] neg_lo:[1,0,0]
	v_pk_fma_f32 v[10:11], v[46:47], v[44:45], v[10:11] op_sel:[1,1,0] op_sel_hi:[0,1,1] neg_lo:[1,0,0]
	s_waitcnt vmcnt(18)
	v_pk_fma_f32 v[8:9], v[48:49], v[50:51], v[8:9] op_sel_hi:[1,0,1]
	s_waitcnt vmcnt(17)
	v_pk_fma_f32 v[10:11], v[52:53], v[50:51], v[10:11] op_sel_hi:[1,0,1]
	v_pk_fma_f32 v[8:9], v[48:49], v[50:51], v[8:9] op_sel:[1,1,0] op_sel_hi:[0,1,1] neg_lo:[1,0,0]
	v_pk_fma_f32 v[10:11], v[52:53], v[50:51], v[10:11] op_sel:[1,1,0] op_sel_hi:[0,1,1] neg_lo:[1,0,0]
	;; [unrolled: 6-line block ×3, first 2 shown]
	v_add_u32_e32 v12, 0x58, v12
	s_waitcnt vmcnt(12)
	v_pk_fma_f32 v[8:9], v[60:61], v[62:63], v[8:9] op_sel_hi:[1,0,1]
	s_nop 0
	v_pk_fma_f32 v[8:9], v[60:61], v[62:63], v[8:9] op_sel:[1,1,0] op_sel_hi:[0,1,1] neg_lo:[1,0,0]
	s_waitcnt vmcnt(11)
	v_pk_fma_f32 v[10:11], v[64:65], v[62:63], v[10:11] op_sel_hi:[1,0,1]
	s_nop 0
	v_pk_fma_f32 v[10:11], v[64:65], v[62:63], v[10:11] op_sel:[1,1,0] op_sel_hi:[0,1,1] neg_lo:[1,0,0]
	;; [unrolled: 4-line block ×3, first 2 shown]
	s_waitcnt vmcnt(8)
	v_pk_fma_f32 v[10:11], v[20:21], v[18:19], v[10:11] op_sel_hi:[1,0,1]
	s_waitcnt vmcnt(5)
	v_pk_fma_f32 v[8:9], v[32:33], v[24:25], v[8:9] op_sel_hi:[1,0,1]
	v_pk_fma_f32 v[10:11], v[20:21], v[18:19], v[10:11] op_sel:[1,1,0] op_sel_hi:[0,1,1] neg_lo:[1,0,0]
	s_waitcnt vmcnt(4)
	v_pk_fma_f32 v[10:11], v[28:29], v[24:25], v[10:11] op_sel_hi:[1,0,1]
	v_pk_fma_f32 v[8:9], v[32:33], v[24:25], v[8:9] op_sel:[1,1,0] op_sel_hi:[0,1,1] neg_lo:[1,0,0]
	v_pk_fma_f32 v[10:11], v[28:29], v[24:25], v[10:11] op_sel:[1,1,0] op_sel_hi:[0,1,1] neg_lo:[1,0,0]
	s_waitcnt vmcnt(3)
	v_pk_fma_f32 v[8:9], v[30:31], v[36:37], v[8:9] op_sel_hi:[1,0,1]
	s_waitcnt vmcnt(2)
	v_pk_fma_f32 v[10:11], v[16:17], v[36:37], v[10:11] op_sel_hi:[1,0,1]
	v_pk_fma_f32 v[8:9], v[30:31], v[36:37], v[8:9] op_sel:[1,1,0] op_sel_hi:[0,1,1] neg_lo:[1,0,0]
	v_pk_fma_f32 v[10:11], v[16:17], v[36:37], v[10:11] op_sel:[1,1,0] op_sel_hi:[0,1,1] neg_lo:[1,0,0]
	s_waitcnt vmcnt(0)
	v_pk_fma_f32 v[8:9], v[66:67], v[68:69], v[8:9] op_sel_hi:[1,0,1]
	v_pk_fma_f32 v[10:11], v[34:35], v[68:69], v[10:11] op_sel_hi:[1,0,1]
	v_pk_fma_f32 v[8:9], v[66:67], v[68:69], v[8:9] op_sel:[1,1,0] op_sel_hi:[0,1,1] neg_lo:[1,0,0]
	v_pk_fma_f32 v[10:11], v[34:35], v[68:69], v[10:11] op_sel:[1,1,0] op_sel_hi:[0,1,1] neg_lo:[1,0,0]
	s_andn2_b64 exec, exec, s[2:3]
	s_cbranch_execnz .LBB197_21
; %bb.22:
	s_or_b64 exec, exec, s[2:3]
.LBB197_23:
	s_or_b64 exec, exec, s[4:5]
.LBB197_24:
	v_mov_b32_dpp v0, v8 row_shr:1 row_mask:0xf bank_mask:0xf
	v_add_f32_e32 v0, v8, v0
	v_mov_b32_dpp v8, v9 row_shr:1 row_mask:0xf bank_mask:0xf
	v_add_f32_e32 v9, v9, v8
	v_mov_b32_dpp v1, v0 row_shr:2 row_mask:0xf bank_mask:0xf
	v_mov_b32_dpp v8, v10 row_shr:1 row_mask:0xf bank_mask:0xf
	v_add_f32_e32 v10, v10, v8
	v_mov_b32_dpp v12, v9 row_shr:2 row_mask:0xf bank_mask:0xf
	;; [unrolled: 3-line block ×3, first 2 shown]
	v_cmp_eq_u32_e32 vcc, 3, v7
	v_mov_b32_dpp v14, v11 row_shr:2 row_mask:0xf bank_mask:0xf
	s_and_b64 exec, exec, vcc
	s_cbranch_execz .LBB197_29
; %bb.25:
	s_load_dwordx2 s[2:3], s[0:1], 0x38
	v_add_f32_e32 v8, v0, v1
	v_and_b32_e32 v1, 0x7fffffff, v4
	v_cmp_eq_u32_e32 vcc, 0, v1
	v_cmp_eq_f32_e64 s[0:1], 0, v5
	v_add_f32_e32 v12, v9, v12
	v_add_f32_e32 v0, v10, v13
	;; [unrolled: 1-line block ×3, first 2 shown]
	s_and_b64 s[0:1], vcc, s[0:1]
	s_and_saveexec_b64 s[4:5], s[0:1]
	s_xor_b64 s[0:1], exec, s[4:5]
	s_cbranch_execz .LBB197_27
; %bb.26:
	v_lshlrev_b32_e32 v4, 1, v6
	v_xor_b32_e32 v14, 0x80000000, v3
	v_ashrrev_i32_e32 v5, 31, v4
	v_mov_b32_e32 v15, v2
	s_waitcnt lgkmcnt(0)
	v_lshl_add_u64 v[16:17], v[4:5], 3, s[2:3]
	v_pk_mul_f32 v[4:5], v[12:13], v[14:15] op_sel_hi:[0,1]
	v_pk_mul_f32 v[6:7], v[10:11], v[14:15] op_sel_hi:[0,1]
	v_pk_fma_f32 v[4:5], v[2:3], v[8:9], v[4:5] op_sel_hi:[1,0,1]
	v_pk_fma_f32 v[6:7], v[2:3], v[0:1], v[6:7] op_sel_hi:[1,0,1]
	global_store_dwordx4 v[16:17], v[4:7], off
                                        ; implicit-def: $vgpr3
                                        ; implicit-def: $vgpr4
                                        ; implicit-def: $vgpr6
                                        ; implicit-def: $vgpr8
                                        ; implicit-def: $vgpr12
                                        ; implicit-def: $vgpr0
                                        ; implicit-def: $vgpr10
.LBB197_27:
	s_andn2_saveexec_b64 s[0:1], s[0:1]
	s_cbranch_execz .LBB197_29
; %bb.28:
	v_lshlrev_b32_e32 v6, 1, v6
	v_ashrrev_i32_e32 v7, 31, v6
	s_waitcnt lgkmcnt(0)
	v_lshl_add_u64 v[6:7], v[6:7], 3, s[2:3]
	global_load_dwordx4 v[14:17], v[6:7], off
	v_xor_b32_e32 v18, 0x80000000, v3
	v_mov_b32_e32 v19, v2
	v_pk_mul_f32 v[12:13], v[12:13], v[18:19] op_sel_hi:[0,1]
	v_pk_mul_f32 v[10:11], v[10:11], v[18:19] op_sel_hi:[0,1]
	v_pk_fma_f32 v[8:9], v[2:3], v[8:9], v[12:13] op_sel_hi:[1,0,1]
	v_pk_fma_f32 v[0:1], v[2:3], v[0:1], v[10:11] op_sel_hi:[1,0,1]
	v_xor_b32_e32 v20, 0x80000000, v5
	v_mov_b32_e32 v21, v4
	s_waitcnt vmcnt(0)
	v_pk_fma_f32 v[2:3], v[4:5], v[14:15], v[8:9] op_sel_hi:[1,0,1]
	v_pk_fma_f32 v[4:5], v[4:5], v[16:17], v[0:1] op_sel_hi:[1,0,1]
	v_mov_b32_e32 v8, v17
	v_pk_fma_f32 v[0:1], v[20:21], v[14:15], v[2:3] op_sel:[0,1,0]
	v_pk_fma_f32 v[2:3], v[20:21], v[8:9], v[4:5] op_sel_hi:[1,0,1]
	global_store_dwordx4 v[6:7], v[0:3], off
.LBB197_29:
	s_endpgm
	.section	.rodata,"a",@progbits
	.p2align	6, 0x0
	.amdhsa_kernel _ZN9rocsparseL19gebsrmvn_2xn_kernelILj128ELj11ELj4E21rocsparse_complex_numIfEEEvi20rocsparse_direction_NS_24const_host_device_scalarIT2_EEPKiS8_PKS5_SA_S6_PS5_21rocsparse_index_base_b
		.amdhsa_group_segment_fixed_size 0
		.amdhsa_private_segment_fixed_size 0
		.amdhsa_kernarg_size 72
		.amdhsa_user_sgpr_count 2
		.amdhsa_user_sgpr_dispatch_ptr 0
		.amdhsa_user_sgpr_queue_ptr 0
		.amdhsa_user_sgpr_kernarg_segment_ptr 1
		.amdhsa_user_sgpr_dispatch_id 0
		.amdhsa_user_sgpr_kernarg_preload_length 0
		.amdhsa_user_sgpr_kernarg_preload_offset 0
		.amdhsa_user_sgpr_private_segment_size 0
		.amdhsa_uses_dynamic_stack 0
		.amdhsa_enable_private_segment 0
		.amdhsa_system_sgpr_workgroup_id_x 1
		.amdhsa_system_sgpr_workgroup_id_y 0
		.amdhsa_system_sgpr_workgroup_id_z 0
		.amdhsa_system_sgpr_workgroup_info 0
		.amdhsa_system_vgpr_workitem_id 0
		.amdhsa_next_free_vgpr 74
		.amdhsa_next_free_sgpr 16
		.amdhsa_accum_offset 76
		.amdhsa_reserve_vcc 1
		.amdhsa_float_round_mode_32 0
		.amdhsa_float_round_mode_16_64 0
		.amdhsa_float_denorm_mode_32 3
		.amdhsa_float_denorm_mode_16_64 3
		.amdhsa_dx10_clamp 1
		.amdhsa_ieee_mode 1
		.amdhsa_fp16_overflow 0
		.amdhsa_tg_split 0
		.amdhsa_exception_fp_ieee_invalid_op 0
		.amdhsa_exception_fp_denorm_src 0
		.amdhsa_exception_fp_ieee_div_zero 0
		.amdhsa_exception_fp_ieee_overflow 0
		.amdhsa_exception_fp_ieee_underflow 0
		.amdhsa_exception_fp_ieee_inexact 0
		.amdhsa_exception_int_div_zero 0
	.end_amdhsa_kernel
	.section	.text._ZN9rocsparseL19gebsrmvn_2xn_kernelILj128ELj11ELj4E21rocsparse_complex_numIfEEEvi20rocsparse_direction_NS_24const_host_device_scalarIT2_EEPKiS8_PKS5_SA_S6_PS5_21rocsparse_index_base_b,"axG",@progbits,_ZN9rocsparseL19gebsrmvn_2xn_kernelILj128ELj11ELj4E21rocsparse_complex_numIfEEEvi20rocsparse_direction_NS_24const_host_device_scalarIT2_EEPKiS8_PKS5_SA_S6_PS5_21rocsparse_index_base_b,comdat
.Lfunc_end197:
	.size	_ZN9rocsparseL19gebsrmvn_2xn_kernelILj128ELj11ELj4E21rocsparse_complex_numIfEEEvi20rocsparse_direction_NS_24const_host_device_scalarIT2_EEPKiS8_PKS5_SA_S6_PS5_21rocsparse_index_base_b, .Lfunc_end197-_ZN9rocsparseL19gebsrmvn_2xn_kernelILj128ELj11ELj4E21rocsparse_complex_numIfEEEvi20rocsparse_direction_NS_24const_host_device_scalarIT2_EEPKiS8_PKS5_SA_S6_PS5_21rocsparse_index_base_b
                                        ; -- End function
	.section	.AMDGPU.csdata,"",@progbits
; Kernel info:
; codeLenInByte = 3148
; NumSgprs: 22
; NumVgprs: 74
; NumAgprs: 0
; TotalNumVgprs: 74
; ScratchSize: 0
; MemoryBound: 0
; FloatMode: 240
; IeeeMode: 1
; LDSByteSize: 0 bytes/workgroup (compile time only)
; SGPRBlocks: 2
; VGPRBlocks: 9
; NumSGPRsForWavesPerEU: 22
; NumVGPRsForWavesPerEU: 74
; AccumOffset: 76
; Occupancy: 6
; WaveLimiterHint : 1
; COMPUTE_PGM_RSRC2:SCRATCH_EN: 0
; COMPUTE_PGM_RSRC2:USER_SGPR: 2
; COMPUTE_PGM_RSRC2:TRAP_HANDLER: 0
; COMPUTE_PGM_RSRC2:TGID_X_EN: 1
; COMPUTE_PGM_RSRC2:TGID_Y_EN: 0
; COMPUTE_PGM_RSRC2:TGID_Z_EN: 0
; COMPUTE_PGM_RSRC2:TIDIG_COMP_CNT: 0
; COMPUTE_PGM_RSRC3_GFX90A:ACCUM_OFFSET: 18
; COMPUTE_PGM_RSRC3_GFX90A:TG_SPLIT: 0
	.section	.text._ZN9rocsparseL19gebsrmvn_2xn_kernelILj128ELj11ELj8E21rocsparse_complex_numIfEEEvi20rocsparse_direction_NS_24const_host_device_scalarIT2_EEPKiS8_PKS5_SA_S6_PS5_21rocsparse_index_base_b,"axG",@progbits,_ZN9rocsparseL19gebsrmvn_2xn_kernelILj128ELj11ELj8E21rocsparse_complex_numIfEEEvi20rocsparse_direction_NS_24const_host_device_scalarIT2_EEPKiS8_PKS5_SA_S6_PS5_21rocsparse_index_base_b,comdat
	.globl	_ZN9rocsparseL19gebsrmvn_2xn_kernelILj128ELj11ELj8E21rocsparse_complex_numIfEEEvi20rocsparse_direction_NS_24const_host_device_scalarIT2_EEPKiS8_PKS5_SA_S6_PS5_21rocsparse_index_base_b ; -- Begin function _ZN9rocsparseL19gebsrmvn_2xn_kernelILj128ELj11ELj8E21rocsparse_complex_numIfEEEvi20rocsparse_direction_NS_24const_host_device_scalarIT2_EEPKiS8_PKS5_SA_S6_PS5_21rocsparse_index_base_b
	.p2align	8
	.type	_ZN9rocsparseL19gebsrmvn_2xn_kernelILj128ELj11ELj8E21rocsparse_complex_numIfEEEvi20rocsparse_direction_NS_24const_host_device_scalarIT2_EEPKiS8_PKS5_SA_S6_PS5_21rocsparse_index_base_b,@function
_ZN9rocsparseL19gebsrmvn_2xn_kernelILj128ELj11ELj8E21rocsparse_complex_numIfEEEvi20rocsparse_direction_NS_24const_host_device_scalarIT2_EEPKiS8_PKS5_SA_S6_PS5_21rocsparse_index_base_b: ; @_ZN9rocsparseL19gebsrmvn_2xn_kernelILj128ELj11ELj8E21rocsparse_complex_numIfEEEvi20rocsparse_direction_NS_24const_host_device_scalarIT2_EEPKiS8_PKS5_SA_S6_PS5_21rocsparse_index_base_b
; %bb.0:
	s_load_dwordx2 s[12:13], s[0:1], 0x40
	s_load_dwordx2 s[8:9], s[0:1], 0x8
	;; [unrolled: 1-line block ×3, first 2 shown]
	s_waitcnt lgkmcnt(0)
	s_bitcmp1_b32 s13, 0
	s_cselect_b64 s[4:5], -1, 0
	s_xor_b64 s[10:11], s[4:5], -1
	s_and_b64 vcc, exec, s[4:5]
	v_mov_b32_e32 v2, s8
	s_cbranch_vccnz .LBB198_2
; %bb.1:
	v_mov_b64_e32 v[2:3], s[8:9]
	flat_load_dword v2, v[2:3]
.LBB198_2:
	v_cndmask_b32_e64 v1, 0, 1, s[10:11]
	v_cmp_ne_u32_e64 s[4:5], 1, v1
	s_andn2_b64 vcc, exec, s[10:11]
	v_mov_b32_e32 v3, s9
	s_cbranch_vccz .LBB198_16
; %bb.3:
	s_and_b64 vcc, exec, s[4:5]
	v_mov_b32_e32 v4, s6
	s_cbranch_vccz .LBB198_17
.LBB198_4:
	s_and_b64 vcc, exec, s[4:5]
	v_mov_b32_e32 v5, s7
	s_cbranch_vccnz .LBB198_6
.LBB198_5:
	v_mov_b64_e32 v[6:7], s[6:7]
	flat_load_dword v5, v[6:7] offset:4
.LBB198_6:
	s_waitcnt vmcnt(0) lgkmcnt(0)
	v_and_b32_e32 v1, 0x7fffffff, v2
	v_cmp_eq_u32_e32 vcc, 0, v1
	v_cmp_eq_f32_e64 s[4:5], 0, v3
	s_and_b64 s[8:9], vcc, s[4:5]
	s_mov_b64 s[4:5], -1
	s_and_saveexec_b64 s[6:7], s[8:9]
; %bb.7:
	v_and_b32_e32 v1, 0x7fffffff, v5
	v_cmp_neq_f32_e32 vcc, 1.0, v4
	v_cmp_ne_u32_e64 s[4:5], 0, v1
	s_or_b64 s[4:5], vcc, s[4:5]
	s_orn2_b64 s[4:5], s[4:5], exec
; %bb.8:
	s_or_b64 exec, exec, s[6:7]
	s_and_saveexec_b64 s[6:7], s[4:5]
	s_cbranch_execz .LBB198_29
; %bb.9:
	s_load_dwordx2 s[14:15], s[0:1], 0x0
	v_lshrrev_b32_e32 v1, 3, v0
	v_lshl_or_b32 v6, s2, 4, v1
	s_waitcnt lgkmcnt(0)
	v_cmp_gt_i32_e32 vcc, s14, v6
	s_and_b64 exec, exec, vcc
	s_cbranch_execz .LBB198_29
; %bb.10:
	s_load_dwordx8 s[4:11], s[0:1], 0x10
	v_ashrrev_i32_e32 v7, 31, v6
	s_cmp_lg_u32 s15, 0
	s_waitcnt lgkmcnt(0)
	v_lshl_add_u64 v[8:9], v[6:7], 2, s[4:5]
	global_load_dwordx2 v[8:9], v[8:9], off
	v_and_b32_e32 v7, 7, v0
	s_waitcnt vmcnt(0)
	v_subrev_u32_e32 v0, s12, v8
	v_subrev_u32_e32 v22, s12, v9
	v_add_u32_e32 v0, v0, v7
	v_cmp_lt_i32_e64 s[2:3], v0, v22
	s_cbranch_scc0 .LBB198_18
; %bb.11:
	v_mov_b32_e32 v11, 0
	v_mov_b32_e32 v10, v11
	;; [unrolled: 1-line block ×4, first 2 shown]
	s_and_saveexec_b64 s[4:5], s[2:3]
	s_cbranch_execz .LBB198_15
; %bb.12:
	v_mov_b32_e32 v13, 0
	v_mul_lo_u32 v12, v0, 22
	s_mov_b64 s[14:15], 0
	v_mov_b32_e32 v14, v0
	v_mov_b32_e32 v8, v13
	;; [unrolled: 1-line block ×5, first 2 shown]
.LBB198_13:                             ; =>This Inner Loop Header: Depth=1
	v_ashrrev_i32_e32 v15, 31, v14
	v_lshl_add_u64 v[58:59], v[14:15], 2, s[6:7]
	global_load_dword v1, v[58:59], off
	v_mov_b32_e32 v17, v13
	v_lshl_add_u64 v[24:25], v[12:13], 3, s[8:9]
	global_load_dwordx4 v[24:27], v[24:25], off
	v_mov_b32_e32 v31, v13
	v_add_u32_e32 v28, 2, v12
	v_mov_b32_e32 v29, v13
	v_add_u32_e32 v32, 4, v12
	v_mov_b32_e32 v33, v13
	v_mov_b32_e32 v35, v13
	v_add_u32_e32 v36, 6, v12
	v_mov_b32_e32 v37, v13
	;; [unrolled: 3-line block ×3, first 2 shown]
	v_add_u32_e32 v40, 10, v12
	v_mov_b32_e32 v41, v13
	v_add_u32_e32 v42, 12, v12
	v_mov_b32_e32 v43, v13
	;; [unrolled: 2-line block ×4, first 2 shown]
	v_mov_b32_e32 v19, v13
	v_add_u32_e32 v56, 18, v12
	v_mov_b32_e32 v57, v13
	v_mov_b32_e32 v49, v13
	v_mov_b32_e32 v51, v13
	v_mov_b32_e32 v53, v13
	v_mov_b32_e32 v55, v13
	v_mov_b32_e32 v63, v13
	v_lshl_add_u64 v[56:57], v[56:57], 3, s[8:9]
	v_add_u32_e32 v14, 8, v14
	v_cmp_ge_i32_e32 vcc, v14, v22
	s_or_b64 s[14:15], vcc, s[14:15]
	s_waitcnt vmcnt(1)
	v_subrev_u32_e32 v1, s12, v1
	v_mul_lo_u32 v16, v1, 11
	v_lshl_add_u64 v[60:61], v[16:17], 3, s[10:11]
	global_load_dwordx2 v[60:61], v[60:61], off
	v_add_u32_e32 v30, 1, v16
	v_lshl_add_u64 v[30:31], v[30:31], 3, s[10:11]
	global_load_dwordx2 v[30:31], v[30:31], off
	s_waitcnt vmcnt(2)
	v_xor_b32_e32 v58, 0x80000000, v27
	v_mov_b32_e32 v59, v26
	v_add_u32_e32 v34, 2, v16
	v_add_u32_e32 v20, 3, v16
	v_lshl_add_u64 v[20:21], v[20:21], 3, s[10:11]
	v_add_u32_e32 v18, 4, v16
	v_add_u32_e32 v48, 5, v16
	;; [unrolled: 1-line block ×7, first 2 shown]
	v_lshl_add_u64 v[18:19], v[18:19], 3, s[10:11]
	v_lshl_add_u64 v[48:49], v[48:49], 3, s[10:11]
	;; [unrolled: 1-line block ×6, first 2 shown]
	s_waitcnt vmcnt(1)
	v_pk_fma_f32 v[10:11], v[24:25], v[60:61], v[10:11] op_sel_hi:[1,0,1]
	v_pk_fma_f32 v[8:9], v[26:27], v[60:61], v[8:9] op_sel_hi:[1,0,1]
	v_pk_fma_f32 v[24:25], v[24:25], v[60:61], v[10:11] op_sel:[1,1,0] op_sel_hi:[0,1,1] neg_lo:[1,0,0]
	v_lshl_add_u64 v[10:11], v[28:29], 3, s[8:9]
	v_pk_fma_f32 v[28:29], v[58:59], v[60:61], v[8:9] op_sel:[0,1,0]
	global_load_dwordx4 v[8:11], v[10:11], off
	v_add_u32_e32 v26, 20, v12
	v_mov_b32_e32 v27, v13
	v_lshl_add_u64 v[64:65], v[26:27], 3, s[8:9]
	v_add_u32_e32 v12, 0xb0, v12
	s_waitcnt vmcnt(0)
	v_xor_b32_e32 v58, 0x80000000, v11
	v_mov_b32_e32 v59, v10
	v_pk_fma_f32 v[24:25], v[8:9], v[30:31], v[24:25] op_sel_hi:[1,0,1]
	v_pk_fma_f32 v[28:29], v[10:11], v[30:31], v[28:29] op_sel_hi:[1,0,1]
	v_pk_fma_f32 v[60:61], v[8:9], v[30:31], v[24:25] op_sel:[1,1,0] op_sel_hi:[0,1,1] neg_lo:[1,0,0]
	v_lshl_add_u64 v[8:9], v[32:33], 3, s[8:9]
	v_pk_fma_f32 v[28:29], v[58:59], v[30:31], v[28:29] op_sel:[0,1,0]
	v_lshl_add_u64 v[30:31], v[34:35], 3, s[10:11]
	global_load_dwordx4 v[8:11], v[8:9], off
	v_lshl_add_u64 v[24:25], v[36:37], 3, s[8:9]
	global_load_dwordx4 v[24:27], v[24:25], off
	v_lshl_add_u64 v[32:33], v[38:39], 3, s[8:9]
	global_load_dwordx2 v[34:35], v[30:31], off
	v_lshl_add_u64 v[36:37], v[40:41], 3, s[8:9]
	v_lshl_add_u64 v[38:39], v[42:43], 3, s[8:9]
	;; [unrolled: 1-line block ×4, first 2 shown]
	s_waitcnt vmcnt(2)
	v_xor_b32_e32 v44, 0x80000000, v11
	v_mov_b32_e32 v45, v10
	s_waitcnt vmcnt(0)
	v_pk_fma_f32 v[30:31], v[8:9], v[34:35], v[60:61] op_sel_hi:[1,0,1]
	v_pk_fma_f32 v[46:47], v[10:11], v[34:35], v[28:29] op_sel_hi:[1,0,1]
	v_pk_fma_f32 v[58:59], v[8:9], v[34:35], v[30:31] op_sel:[1,1,0] op_sel_hi:[0,1,1] neg_lo:[1,0,0]
	global_load_dwordx4 v[8:11], v[32:33], off
	global_load_dwordx4 v[28:31], v[36:37], off
	v_pk_fma_f32 v[36:37], v[44:45], v[34:35], v[46:47] op_sel:[0,1,0]
	global_load_dwordx2 v[20:21], v[20:21], off
	v_xor_b32_e32 v44, 0x80000000, v27
	global_load_dwordx4 v[32:35], v[38:39], off
	v_mov_b32_e32 v45, v26
	s_waitcnt vmcnt(1)
	v_pk_fma_f32 v[38:39], v[24:25], v[20:21], v[58:59] op_sel_hi:[1,0,1]
	v_pk_fma_f32 v[46:47], v[26:27], v[20:21], v[36:37] op_sel_hi:[1,0,1]
	v_pk_fma_f32 v[58:59], v[24:25], v[20:21], v[38:39] op_sel:[1,1,0] op_sel_hi:[0,1,1] neg_lo:[1,0,0]
	global_load_dwordx4 v[24:27], v[40:41], off
	global_load_dwordx4 v[36:39], v[42:43], off
	v_pk_fma_f32 v[20:21], v[44:45], v[20:21], v[46:47] op_sel:[0,1,0]
	global_load_dwordx4 v[40:43], v[56:57], off
	global_load_dwordx4 v[44:47], v[64:65], off
	v_lshl_add_u64 v[56:57], v[62:63], 3, s[10:11]
	global_load_dwordx2 v[60:61], v[18:19], off
	global_load_dwordx2 v[62:63], v[48:49], off
	;; [unrolled: 1-line block ×7, first 2 shown]
	v_xor_b32_e32 v16, 0x80000000, v11
	v_mov_b32_e32 v17, v10
	s_waitcnt vmcnt(6)
	v_pk_fma_f32 v[18:19], v[8:9], v[60:61], v[58:59] op_sel_hi:[1,0,1]
	v_pk_fma_f32 v[10:11], v[10:11], v[60:61], v[20:21] op_sel_hi:[1,0,1]
	v_pk_fma_f32 v[8:9], v[8:9], v[60:61], v[18:19] op_sel:[1,1,0] op_sel_hi:[0,1,1] neg_lo:[1,0,0]
	v_pk_fma_f32 v[10:11], v[16:17], v[60:61], v[10:11] op_sel:[0,1,0]
	v_xor_b32_e32 v18, 0x80000000, v31
	v_mov_b32_e32 v19, v30
	s_waitcnt vmcnt(5)
	v_pk_fma_f32 v[8:9], v[28:29], v[62:63], v[8:9] op_sel_hi:[1,0,1]
	v_pk_fma_f32 v[10:11], v[30:31], v[62:63], v[10:11] op_sel_hi:[1,0,1]
	v_pk_fma_f32 v[8:9], v[28:29], v[62:63], v[8:9] op_sel:[1,1,0] op_sel_hi:[0,1,1] neg_lo:[1,0,0]
	v_pk_fma_f32 v[10:11], v[18:19], v[62:63], v[10:11] op_sel:[0,1,0]
	;; [unrolled: 7-line block ×7, first 2 shown]
	s_andn2_b64 exec, exec, s[14:15]
	s_cbranch_execnz .LBB198_13
; %bb.14:
	s_or_b64 exec, exec, s[14:15]
.LBB198_15:
	s_or_b64 exec, exec, s[4:5]
	s_cbranch_execz .LBB198_19
	s_branch .LBB198_24
.LBB198_16:
	v_mov_b64_e32 v[4:5], s[8:9]
	flat_load_dword v3, v[4:5] offset:4
	s_and_b64 vcc, exec, s[4:5]
	v_mov_b32_e32 v4, s6
	s_cbranch_vccnz .LBB198_4
.LBB198_17:
	v_mov_b64_e32 v[4:5], s[6:7]
	flat_load_dword v4, v[4:5]
	s_and_b64 vcc, exec, s[4:5]
	v_mov_b32_e32 v5, s7
	s_cbranch_vccz .LBB198_5
	s_branch .LBB198_6
.LBB198_18:
                                        ; implicit-def: $vgpr11
                                        ; implicit-def: $vgpr9
.LBB198_19:
	v_mov_b32_e32 v11, 0
	v_mov_b32_e32 v10, v11
	;; [unrolled: 1-line block ×4, first 2 shown]
	s_and_saveexec_b64 s[4:5], s[2:3]
	s_cbranch_execz .LBB198_23
; %bb.20:
	v_mad_u64_u32 v[12:13], s[2:3], v0, 22, 21
	v_mov_b32_e32 v15, 0
	s_mov_b64 s[2:3], 0
	v_mov_b32_e32 v8, v15
	v_mov_b32_e32 v9, v15
	;; [unrolled: 1-line block ×4, first 2 shown]
.LBB198_21:                             ; =>This Inner Loop Header: Depth=1
	v_ashrrev_i32_e32 v1, 31, v0
	v_subrev_u32_e32 v14, 21, v12
	v_add_u32_e32 v18, -10, v12
	v_mov_b32_e32 v19, v15
	v_mov_b32_e32 v13, v15
	v_lshl_add_u64 v[24:25], v[0:1], 2, s[6:7]
	v_lshl_add_u64 v[26:27], v[14:15], 3, s[8:9]
	;; [unrolled: 1-line block ×4, first 2 shown]
	global_load_dword v1, v[24:25], off
	global_load_dwordx4 v[18:21], v[26:27], off
	global_load_dwordx2 v[32:33], v[28:29], off
	global_load_dwordx2 v[34:35], v[30:31], off
	v_mov_b32_e32 v17, v15
	v_add_u32_e32 v0, 8, v0
	v_cmp_ge_i32_e32 vcc, v0, v22
	s_or_b64 s[2:3], vcc, s[2:3]
	s_waitcnt vmcnt(3)
	v_subrev_u32_e32 v1, s12, v1
	v_mul_lo_u32 v16, v1, 11
	v_lshl_add_u64 v[26:27], v[16:17], 3, s[10:11]
	global_load_dwordx2 v[26:27], v[26:27], off
	v_add_u32_e32 v14, 1, v16
	v_lshl_add_u64 v[28:29], v[14:15], 3, s[10:11]
	global_load_dwordx2 v[28:29], v[28:29], off
	v_add_u32_e32 v14, -9, v12
	v_lshl_add_u64 v[30:31], v[14:15], 3, s[8:9]
	v_subrev_u32_e32 v14, 19, v12
	global_load_dwordx2 v[30:31], v[30:31], off
	v_lshl_add_u64 v[36:37], v[14:15], 3, s[8:9]
	v_add_u32_e32 v14, 2, v16
	v_lshl_add_u64 v[38:39], v[14:15], 3, s[10:11]
	v_add_u32_e32 v14, -8, v12
	global_load_dwordx2 v[36:37], v[36:37], off
	v_lshl_add_u64 v[40:41], v[14:15], 3, s[8:9]
	global_load_dwordx2 v[38:39], v[38:39], off
	v_subrev_u32_e32 v14, 18, v12
	global_load_dwordx2 v[40:41], v[40:41], off
	v_lshl_add_u64 v[42:43], v[14:15], 3, s[8:9]
	v_add_u32_e32 v14, 3, v16
	v_lshl_add_u64 v[44:45], v[14:15], 3, s[10:11]
	v_add_u32_e32 v14, -7, v12
	v_lshl_add_u64 v[46:47], v[14:15], 3, s[8:9]
	v_subrev_u32_e32 v14, 17, v12
	v_lshl_add_u64 v[48:49], v[14:15], 3, s[8:9]
	v_add_u32_e32 v14, 4, v16
	v_lshl_add_u64 v[50:51], v[14:15], 3, s[10:11]
	v_add_u32_e32 v14, -6, v12
	v_lshl_add_u64 v[52:53], v[14:15], 3, s[8:9]
	v_add_u32_e32 v14, -16, v12
	v_lshl_add_u64 v[54:55], v[14:15], 3, s[8:9]
	v_add_u32_e32 v14, 5, v16
	v_lshl_add_u64 v[56:57], v[14:15], 3, s[10:11]
	v_add_u32_e32 v14, -5, v12
	v_lshl_add_u64 v[58:59], v[14:15], 3, s[8:9]
	v_add_u32_e32 v14, -15, v12
	global_load_dwordx2 v[42:43], v[42:43], off
	v_lshl_add_u64 v[60:61], v[14:15], 3, s[8:9]
	global_load_dwordx2 v[44:45], v[44:45], off
	v_add_u32_e32 v14, 6, v16
	global_load_dwordx2 v[46:47], v[46:47], off
	v_lshl_add_u64 v[62:63], v[14:15], 3, s[10:11]
	global_load_dwordx2 v[48:49], v[48:49], off
	v_add_u32_e32 v14, -4, v12
	global_load_dwordx2 v[50:51], v[50:51], off
	v_lshl_add_u64 v[64:65], v[14:15], 3, s[8:9]
	global_load_dwordx2 v[52:53], v[52:53], off
	v_add_u32_e32 v14, -14, v12
	global_load_dwordx2 v[54:55], v[54:55], off
	s_waitcnt vmcnt(15)
	v_xor_b32_e32 v24, 0x80000000, v21
	global_load_dwordx2 v[56:57], v[56:57], off
	v_mov_b32_e32 v25, v20
	global_load_dwordx2 v[58:59], v[58:59], off
	s_waitcnt vmcnt(14)
	v_pk_fma_f32 v[8:9], v[32:33], v[26:27], v[8:9] op_sel_hi:[1,0,1]
	global_load_dwordx2 v[60:61], v[60:61], off
	v_pk_fma_f32 v[8:9], v[32:33], v[26:27], v[8:9] op_sel:[1,1,0] op_sel_hi:[0,1,1] neg_lo:[1,0,0]
	v_lshl_add_u64 v[32:33], v[14:15], 3, s[8:9]
	v_add_u32_e32 v14, 7, v16
	v_pk_fma_f32 v[10:11], v[18:19], v[26:27], v[10:11] op_sel_hi:[1,0,1]
	global_load_dwordx2 v[62:63], v[62:63], off
	v_pk_fma_f32 v[10:11], v[18:19], v[26:27], v[10:11] op_sel:[1,1,0] op_sel_hi:[0,1,1] neg_lo:[1,0,0]
	v_lshl_add_u64 v[18:19], v[14:15], 3, s[10:11]
	v_add_u32_e32 v14, -3, v12
	s_waitcnt vmcnt(15)
	v_pk_fma_f32 v[10:11], v[20:21], v[28:29], v[10:11] op_sel_hi:[1,0,1]
	v_lshl_add_u64 v[20:21], v[14:15], 3, s[8:9]
	v_add_u32_e32 v14, -13, v12
	global_load_dwordx2 v[64:65], v[64:65], off
	v_pk_fma_f32 v[10:11], v[24:25], v[28:29], v[10:11] op_sel:[0,1,0]
	global_load_dwordx2 v[26:27], v[32:33], off
	v_lshl_add_u64 v[32:33], v[14:15], 3, s[8:9]
	v_add_u32_e32 v14, 8, v16
	v_lshl_add_u64 v[24:25], v[14:15], 3, s[10:11]
	v_add_u32_e32 v14, -2, v12
	s_waitcnt vmcnt(16)
	v_pk_fma_f32 v[8:9], v[30:31], v[28:29], v[8:9] op_sel_hi:[1,0,1]
	global_load_dwordx2 v[18:19], v[18:19], off
	v_pk_fma_f32 v[8:9], v[30:31], v[28:29], v[8:9] op_sel:[1,1,0] op_sel_hi:[0,1,1] neg_lo:[1,0,0]
	global_load_dwordx2 v[20:21], v[20:21], off
	v_lshl_add_u64 v[28:29], v[14:15], 3, s[8:9]
	v_add_u32_e32 v14, -12, v12
	v_lshl_add_u64 v[30:31], v[14:15], 3, s[8:9]
	v_add_u32_e32 v14, 9, v16
	s_waitcnt vmcnt(16)
	v_pk_fma_f32 v[10:11], v[36:37], v[38:39], v[10:11] op_sel_hi:[1,0,1]
	global_load_dwordx2 v[32:33], v[32:33], off
	v_pk_fma_f32 v[10:11], v[36:37], v[38:39], v[10:11] op_sel:[1,1,0] op_sel_hi:[0,1,1] neg_lo:[1,0,0]
	global_load_dwordx2 v[30:31], v[30:31], off
	v_lshl_add_u64 v[36:37], v[14:15], 3, s[10:11]
	global_load_dwordx2 v[24:25], v[24:25], off
	v_add_u32_e32 v14, -1, v12
	global_load_dwordx2 v[28:29], v[28:29], off
	s_waitcnt vmcnt(19)
	v_pk_fma_f32 v[8:9], v[40:41], v[38:39], v[8:9] op_sel_hi:[1,0,1]
	global_load_dwordx2 v[36:37], v[36:37], off
	v_pk_fma_f32 v[8:9], v[40:41], v[38:39], v[8:9] op_sel:[1,1,0] op_sel_hi:[0,1,1] neg_lo:[1,0,0]
	v_lshl_add_u64 v[38:39], v[14:15], 3, s[8:9]
	v_add_u32_e32 v14, -11, v12
	v_lshl_add_u64 v[40:41], v[14:15], 3, s[8:9]
	v_add_u32_e32 v14, 10, v16
	global_load_dwordx2 v[16:17], v[38:39], off
	v_lshl_add_u64 v[38:39], v[14:15], 3, s[10:11]
	global_load_dwordx2 v[66:67], v[40:41], off
	global_load_dwordx2 v[68:69], v[38:39], off
	s_waitcnt vmcnt(21)
	v_pk_fma_f32 v[10:11], v[42:43], v[44:45], v[10:11] op_sel_hi:[1,0,1]
	s_waitcnt vmcnt(20)
	v_pk_fma_f32 v[8:9], v[46:47], v[44:45], v[8:9] op_sel_hi:[1,0,1]
	v_pk_fma_f32 v[10:11], v[42:43], v[44:45], v[10:11] op_sel:[1,1,0] op_sel_hi:[0,1,1] neg_lo:[1,0,0]
	v_pk_fma_f32 v[8:9], v[46:47], v[44:45], v[8:9] op_sel:[1,1,0] op_sel_hi:[0,1,1] neg_lo:[1,0,0]
	s_waitcnt vmcnt(18)
	v_pk_fma_f32 v[10:11], v[48:49], v[50:51], v[10:11] op_sel_hi:[1,0,1]
	s_waitcnt vmcnt(17)
	v_pk_fma_f32 v[8:9], v[52:53], v[50:51], v[8:9] op_sel_hi:[1,0,1]
	v_pk_fma_f32 v[10:11], v[48:49], v[50:51], v[10:11] op_sel:[1,1,0] op_sel_hi:[0,1,1] neg_lo:[1,0,0]
	v_pk_fma_f32 v[8:9], v[52:53], v[50:51], v[8:9] op_sel:[1,1,0] op_sel_hi:[0,1,1] neg_lo:[1,0,0]
	;; [unrolled: 6-line block ×3, first 2 shown]
	v_add_u32_e32 v12, 0xb0, v12
	s_waitcnt vmcnt(12)
	v_pk_fma_f32 v[10:11], v[60:61], v[62:63], v[10:11] op_sel_hi:[1,0,1]
	s_nop 0
	v_pk_fma_f32 v[10:11], v[60:61], v[62:63], v[10:11] op_sel:[1,1,0] op_sel_hi:[0,1,1] neg_lo:[1,0,0]
	s_waitcnt vmcnt(11)
	v_pk_fma_f32 v[8:9], v[64:65], v[62:63], v[8:9] op_sel_hi:[1,0,1]
	s_nop 0
	v_pk_fma_f32 v[8:9], v[64:65], v[62:63], v[8:9] op_sel:[1,1,0] op_sel_hi:[0,1,1] neg_lo:[1,0,0]
	;; [unrolled: 4-line block ×3, first 2 shown]
	s_waitcnt vmcnt(8)
	v_pk_fma_f32 v[8:9], v[20:21], v[18:19], v[8:9] op_sel_hi:[1,0,1]
	s_waitcnt vmcnt(5)
	v_pk_fma_f32 v[10:11], v[32:33], v[24:25], v[10:11] op_sel_hi:[1,0,1]
	v_pk_fma_f32 v[8:9], v[20:21], v[18:19], v[8:9] op_sel:[1,1,0] op_sel_hi:[0,1,1] neg_lo:[1,0,0]
	s_waitcnt vmcnt(4)
	v_pk_fma_f32 v[8:9], v[28:29], v[24:25], v[8:9] op_sel_hi:[1,0,1]
	v_pk_fma_f32 v[10:11], v[32:33], v[24:25], v[10:11] op_sel:[1,1,0] op_sel_hi:[0,1,1] neg_lo:[1,0,0]
	v_pk_fma_f32 v[8:9], v[28:29], v[24:25], v[8:9] op_sel:[1,1,0] op_sel_hi:[0,1,1] neg_lo:[1,0,0]
	s_waitcnt vmcnt(3)
	v_pk_fma_f32 v[10:11], v[30:31], v[36:37], v[10:11] op_sel_hi:[1,0,1]
	s_waitcnt vmcnt(2)
	v_pk_fma_f32 v[8:9], v[16:17], v[36:37], v[8:9] op_sel_hi:[1,0,1]
	v_pk_fma_f32 v[10:11], v[30:31], v[36:37], v[10:11] op_sel:[1,1,0] op_sel_hi:[0,1,1] neg_lo:[1,0,0]
	v_pk_fma_f32 v[8:9], v[16:17], v[36:37], v[8:9] op_sel:[1,1,0] op_sel_hi:[0,1,1] neg_lo:[1,0,0]
	s_waitcnt vmcnt(0)
	v_pk_fma_f32 v[10:11], v[66:67], v[68:69], v[10:11] op_sel_hi:[1,0,1]
	v_pk_fma_f32 v[8:9], v[34:35], v[68:69], v[8:9] op_sel_hi:[1,0,1]
	v_pk_fma_f32 v[10:11], v[66:67], v[68:69], v[10:11] op_sel:[1,1,0] op_sel_hi:[0,1,1] neg_lo:[1,0,0]
	v_pk_fma_f32 v[8:9], v[34:35], v[68:69], v[8:9] op_sel:[1,1,0] op_sel_hi:[0,1,1] neg_lo:[1,0,0]
	s_andn2_b64 exec, exec, s[2:3]
	s_cbranch_execnz .LBB198_21
; %bb.22:
	s_or_b64 exec, exec, s[2:3]
.LBB198_23:
	s_or_b64 exec, exec, s[4:5]
.LBB198_24:
	v_mov_b32_dpp v12, v8 row_shr:1 row_mask:0xf bank_mask:0xf
	v_add_f32_e32 v8, v8, v12
	v_mov_b32_dpp v0, v10 row_shr:1 row_mask:0xf bank_mask:0xf
	v_add_f32_e32 v0, v10, v0
	v_mov_b32_dpp v12, v8 row_shr:2 row_mask:0xf bank_mask:0xf
	v_mov_b32_dpp v10, v11 row_shr:1 row_mask:0xf bank_mask:0xf
	v_add_f32_e32 v13, v8, v12
	v_mov_b32_dpp v8, v9 row_shr:1 row_mask:0xf bank_mask:0xf
	v_add_f32_e32 v10, v11, v10
	v_add_f32_e32 v8, v9, v8
	v_mov_b32_dpp v1, v0 row_shr:2 row_mask:0xf bank_mask:0xf
	v_mov_b32_dpp v11, v10 row_shr:2 row_mask:0xf bank_mask:0xf
	;; [unrolled: 1-line block ×3, first 2 shown]
	v_add_f32_e32 v0, v0, v1
	v_add_f32_e32 v10, v10, v11
	;; [unrolled: 1-line block ×3, first 2 shown]
	v_mov_b32_dpp v1, v0 row_shr:4 row_mask:0xf bank_mask:0xe
	v_mov_b32_dpp v11, v10 row_shr:4 row_mask:0xf bank_mask:0xe
	;; [unrolled: 1-line block ×4, first 2 shown]
	v_cmp_eq_u32_e32 vcc, 7, v7
	s_and_b64 exec, exec, vcc
	s_cbranch_execz .LBB198_29
; %bb.25:
	s_load_dwordx2 s[2:3], s[0:1], 0x38
	v_add_f32_e32 v8, v0, v1
	v_and_b32_e32 v1, 0x7fffffff, v4
	v_cmp_eq_u32_e32 vcc, 0, v1
	v_cmp_eq_f32_e64 s[0:1], 0, v5
	v_add_f32_e32 v12, v10, v11
	v_add_f32_e32 v0, v13, v14
	;; [unrolled: 1-line block ×3, first 2 shown]
	s_and_b64 s[0:1], vcc, s[0:1]
	s_and_saveexec_b64 s[4:5], s[0:1]
	s_xor_b64 s[0:1], exec, s[4:5]
	s_cbranch_execz .LBB198_27
; %bb.26:
	v_lshlrev_b32_e32 v4, 1, v6
	v_xor_b32_e32 v14, 0x80000000, v3
	v_ashrrev_i32_e32 v5, 31, v4
	v_mov_b32_e32 v15, v2
	s_waitcnt lgkmcnt(0)
	v_lshl_add_u64 v[16:17], v[4:5], 3, s[2:3]
	v_pk_mul_f32 v[4:5], v[12:13], v[14:15] op_sel_hi:[0,1]
	v_pk_mul_f32 v[6:7], v[10:11], v[14:15] op_sel_hi:[0,1]
	v_pk_fma_f32 v[4:5], v[2:3], v[8:9], v[4:5] op_sel_hi:[1,0,1]
	v_pk_fma_f32 v[6:7], v[2:3], v[0:1], v[6:7] op_sel_hi:[1,0,1]
	global_store_dwordx4 v[16:17], v[4:7], off
                                        ; implicit-def: $vgpr3
                                        ; implicit-def: $vgpr4
                                        ; implicit-def: $vgpr6
                                        ; implicit-def: $vgpr8
                                        ; implicit-def: $vgpr12
                                        ; implicit-def: $vgpr0
                                        ; implicit-def: $vgpr10
.LBB198_27:
	s_andn2_saveexec_b64 s[0:1], s[0:1]
	s_cbranch_execz .LBB198_29
; %bb.28:
	v_lshlrev_b32_e32 v6, 1, v6
	v_ashrrev_i32_e32 v7, 31, v6
	s_waitcnt lgkmcnt(0)
	v_lshl_add_u64 v[6:7], v[6:7], 3, s[2:3]
	global_load_dwordx4 v[14:17], v[6:7], off
	v_xor_b32_e32 v18, 0x80000000, v3
	v_mov_b32_e32 v19, v2
	v_pk_mul_f32 v[12:13], v[12:13], v[18:19] op_sel_hi:[0,1]
	v_pk_mul_f32 v[10:11], v[10:11], v[18:19] op_sel_hi:[0,1]
	v_pk_fma_f32 v[8:9], v[2:3], v[8:9], v[12:13] op_sel_hi:[1,0,1]
	v_pk_fma_f32 v[0:1], v[2:3], v[0:1], v[10:11] op_sel_hi:[1,0,1]
	v_xor_b32_e32 v20, 0x80000000, v5
	v_mov_b32_e32 v21, v4
	s_waitcnt vmcnt(0)
	v_pk_fma_f32 v[2:3], v[4:5], v[14:15], v[8:9] op_sel_hi:[1,0,1]
	v_pk_fma_f32 v[4:5], v[4:5], v[16:17], v[0:1] op_sel_hi:[1,0,1]
	v_mov_b32_e32 v8, v17
	v_pk_fma_f32 v[0:1], v[20:21], v[14:15], v[2:3] op_sel:[0,1,0]
	v_pk_fma_f32 v[2:3], v[20:21], v[8:9], v[4:5] op_sel_hi:[1,0,1]
	global_store_dwordx4 v[6:7], v[0:3], off
.LBB198_29:
	s_endpgm
	.section	.rodata,"a",@progbits
	.p2align	6, 0x0
	.amdhsa_kernel _ZN9rocsparseL19gebsrmvn_2xn_kernelILj128ELj11ELj8E21rocsparse_complex_numIfEEEvi20rocsparse_direction_NS_24const_host_device_scalarIT2_EEPKiS8_PKS5_SA_S6_PS5_21rocsparse_index_base_b
		.amdhsa_group_segment_fixed_size 0
		.amdhsa_private_segment_fixed_size 0
		.amdhsa_kernarg_size 72
		.amdhsa_user_sgpr_count 2
		.amdhsa_user_sgpr_dispatch_ptr 0
		.amdhsa_user_sgpr_queue_ptr 0
		.amdhsa_user_sgpr_kernarg_segment_ptr 1
		.amdhsa_user_sgpr_dispatch_id 0
		.amdhsa_user_sgpr_kernarg_preload_length 0
		.amdhsa_user_sgpr_kernarg_preload_offset 0
		.amdhsa_user_sgpr_private_segment_size 0
		.amdhsa_uses_dynamic_stack 0
		.amdhsa_enable_private_segment 0
		.amdhsa_system_sgpr_workgroup_id_x 1
		.amdhsa_system_sgpr_workgroup_id_y 0
		.amdhsa_system_sgpr_workgroup_id_z 0
		.amdhsa_system_sgpr_workgroup_info 0
		.amdhsa_system_vgpr_workitem_id 0
		.amdhsa_next_free_vgpr 74
		.amdhsa_next_free_sgpr 16
		.amdhsa_accum_offset 76
		.amdhsa_reserve_vcc 1
		.amdhsa_float_round_mode_32 0
		.amdhsa_float_round_mode_16_64 0
		.amdhsa_float_denorm_mode_32 3
		.amdhsa_float_denorm_mode_16_64 3
		.amdhsa_dx10_clamp 1
		.amdhsa_ieee_mode 1
		.amdhsa_fp16_overflow 0
		.amdhsa_tg_split 0
		.amdhsa_exception_fp_ieee_invalid_op 0
		.amdhsa_exception_fp_denorm_src 0
		.amdhsa_exception_fp_ieee_div_zero 0
		.amdhsa_exception_fp_ieee_overflow 0
		.amdhsa_exception_fp_ieee_underflow 0
		.amdhsa_exception_fp_ieee_inexact 0
		.amdhsa_exception_int_div_zero 0
	.end_amdhsa_kernel
	.section	.text._ZN9rocsparseL19gebsrmvn_2xn_kernelILj128ELj11ELj8E21rocsparse_complex_numIfEEEvi20rocsparse_direction_NS_24const_host_device_scalarIT2_EEPKiS8_PKS5_SA_S6_PS5_21rocsparse_index_base_b,"axG",@progbits,_ZN9rocsparseL19gebsrmvn_2xn_kernelILj128ELj11ELj8E21rocsparse_complex_numIfEEEvi20rocsparse_direction_NS_24const_host_device_scalarIT2_EEPKiS8_PKS5_SA_S6_PS5_21rocsparse_index_base_b,comdat
.Lfunc_end198:
	.size	_ZN9rocsparseL19gebsrmvn_2xn_kernelILj128ELj11ELj8E21rocsparse_complex_numIfEEEvi20rocsparse_direction_NS_24const_host_device_scalarIT2_EEPKiS8_PKS5_SA_S6_PS5_21rocsparse_index_base_b, .Lfunc_end198-_ZN9rocsparseL19gebsrmvn_2xn_kernelILj128ELj11ELj8E21rocsparse_complex_numIfEEEvi20rocsparse_direction_NS_24const_host_device_scalarIT2_EEPKiS8_PKS5_SA_S6_PS5_21rocsparse_index_base_b
                                        ; -- End function
	.section	.AMDGPU.csdata,"",@progbits
; Kernel info:
; codeLenInByte = 3196
; NumSgprs: 22
; NumVgprs: 74
; NumAgprs: 0
; TotalNumVgprs: 74
; ScratchSize: 0
; MemoryBound: 0
; FloatMode: 240
; IeeeMode: 1
; LDSByteSize: 0 bytes/workgroup (compile time only)
; SGPRBlocks: 2
; VGPRBlocks: 9
; NumSGPRsForWavesPerEU: 22
; NumVGPRsForWavesPerEU: 74
; AccumOffset: 76
; Occupancy: 6
; WaveLimiterHint : 1
; COMPUTE_PGM_RSRC2:SCRATCH_EN: 0
; COMPUTE_PGM_RSRC2:USER_SGPR: 2
; COMPUTE_PGM_RSRC2:TRAP_HANDLER: 0
; COMPUTE_PGM_RSRC2:TGID_X_EN: 1
; COMPUTE_PGM_RSRC2:TGID_Y_EN: 0
; COMPUTE_PGM_RSRC2:TGID_Z_EN: 0
; COMPUTE_PGM_RSRC2:TIDIG_COMP_CNT: 0
; COMPUTE_PGM_RSRC3_GFX90A:ACCUM_OFFSET: 18
; COMPUTE_PGM_RSRC3_GFX90A:TG_SPLIT: 0
	.section	.text._ZN9rocsparseL19gebsrmvn_2xn_kernelILj128ELj11ELj16E21rocsparse_complex_numIfEEEvi20rocsparse_direction_NS_24const_host_device_scalarIT2_EEPKiS8_PKS5_SA_S6_PS5_21rocsparse_index_base_b,"axG",@progbits,_ZN9rocsparseL19gebsrmvn_2xn_kernelILj128ELj11ELj16E21rocsparse_complex_numIfEEEvi20rocsparse_direction_NS_24const_host_device_scalarIT2_EEPKiS8_PKS5_SA_S6_PS5_21rocsparse_index_base_b,comdat
	.globl	_ZN9rocsparseL19gebsrmvn_2xn_kernelILj128ELj11ELj16E21rocsparse_complex_numIfEEEvi20rocsparse_direction_NS_24const_host_device_scalarIT2_EEPKiS8_PKS5_SA_S6_PS5_21rocsparse_index_base_b ; -- Begin function _ZN9rocsparseL19gebsrmvn_2xn_kernelILj128ELj11ELj16E21rocsparse_complex_numIfEEEvi20rocsparse_direction_NS_24const_host_device_scalarIT2_EEPKiS8_PKS5_SA_S6_PS5_21rocsparse_index_base_b
	.p2align	8
	.type	_ZN9rocsparseL19gebsrmvn_2xn_kernelILj128ELj11ELj16E21rocsparse_complex_numIfEEEvi20rocsparse_direction_NS_24const_host_device_scalarIT2_EEPKiS8_PKS5_SA_S6_PS5_21rocsparse_index_base_b,@function
_ZN9rocsparseL19gebsrmvn_2xn_kernelILj128ELj11ELj16E21rocsparse_complex_numIfEEEvi20rocsparse_direction_NS_24const_host_device_scalarIT2_EEPKiS8_PKS5_SA_S6_PS5_21rocsparse_index_base_b: ; @_ZN9rocsparseL19gebsrmvn_2xn_kernelILj128ELj11ELj16E21rocsparse_complex_numIfEEEvi20rocsparse_direction_NS_24const_host_device_scalarIT2_EEPKiS8_PKS5_SA_S6_PS5_21rocsparse_index_base_b
; %bb.0:
	s_load_dwordx2 s[12:13], s[0:1], 0x40
	s_load_dwordx2 s[8:9], s[0:1], 0x8
	s_load_dwordx2 s[6:7], s[0:1], 0x30
	s_waitcnt lgkmcnt(0)
	s_bitcmp1_b32 s13, 0
	s_cselect_b64 s[4:5], -1, 0
	s_xor_b64 s[10:11], s[4:5], -1
	s_and_b64 vcc, exec, s[4:5]
	v_mov_b32_e32 v2, s8
	s_cbranch_vccnz .LBB199_2
; %bb.1:
	v_mov_b64_e32 v[2:3], s[8:9]
	flat_load_dword v2, v[2:3]
.LBB199_2:
	v_cndmask_b32_e64 v1, 0, 1, s[10:11]
	v_cmp_ne_u32_e64 s[4:5], 1, v1
	s_andn2_b64 vcc, exec, s[10:11]
	v_mov_b32_e32 v3, s9
	s_cbranch_vccz .LBB199_16
; %bb.3:
	s_and_b64 vcc, exec, s[4:5]
	v_mov_b32_e32 v4, s6
	s_cbranch_vccz .LBB199_17
.LBB199_4:
	s_and_b64 vcc, exec, s[4:5]
	v_mov_b32_e32 v5, s7
	s_cbranch_vccnz .LBB199_6
.LBB199_5:
	v_mov_b64_e32 v[6:7], s[6:7]
	flat_load_dword v5, v[6:7] offset:4
.LBB199_6:
	s_waitcnt vmcnt(0) lgkmcnt(0)
	v_and_b32_e32 v1, 0x7fffffff, v2
	v_cmp_eq_u32_e32 vcc, 0, v1
	v_cmp_eq_f32_e64 s[4:5], 0, v3
	s_and_b64 s[8:9], vcc, s[4:5]
	s_mov_b64 s[4:5], -1
	s_and_saveexec_b64 s[6:7], s[8:9]
; %bb.7:
	v_and_b32_e32 v1, 0x7fffffff, v5
	v_cmp_neq_f32_e32 vcc, 1.0, v4
	v_cmp_ne_u32_e64 s[4:5], 0, v1
	s_or_b64 s[4:5], vcc, s[4:5]
	s_orn2_b64 s[4:5], s[4:5], exec
; %bb.8:
	s_or_b64 exec, exec, s[6:7]
	s_and_saveexec_b64 s[6:7], s[4:5]
	s_cbranch_execz .LBB199_29
; %bb.9:
	s_load_dwordx2 s[14:15], s[0:1], 0x0
	v_lshrrev_b32_e32 v1, 4, v0
	v_lshl_or_b32 v6, s2, 3, v1
	s_waitcnt lgkmcnt(0)
	v_cmp_gt_i32_e32 vcc, s14, v6
	s_and_b64 exec, exec, vcc
	s_cbranch_execz .LBB199_29
; %bb.10:
	s_load_dwordx8 s[4:11], s[0:1], 0x10
	v_ashrrev_i32_e32 v7, 31, v6
	s_cmp_lg_u32 s15, 0
	s_waitcnt lgkmcnt(0)
	v_lshl_add_u64 v[8:9], v[6:7], 2, s[4:5]
	global_load_dwordx2 v[8:9], v[8:9], off
	v_and_b32_e32 v7, 15, v0
	s_waitcnt vmcnt(0)
	v_subrev_u32_e32 v0, s12, v8
	v_subrev_u32_e32 v22, s12, v9
	v_add_u32_e32 v0, v0, v7
	v_cmp_lt_i32_e64 s[2:3], v0, v22
	s_cbranch_scc0 .LBB199_18
; %bb.11:
	v_mov_b32_e32 v11, 0
	v_mov_b32_e32 v10, v11
	;; [unrolled: 1-line block ×4, first 2 shown]
	s_and_saveexec_b64 s[4:5], s[2:3]
	s_cbranch_execz .LBB199_15
; %bb.12:
	v_mov_b32_e32 v13, 0
	v_mul_lo_u32 v12, v0, 22
	s_mov_b64 s[14:15], 0
	v_mov_b32_e32 v14, v0
	v_mov_b32_e32 v8, v13
	;; [unrolled: 1-line block ×5, first 2 shown]
.LBB199_13:                             ; =>This Inner Loop Header: Depth=1
	v_ashrrev_i32_e32 v15, 31, v14
	v_lshl_add_u64 v[58:59], v[14:15], 2, s[6:7]
	global_load_dword v1, v[58:59], off
	v_mov_b32_e32 v17, v13
	v_lshl_add_u64 v[24:25], v[12:13], 3, s[8:9]
	global_load_dwordx4 v[24:27], v[24:25], off
	v_mov_b32_e32 v31, v13
	v_add_u32_e32 v28, 2, v12
	v_mov_b32_e32 v29, v13
	v_add_u32_e32 v32, 4, v12
	v_mov_b32_e32 v33, v13
	v_mov_b32_e32 v35, v13
	v_add_u32_e32 v36, 6, v12
	v_mov_b32_e32 v37, v13
	;; [unrolled: 3-line block ×3, first 2 shown]
	v_add_u32_e32 v40, 10, v12
	v_mov_b32_e32 v41, v13
	v_add_u32_e32 v42, 12, v12
	v_mov_b32_e32 v43, v13
	;; [unrolled: 2-line block ×4, first 2 shown]
	v_mov_b32_e32 v19, v13
	v_add_u32_e32 v56, 18, v12
	v_mov_b32_e32 v57, v13
	v_mov_b32_e32 v49, v13
	;; [unrolled: 1-line block ×6, first 2 shown]
	v_lshl_add_u64 v[56:57], v[56:57], 3, s[8:9]
	v_add_u32_e32 v14, 16, v14
	v_cmp_ge_i32_e32 vcc, v14, v22
	s_or_b64 s[14:15], vcc, s[14:15]
	s_waitcnt vmcnt(1)
	v_subrev_u32_e32 v1, s12, v1
	v_mul_lo_u32 v16, v1, 11
	v_lshl_add_u64 v[60:61], v[16:17], 3, s[10:11]
	global_load_dwordx2 v[60:61], v[60:61], off
	v_add_u32_e32 v30, 1, v16
	v_lshl_add_u64 v[30:31], v[30:31], 3, s[10:11]
	global_load_dwordx2 v[30:31], v[30:31], off
	s_waitcnt vmcnt(2)
	v_xor_b32_e32 v58, 0x80000000, v27
	v_mov_b32_e32 v59, v26
	v_add_u32_e32 v34, 2, v16
	v_add_u32_e32 v20, 3, v16
	v_lshl_add_u64 v[20:21], v[20:21], 3, s[10:11]
	v_add_u32_e32 v18, 4, v16
	v_add_u32_e32 v48, 5, v16
	;; [unrolled: 1-line block ×7, first 2 shown]
	v_lshl_add_u64 v[18:19], v[18:19], 3, s[10:11]
	v_lshl_add_u64 v[48:49], v[48:49], 3, s[10:11]
	;; [unrolled: 1-line block ×6, first 2 shown]
	s_waitcnt vmcnt(1)
	v_pk_fma_f32 v[10:11], v[24:25], v[60:61], v[10:11] op_sel_hi:[1,0,1]
	v_pk_fma_f32 v[8:9], v[26:27], v[60:61], v[8:9] op_sel_hi:[1,0,1]
	v_pk_fma_f32 v[24:25], v[24:25], v[60:61], v[10:11] op_sel:[1,1,0] op_sel_hi:[0,1,1] neg_lo:[1,0,0]
	v_lshl_add_u64 v[10:11], v[28:29], 3, s[8:9]
	v_pk_fma_f32 v[28:29], v[58:59], v[60:61], v[8:9] op_sel:[0,1,0]
	global_load_dwordx4 v[8:11], v[10:11], off
	v_add_u32_e32 v26, 20, v12
	v_mov_b32_e32 v27, v13
	v_lshl_add_u64 v[64:65], v[26:27], 3, s[8:9]
	v_add_u32_e32 v12, 0x160, v12
	s_waitcnt vmcnt(0)
	v_xor_b32_e32 v58, 0x80000000, v11
	v_mov_b32_e32 v59, v10
	v_pk_fma_f32 v[24:25], v[8:9], v[30:31], v[24:25] op_sel_hi:[1,0,1]
	v_pk_fma_f32 v[28:29], v[10:11], v[30:31], v[28:29] op_sel_hi:[1,0,1]
	v_pk_fma_f32 v[60:61], v[8:9], v[30:31], v[24:25] op_sel:[1,1,0] op_sel_hi:[0,1,1] neg_lo:[1,0,0]
	v_lshl_add_u64 v[8:9], v[32:33], 3, s[8:9]
	v_pk_fma_f32 v[28:29], v[58:59], v[30:31], v[28:29] op_sel:[0,1,0]
	v_lshl_add_u64 v[30:31], v[34:35], 3, s[10:11]
	global_load_dwordx4 v[8:11], v[8:9], off
	v_lshl_add_u64 v[24:25], v[36:37], 3, s[8:9]
	global_load_dwordx4 v[24:27], v[24:25], off
	v_lshl_add_u64 v[32:33], v[38:39], 3, s[8:9]
	global_load_dwordx2 v[34:35], v[30:31], off
	v_lshl_add_u64 v[36:37], v[40:41], 3, s[8:9]
	v_lshl_add_u64 v[38:39], v[42:43], 3, s[8:9]
	;; [unrolled: 1-line block ×4, first 2 shown]
	s_waitcnt vmcnt(2)
	v_xor_b32_e32 v44, 0x80000000, v11
	v_mov_b32_e32 v45, v10
	s_waitcnt vmcnt(0)
	v_pk_fma_f32 v[30:31], v[8:9], v[34:35], v[60:61] op_sel_hi:[1,0,1]
	v_pk_fma_f32 v[46:47], v[10:11], v[34:35], v[28:29] op_sel_hi:[1,0,1]
	v_pk_fma_f32 v[58:59], v[8:9], v[34:35], v[30:31] op_sel:[1,1,0] op_sel_hi:[0,1,1] neg_lo:[1,0,0]
	global_load_dwordx4 v[8:11], v[32:33], off
	global_load_dwordx4 v[28:31], v[36:37], off
	v_pk_fma_f32 v[36:37], v[44:45], v[34:35], v[46:47] op_sel:[0,1,0]
	global_load_dwordx2 v[20:21], v[20:21], off
	v_xor_b32_e32 v44, 0x80000000, v27
	global_load_dwordx4 v[32:35], v[38:39], off
	v_mov_b32_e32 v45, v26
	s_waitcnt vmcnt(1)
	v_pk_fma_f32 v[38:39], v[24:25], v[20:21], v[58:59] op_sel_hi:[1,0,1]
	v_pk_fma_f32 v[46:47], v[26:27], v[20:21], v[36:37] op_sel_hi:[1,0,1]
	v_pk_fma_f32 v[58:59], v[24:25], v[20:21], v[38:39] op_sel:[1,1,0] op_sel_hi:[0,1,1] neg_lo:[1,0,0]
	global_load_dwordx4 v[24:27], v[40:41], off
	global_load_dwordx4 v[36:39], v[42:43], off
	v_pk_fma_f32 v[20:21], v[44:45], v[20:21], v[46:47] op_sel:[0,1,0]
	global_load_dwordx4 v[40:43], v[56:57], off
	global_load_dwordx4 v[44:47], v[64:65], off
	v_lshl_add_u64 v[56:57], v[62:63], 3, s[10:11]
	global_load_dwordx2 v[60:61], v[18:19], off
	global_load_dwordx2 v[62:63], v[48:49], off
	;; [unrolled: 1-line block ×7, first 2 shown]
	v_xor_b32_e32 v16, 0x80000000, v11
	v_mov_b32_e32 v17, v10
	s_waitcnt vmcnt(6)
	v_pk_fma_f32 v[18:19], v[8:9], v[60:61], v[58:59] op_sel_hi:[1,0,1]
	v_pk_fma_f32 v[10:11], v[10:11], v[60:61], v[20:21] op_sel_hi:[1,0,1]
	v_pk_fma_f32 v[8:9], v[8:9], v[60:61], v[18:19] op_sel:[1,1,0] op_sel_hi:[0,1,1] neg_lo:[1,0,0]
	v_pk_fma_f32 v[10:11], v[16:17], v[60:61], v[10:11] op_sel:[0,1,0]
	v_xor_b32_e32 v18, 0x80000000, v31
	v_mov_b32_e32 v19, v30
	s_waitcnt vmcnt(5)
	v_pk_fma_f32 v[8:9], v[28:29], v[62:63], v[8:9] op_sel_hi:[1,0,1]
	v_pk_fma_f32 v[10:11], v[30:31], v[62:63], v[10:11] op_sel_hi:[1,0,1]
	v_pk_fma_f32 v[8:9], v[28:29], v[62:63], v[8:9] op_sel:[1,1,0] op_sel_hi:[0,1,1] neg_lo:[1,0,0]
	v_pk_fma_f32 v[10:11], v[18:19], v[62:63], v[10:11] op_sel:[0,1,0]
	;; [unrolled: 7-line block ×7, first 2 shown]
	s_andn2_b64 exec, exec, s[14:15]
	s_cbranch_execnz .LBB199_13
; %bb.14:
	s_or_b64 exec, exec, s[14:15]
.LBB199_15:
	s_or_b64 exec, exec, s[4:5]
	s_cbranch_execz .LBB199_19
	s_branch .LBB199_24
.LBB199_16:
	v_mov_b64_e32 v[4:5], s[8:9]
	flat_load_dword v3, v[4:5] offset:4
	s_and_b64 vcc, exec, s[4:5]
	v_mov_b32_e32 v4, s6
	s_cbranch_vccnz .LBB199_4
.LBB199_17:
	v_mov_b64_e32 v[4:5], s[6:7]
	flat_load_dword v4, v[4:5]
	s_and_b64 vcc, exec, s[4:5]
	v_mov_b32_e32 v5, s7
	s_cbranch_vccz .LBB199_5
	s_branch .LBB199_6
.LBB199_18:
                                        ; implicit-def: $vgpr11
                                        ; implicit-def: $vgpr9
.LBB199_19:
	v_mov_b32_e32 v11, 0
	v_mov_b32_e32 v10, v11
	v_mov_b32_e32 v9, v11
	v_mov_b32_e32 v8, v11
	s_and_saveexec_b64 s[4:5], s[2:3]
	s_cbranch_execz .LBB199_23
; %bb.20:
	v_mad_u64_u32 v[12:13], s[2:3], v0, 22, 21
	v_mov_b32_e32 v15, 0
	s_mov_b64 s[2:3], 0
	v_mov_b32_e32 v8, v15
	v_mov_b32_e32 v9, v15
	;; [unrolled: 1-line block ×4, first 2 shown]
.LBB199_21:                             ; =>This Inner Loop Header: Depth=1
	v_ashrrev_i32_e32 v1, 31, v0
	v_subrev_u32_e32 v14, 21, v12
	v_add_u32_e32 v18, -10, v12
	v_mov_b32_e32 v19, v15
	v_mov_b32_e32 v13, v15
	v_lshl_add_u64 v[24:25], v[0:1], 2, s[6:7]
	v_lshl_add_u64 v[26:27], v[14:15], 3, s[8:9]
	;; [unrolled: 1-line block ×4, first 2 shown]
	global_load_dword v1, v[24:25], off
	global_load_dwordx4 v[18:21], v[26:27], off
	global_load_dwordx2 v[32:33], v[28:29], off
	global_load_dwordx2 v[34:35], v[30:31], off
	v_mov_b32_e32 v17, v15
	v_add_u32_e32 v0, 16, v0
	v_cmp_ge_i32_e32 vcc, v0, v22
	s_or_b64 s[2:3], vcc, s[2:3]
	s_waitcnt vmcnt(3)
	v_subrev_u32_e32 v1, s12, v1
	v_mul_lo_u32 v16, v1, 11
	v_lshl_add_u64 v[26:27], v[16:17], 3, s[10:11]
	global_load_dwordx2 v[26:27], v[26:27], off
	v_add_u32_e32 v14, 1, v16
	v_lshl_add_u64 v[28:29], v[14:15], 3, s[10:11]
	global_load_dwordx2 v[28:29], v[28:29], off
	v_add_u32_e32 v14, -9, v12
	v_lshl_add_u64 v[30:31], v[14:15], 3, s[8:9]
	v_subrev_u32_e32 v14, 19, v12
	global_load_dwordx2 v[30:31], v[30:31], off
	v_lshl_add_u64 v[36:37], v[14:15], 3, s[8:9]
	v_add_u32_e32 v14, 2, v16
	v_lshl_add_u64 v[38:39], v[14:15], 3, s[10:11]
	v_add_u32_e32 v14, -8, v12
	global_load_dwordx2 v[36:37], v[36:37], off
	v_lshl_add_u64 v[40:41], v[14:15], 3, s[8:9]
	global_load_dwordx2 v[38:39], v[38:39], off
	v_subrev_u32_e32 v14, 18, v12
	global_load_dwordx2 v[40:41], v[40:41], off
	v_lshl_add_u64 v[42:43], v[14:15], 3, s[8:9]
	v_add_u32_e32 v14, 3, v16
	v_lshl_add_u64 v[44:45], v[14:15], 3, s[10:11]
	v_add_u32_e32 v14, -7, v12
	v_lshl_add_u64 v[46:47], v[14:15], 3, s[8:9]
	v_subrev_u32_e32 v14, 17, v12
	v_lshl_add_u64 v[48:49], v[14:15], 3, s[8:9]
	v_add_u32_e32 v14, 4, v16
	v_lshl_add_u64 v[50:51], v[14:15], 3, s[10:11]
	v_add_u32_e32 v14, -6, v12
	v_lshl_add_u64 v[52:53], v[14:15], 3, s[8:9]
	v_add_u32_e32 v14, -16, v12
	v_lshl_add_u64 v[54:55], v[14:15], 3, s[8:9]
	v_add_u32_e32 v14, 5, v16
	v_lshl_add_u64 v[56:57], v[14:15], 3, s[10:11]
	v_add_u32_e32 v14, -5, v12
	v_lshl_add_u64 v[58:59], v[14:15], 3, s[8:9]
	v_add_u32_e32 v14, -15, v12
	global_load_dwordx2 v[42:43], v[42:43], off
	v_lshl_add_u64 v[60:61], v[14:15], 3, s[8:9]
	global_load_dwordx2 v[44:45], v[44:45], off
	v_add_u32_e32 v14, 6, v16
	global_load_dwordx2 v[46:47], v[46:47], off
	v_lshl_add_u64 v[62:63], v[14:15], 3, s[10:11]
	global_load_dwordx2 v[48:49], v[48:49], off
	v_add_u32_e32 v14, -4, v12
	global_load_dwordx2 v[50:51], v[50:51], off
	v_lshl_add_u64 v[64:65], v[14:15], 3, s[8:9]
	global_load_dwordx2 v[52:53], v[52:53], off
	v_add_u32_e32 v14, -14, v12
	global_load_dwordx2 v[54:55], v[54:55], off
	s_waitcnt vmcnt(15)
	v_xor_b32_e32 v24, 0x80000000, v21
	global_load_dwordx2 v[56:57], v[56:57], off
	v_mov_b32_e32 v25, v20
	global_load_dwordx2 v[58:59], v[58:59], off
	s_waitcnt vmcnt(14)
	v_pk_fma_f32 v[8:9], v[32:33], v[26:27], v[8:9] op_sel_hi:[1,0,1]
	global_load_dwordx2 v[60:61], v[60:61], off
	v_pk_fma_f32 v[8:9], v[32:33], v[26:27], v[8:9] op_sel:[1,1,0] op_sel_hi:[0,1,1] neg_lo:[1,0,0]
	v_lshl_add_u64 v[32:33], v[14:15], 3, s[8:9]
	v_add_u32_e32 v14, 7, v16
	v_pk_fma_f32 v[10:11], v[18:19], v[26:27], v[10:11] op_sel_hi:[1,0,1]
	global_load_dwordx2 v[62:63], v[62:63], off
	v_pk_fma_f32 v[10:11], v[18:19], v[26:27], v[10:11] op_sel:[1,1,0] op_sel_hi:[0,1,1] neg_lo:[1,0,0]
	v_lshl_add_u64 v[18:19], v[14:15], 3, s[10:11]
	v_add_u32_e32 v14, -3, v12
	s_waitcnt vmcnt(15)
	v_pk_fma_f32 v[10:11], v[20:21], v[28:29], v[10:11] op_sel_hi:[1,0,1]
	v_lshl_add_u64 v[20:21], v[14:15], 3, s[8:9]
	v_add_u32_e32 v14, -13, v12
	global_load_dwordx2 v[64:65], v[64:65], off
	v_pk_fma_f32 v[10:11], v[24:25], v[28:29], v[10:11] op_sel:[0,1,0]
	global_load_dwordx2 v[26:27], v[32:33], off
	v_lshl_add_u64 v[32:33], v[14:15], 3, s[8:9]
	v_add_u32_e32 v14, 8, v16
	v_lshl_add_u64 v[24:25], v[14:15], 3, s[10:11]
	v_add_u32_e32 v14, -2, v12
	s_waitcnt vmcnt(16)
	v_pk_fma_f32 v[8:9], v[30:31], v[28:29], v[8:9] op_sel_hi:[1,0,1]
	global_load_dwordx2 v[18:19], v[18:19], off
	v_pk_fma_f32 v[8:9], v[30:31], v[28:29], v[8:9] op_sel:[1,1,0] op_sel_hi:[0,1,1] neg_lo:[1,0,0]
	global_load_dwordx2 v[20:21], v[20:21], off
	v_lshl_add_u64 v[28:29], v[14:15], 3, s[8:9]
	v_add_u32_e32 v14, -12, v12
	v_lshl_add_u64 v[30:31], v[14:15], 3, s[8:9]
	v_add_u32_e32 v14, 9, v16
	s_waitcnt vmcnt(16)
	v_pk_fma_f32 v[10:11], v[36:37], v[38:39], v[10:11] op_sel_hi:[1,0,1]
	global_load_dwordx2 v[32:33], v[32:33], off
	v_pk_fma_f32 v[10:11], v[36:37], v[38:39], v[10:11] op_sel:[1,1,0] op_sel_hi:[0,1,1] neg_lo:[1,0,0]
	global_load_dwordx2 v[30:31], v[30:31], off
	v_lshl_add_u64 v[36:37], v[14:15], 3, s[10:11]
	global_load_dwordx2 v[24:25], v[24:25], off
	v_add_u32_e32 v14, -1, v12
	global_load_dwordx2 v[28:29], v[28:29], off
	s_waitcnt vmcnt(19)
	v_pk_fma_f32 v[8:9], v[40:41], v[38:39], v[8:9] op_sel_hi:[1,0,1]
	global_load_dwordx2 v[36:37], v[36:37], off
	v_pk_fma_f32 v[8:9], v[40:41], v[38:39], v[8:9] op_sel:[1,1,0] op_sel_hi:[0,1,1] neg_lo:[1,0,0]
	v_lshl_add_u64 v[38:39], v[14:15], 3, s[8:9]
	v_add_u32_e32 v14, -11, v12
	v_lshl_add_u64 v[40:41], v[14:15], 3, s[8:9]
	v_add_u32_e32 v14, 10, v16
	global_load_dwordx2 v[16:17], v[38:39], off
	v_lshl_add_u64 v[38:39], v[14:15], 3, s[10:11]
	global_load_dwordx2 v[66:67], v[40:41], off
	global_load_dwordx2 v[68:69], v[38:39], off
	s_waitcnt vmcnt(21)
	v_pk_fma_f32 v[10:11], v[42:43], v[44:45], v[10:11] op_sel_hi:[1,0,1]
	s_waitcnt vmcnt(20)
	v_pk_fma_f32 v[8:9], v[46:47], v[44:45], v[8:9] op_sel_hi:[1,0,1]
	v_pk_fma_f32 v[10:11], v[42:43], v[44:45], v[10:11] op_sel:[1,1,0] op_sel_hi:[0,1,1] neg_lo:[1,0,0]
	v_pk_fma_f32 v[8:9], v[46:47], v[44:45], v[8:9] op_sel:[1,1,0] op_sel_hi:[0,1,1] neg_lo:[1,0,0]
	s_waitcnt vmcnt(18)
	v_pk_fma_f32 v[10:11], v[48:49], v[50:51], v[10:11] op_sel_hi:[1,0,1]
	s_waitcnt vmcnt(17)
	v_pk_fma_f32 v[8:9], v[52:53], v[50:51], v[8:9] op_sel_hi:[1,0,1]
	v_pk_fma_f32 v[10:11], v[48:49], v[50:51], v[10:11] op_sel:[1,1,0] op_sel_hi:[0,1,1] neg_lo:[1,0,0]
	v_pk_fma_f32 v[8:9], v[52:53], v[50:51], v[8:9] op_sel:[1,1,0] op_sel_hi:[0,1,1] neg_lo:[1,0,0]
	;; [unrolled: 6-line block ×3, first 2 shown]
	v_add_u32_e32 v12, 0x160, v12
	s_waitcnt vmcnt(12)
	v_pk_fma_f32 v[10:11], v[60:61], v[62:63], v[10:11] op_sel_hi:[1,0,1]
	s_nop 0
	v_pk_fma_f32 v[10:11], v[60:61], v[62:63], v[10:11] op_sel:[1,1,0] op_sel_hi:[0,1,1] neg_lo:[1,0,0]
	s_waitcnt vmcnt(11)
	v_pk_fma_f32 v[8:9], v[64:65], v[62:63], v[8:9] op_sel_hi:[1,0,1]
	s_nop 0
	v_pk_fma_f32 v[8:9], v[64:65], v[62:63], v[8:9] op_sel:[1,1,0] op_sel_hi:[0,1,1] neg_lo:[1,0,0]
	;; [unrolled: 4-line block ×3, first 2 shown]
	s_waitcnt vmcnt(8)
	v_pk_fma_f32 v[8:9], v[20:21], v[18:19], v[8:9] op_sel_hi:[1,0,1]
	s_waitcnt vmcnt(5)
	v_pk_fma_f32 v[10:11], v[32:33], v[24:25], v[10:11] op_sel_hi:[1,0,1]
	v_pk_fma_f32 v[8:9], v[20:21], v[18:19], v[8:9] op_sel:[1,1,0] op_sel_hi:[0,1,1] neg_lo:[1,0,0]
	s_waitcnt vmcnt(4)
	v_pk_fma_f32 v[8:9], v[28:29], v[24:25], v[8:9] op_sel_hi:[1,0,1]
	v_pk_fma_f32 v[10:11], v[32:33], v[24:25], v[10:11] op_sel:[1,1,0] op_sel_hi:[0,1,1] neg_lo:[1,0,0]
	v_pk_fma_f32 v[8:9], v[28:29], v[24:25], v[8:9] op_sel:[1,1,0] op_sel_hi:[0,1,1] neg_lo:[1,0,0]
	s_waitcnt vmcnt(3)
	v_pk_fma_f32 v[10:11], v[30:31], v[36:37], v[10:11] op_sel_hi:[1,0,1]
	s_waitcnt vmcnt(2)
	v_pk_fma_f32 v[8:9], v[16:17], v[36:37], v[8:9] op_sel_hi:[1,0,1]
	v_pk_fma_f32 v[10:11], v[30:31], v[36:37], v[10:11] op_sel:[1,1,0] op_sel_hi:[0,1,1] neg_lo:[1,0,0]
	v_pk_fma_f32 v[8:9], v[16:17], v[36:37], v[8:9] op_sel:[1,1,0] op_sel_hi:[0,1,1] neg_lo:[1,0,0]
	s_waitcnt vmcnt(0)
	v_pk_fma_f32 v[10:11], v[66:67], v[68:69], v[10:11] op_sel_hi:[1,0,1]
	v_pk_fma_f32 v[8:9], v[34:35], v[68:69], v[8:9] op_sel_hi:[1,0,1]
	v_pk_fma_f32 v[10:11], v[66:67], v[68:69], v[10:11] op_sel:[1,1,0] op_sel_hi:[0,1,1] neg_lo:[1,0,0]
	v_pk_fma_f32 v[8:9], v[34:35], v[68:69], v[8:9] op_sel:[1,1,0] op_sel_hi:[0,1,1] neg_lo:[1,0,0]
	s_andn2_b64 exec, exec, s[2:3]
	s_cbranch_execnz .LBB199_21
; %bb.22:
	s_or_b64 exec, exec, s[2:3]
.LBB199_23:
	s_or_b64 exec, exec, s[4:5]
.LBB199_24:
	v_mov_b32_dpp v12, v8 row_shr:1 row_mask:0xf bank_mask:0xf
	v_add_f32_e32 v8, v8, v12
	v_mov_b32_dpp v0, v10 row_shr:1 row_mask:0xf bank_mask:0xf
	v_add_f32_e32 v0, v10, v0
	;; [unrolled: 2-line block ×6, first 2 shown]
	v_mov_b32_dpp v1, v0 row_shr:2 row_mask:0xf bank_mask:0xf
	v_mov_b32_dpp v11, v10 row_shr:2 row_mask:0xf bank_mask:0xf
	;; [unrolled: 1-line block ×3, first 2 shown]
	v_add_f32_e32 v0, v0, v1
	v_add_f32_e32 v10, v10, v11
	;; [unrolled: 1-line block ×3, first 2 shown]
	v_mov_b32_dpp v1, v0 row_shr:4 row_mask:0xf bank_mask:0xe
	v_mov_b32_dpp v11, v10 row_shr:4 row_mask:0xf bank_mask:0xe
	v_mov_b32_dpp v9, v8 row_shr:4 row_mask:0xf bank_mask:0xe
	v_add_f32_e32 v0, v0, v1
	v_add_f32_e32 v10, v10, v11
	;; [unrolled: 1-line block ×3, first 2 shown]
	v_mov_b32_dpp v1, v0 row_shr:8 row_mask:0xf bank_mask:0xc
	v_mov_b32_dpp v11, v10 row_shr:8 row_mask:0xf bank_mask:0xc
	;; [unrolled: 1-line block ×4, first 2 shown]
	v_cmp_eq_u32_e32 vcc, 15, v7
	s_and_b64 exec, exec, vcc
	s_cbranch_execz .LBB199_29
; %bb.25:
	s_load_dwordx2 s[2:3], s[0:1], 0x38
	v_add_f32_e32 v8, v0, v1
	v_and_b32_e32 v1, 0x7fffffff, v4
	v_cmp_eq_u32_e32 vcc, 0, v1
	v_cmp_eq_f32_e64 s[0:1], 0, v5
	v_add_f32_e32 v12, v10, v11
	v_add_f32_e32 v0, v13, v14
	;; [unrolled: 1-line block ×3, first 2 shown]
	s_and_b64 s[0:1], vcc, s[0:1]
	s_and_saveexec_b64 s[4:5], s[0:1]
	s_xor_b64 s[0:1], exec, s[4:5]
	s_cbranch_execz .LBB199_27
; %bb.26:
	v_lshlrev_b32_e32 v4, 1, v6
	v_xor_b32_e32 v14, 0x80000000, v3
	v_ashrrev_i32_e32 v5, 31, v4
	v_mov_b32_e32 v15, v2
	s_waitcnt lgkmcnt(0)
	v_lshl_add_u64 v[16:17], v[4:5], 3, s[2:3]
	v_pk_mul_f32 v[4:5], v[12:13], v[14:15] op_sel_hi:[0,1]
	v_pk_mul_f32 v[6:7], v[10:11], v[14:15] op_sel_hi:[0,1]
	v_pk_fma_f32 v[4:5], v[2:3], v[8:9], v[4:5] op_sel_hi:[1,0,1]
	v_pk_fma_f32 v[6:7], v[2:3], v[0:1], v[6:7] op_sel_hi:[1,0,1]
	global_store_dwordx4 v[16:17], v[4:7], off
                                        ; implicit-def: $vgpr3
                                        ; implicit-def: $vgpr4
                                        ; implicit-def: $vgpr6
                                        ; implicit-def: $vgpr8
                                        ; implicit-def: $vgpr12
                                        ; implicit-def: $vgpr0
                                        ; implicit-def: $vgpr10
.LBB199_27:
	s_andn2_saveexec_b64 s[0:1], s[0:1]
	s_cbranch_execz .LBB199_29
; %bb.28:
	v_lshlrev_b32_e32 v6, 1, v6
	v_ashrrev_i32_e32 v7, 31, v6
	s_waitcnt lgkmcnt(0)
	v_lshl_add_u64 v[6:7], v[6:7], 3, s[2:3]
	global_load_dwordx4 v[14:17], v[6:7], off
	v_xor_b32_e32 v18, 0x80000000, v3
	v_mov_b32_e32 v19, v2
	v_pk_mul_f32 v[12:13], v[12:13], v[18:19] op_sel_hi:[0,1]
	v_pk_mul_f32 v[10:11], v[10:11], v[18:19] op_sel_hi:[0,1]
	v_pk_fma_f32 v[8:9], v[2:3], v[8:9], v[12:13] op_sel_hi:[1,0,1]
	v_pk_fma_f32 v[0:1], v[2:3], v[0:1], v[10:11] op_sel_hi:[1,0,1]
	v_xor_b32_e32 v20, 0x80000000, v5
	v_mov_b32_e32 v21, v4
	s_waitcnt vmcnt(0)
	v_pk_fma_f32 v[2:3], v[4:5], v[14:15], v[8:9] op_sel_hi:[1,0,1]
	v_pk_fma_f32 v[4:5], v[4:5], v[16:17], v[0:1] op_sel_hi:[1,0,1]
	v_mov_b32_e32 v8, v17
	v_pk_fma_f32 v[0:1], v[20:21], v[14:15], v[2:3] op_sel:[0,1,0]
	v_pk_fma_f32 v[2:3], v[20:21], v[8:9], v[4:5] op_sel_hi:[1,0,1]
	global_store_dwordx4 v[6:7], v[0:3], off
.LBB199_29:
	s_endpgm
	.section	.rodata,"a",@progbits
	.p2align	6, 0x0
	.amdhsa_kernel _ZN9rocsparseL19gebsrmvn_2xn_kernelILj128ELj11ELj16E21rocsparse_complex_numIfEEEvi20rocsparse_direction_NS_24const_host_device_scalarIT2_EEPKiS8_PKS5_SA_S6_PS5_21rocsparse_index_base_b
		.amdhsa_group_segment_fixed_size 0
		.amdhsa_private_segment_fixed_size 0
		.amdhsa_kernarg_size 72
		.amdhsa_user_sgpr_count 2
		.amdhsa_user_sgpr_dispatch_ptr 0
		.amdhsa_user_sgpr_queue_ptr 0
		.amdhsa_user_sgpr_kernarg_segment_ptr 1
		.amdhsa_user_sgpr_dispatch_id 0
		.amdhsa_user_sgpr_kernarg_preload_length 0
		.amdhsa_user_sgpr_kernarg_preload_offset 0
		.amdhsa_user_sgpr_private_segment_size 0
		.amdhsa_uses_dynamic_stack 0
		.amdhsa_enable_private_segment 0
		.amdhsa_system_sgpr_workgroup_id_x 1
		.amdhsa_system_sgpr_workgroup_id_y 0
		.amdhsa_system_sgpr_workgroup_id_z 0
		.amdhsa_system_sgpr_workgroup_info 0
		.amdhsa_system_vgpr_workitem_id 0
		.amdhsa_next_free_vgpr 74
		.amdhsa_next_free_sgpr 16
		.amdhsa_accum_offset 76
		.amdhsa_reserve_vcc 1
		.amdhsa_float_round_mode_32 0
		.amdhsa_float_round_mode_16_64 0
		.amdhsa_float_denorm_mode_32 3
		.amdhsa_float_denorm_mode_16_64 3
		.amdhsa_dx10_clamp 1
		.amdhsa_ieee_mode 1
		.amdhsa_fp16_overflow 0
		.amdhsa_tg_split 0
		.amdhsa_exception_fp_ieee_invalid_op 0
		.amdhsa_exception_fp_denorm_src 0
		.amdhsa_exception_fp_ieee_div_zero 0
		.amdhsa_exception_fp_ieee_overflow 0
		.amdhsa_exception_fp_ieee_underflow 0
		.amdhsa_exception_fp_ieee_inexact 0
		.amdhsa_exception_int_div_zero 0
	.end_amdhsa_kernel
	.section	.text._ZN9rocsparseL19gebsrmvn_2xn_kernelILj128ELj11ELj16E21rocsparse_complex_numIfEEEvi20rocsparse_direction_NS_24const_host_device_scalarIT2_EEPKiS8_PKS5_SA_S6_PS5_21rocsparse_index_base_b,"axG",@progbits,_ZN9rocsparseL19gebsrmvn_2xn_kernelILj128ELj11ELj16E21rocsparse_complex_numIfEEEvi20rocsparse_direction_NS_24const_host_device_scalarIT2_EEPKiS8_PKS5_SA_S6_PS5_21rocsparse_index_base_b,comdat
.Lfunc_end199:
	.size	_ZN9rocsparseL19gebsrmvn_2xn_kernelILj128ELj11ELj16E21rocsparse_complex_numIfEEEvi20rocsparse_direction_NS_24const_host_device_scalarIT2_EEPKiS8_PKS5_SA_S6_PS5_21rocsparse_index_base_b, .Lfunc_end199-_ZN9rocsparseL19gebsrmvn_2xn_kernelILj128ELj11ELj16E21rocsparse_complex_numIfEEEvi20rocsparse_direction_NS_24const_host_device_scalarIT2_EEPKiS8_PKS5_SA_S6_PS5_21rocsparse_index_base_b
                                        ; -- End function
	.section	.AMDGPU.csdata,"",@progbits
; Kernel info:
; codeLenInByte = 3244
; NumSgprs: 22
; NumVgprs: 74
; NumAgprs: 0
; TotalNumVgprs: 74
; ScratchSize: 0
; MemoryBound: 0
; FloatMode: 240
; IeeeMode: 1
; LDSByteSize: 0 bytes/workgroup (compile time only)
; SGPRBlocks: 2
; VGPRBlocks: 9
; NumSGPRsForWavesPerEU: 22
; NumVGPRsForWavesPerEU: 74
; AccumOffset: 76
; Occupancy: 6
; WaveLimiterHint : 1
; COMPUTE_PGM_RSRC2:SCRATCH_EN: 0
; COMPUTE_PGM_RSRC2:USER_SGPR: 2
; COMPUTE_PGM_RSRC2:TRAP_HANDLER: 0
; COMPUTE_PGM_RSRC2:TGID_X_EN: 1
; COMPUTE_PGM_RSRC2:TGID_Y_EN: 0
; COMPUTE_PGM_RSRC2:TGID_Z_EN: 0
; COMPUTE_PGM_RSRC2:TIDIG_COMP_CNT: 0
; COMPUTE_PGM_RSRC3_GFX90A:ACCUM_OFFSET: 18
; COMPUTE_PGM_RSRC3_GFX90A:TG_SPLIT: 0
	.section	.text._ZN9rocsparseL19gebsrmvn_2xn_kernelILj128ELj11ELj32E21rocsparse_complex_numIfEEEvi20rocsparse_direction_NS_24const_host_device_scalarIT2_EEPKiS8_PKS5_SA_S6_PS5_21rocsparse_index_base_b,"axG",@progbits,_ZN9rocsparseL19gebsrmvn_2xn_kernelILj128ELj11ELj32E21rocsparse_complex_numIfEEEvi20rocsparse_direction_NS_24const_host_device_scalarIT2_EEPKiS8_PKS5_SA_S6_PS5_21rocsparse_index_base_b,comdat
	.globl	_ZN9rocsparseL19gebsrmvn_2xn_kernelILj128ELj11ELj32E21rocsparse_complex_numIfEEEvi20rocsparse_direction_NS_24const_host_device_scalarIT2_EEPKiS8_PKS5_SA_S6_PS5_21rocsparse_index_base_b ; -- Begin function _ZN9rocsparseL19gebsrmvn_2xn_kernelILj128ELj11ELj32E21rocsparse_complex_numIfEEEvi20rocsparse_direction_NS_24const_host_device_scalarIT2_EEPKiS8_PKS5_SA_S6_PS5_21rocsparse_index_base_b
	.p2align	8
	.type	_ZN9rocsparseL19gebsrmvn_2xn_kernelILj128ELj11ELj32E21rocsparse_complex_numIfEEEvi20rocsparse_direction_NS_24const_host_device_scalarIT2_EEPKiS8_PKS5_SA_S6_PS5_21rocsparse_index_base_b,@function
_ZN9rocsparseL19gebsrmvn_2xn_kernelILj128ELj11ELj32E21rocsparse_complex_numIfEEEvi20rocsparse_direction_NS_24const_host_device_scalarIT2_EEPKiS8_PKS5_SA_S6_PS5_21rocsparse_index_base_b: ; @_ZN9rocsparseL19gebsrmvn_2xn_kernelILj128ELj11ELj32E21rocsparse_complex_numIfEEEvi20rocsparse_direction_NS_24const_host_device_scalarIT2_EEPKiS8_PKS5_SA_S6_PS5_21rocsparse_index_base_b
; %bb.0:
	s_load_dwordx2 s[12:13], s[0:1], 0x40
	s_load_dwordx2 s[8:9], s[0:1], 0x8
	;; [unrolled: 1-line block ×3, first 2 shown]
	s_waitcnt lgkmcnt(0)
	s_bitcmp1_b32 s13, 0
	s_cselect_b64 s[4:5], -1, 0
	s_xor_b64 s[10:11], s[4:5], -1
	s_and_b64 vcc, exec, s[4:5]
	v_mov_b32_e32 v2, s8
	s_cbranch_vccnz .LBB200_2
; %bb.1:
	v_mov_b64_e32 v[2:3], s[8:9]
	flat_load_dword v2, v[2:3]
.LBB200_2:
	v_cndmask_b32_e64 v1, 0, 1, s[10:11]
	v_cmp_ne_u32_e64 s[4:5], 1, v1
	s_andn2_b64 vcc, exec, s[10:11]
	v_mov_b32_e32 v3, s9
	s_cbranch_vccz .LBB200_16
; %bb.3:
	s_and_b64 vcc, exec, s[4:5]
	v_mov_b32_e32 v4, s6
	s_cbranch_vccz .LBB200_17
.LBB200_4:
	s_and_b64 vcc, exec, s[4:5]
	v_mov_b32_e32 v5, s7
	s_cbranch_vccnz .LBB200_6
.LBB200_5:
	v_mov_b64_e32 v[6:7], s[6:7]
	flat_load_dword v5, v[6:7] offset:4
.LBB200_6:
	s_waitcnt vmcnt(0) lgkmcnt(0)
	v_and_b32_e32 v1, 0x7fffffff, v2
	v_cmp_eq_u32_e32 vcc, 0, v1
	v_cmp_eq_f32_e64 s[4:5], 0, v3
	s_and_b64 s[8:9], vcc, s[4:5]
	s_mov_b64 s[4:5], -1
	s_and_saveexec_b64 s[6:7], s[8:9]
; %bb.7:
	v_and_b32_e32 v1, 0x7fffffff, v5
	v_cmp_neq_f32_e32 vcc, 1.0, v4
	v_cmp_ne_u32_e64 s[4:5], 0, v1
	s_or_b64 s[4:5], vcc, s[4:5]
	s_orn2_b64 s[4:5], s[4:5], exec
; %bb.8:
	s_or_b64 exec, exec, s[6:7]
	s_and_saveexec_b64 s[6:7], s[4:5]
	s_cbranch_execz .LBB200_29
; %bb.9:
	s_load_dwordx2 s[14:15], s[0:1], 0x0
	v_lshrrev_b32_e32 v1, 5, v0
	v_lshl_or_b32 v6, s2, 2, v1
	s_waitcnt lgkmcnt(0)
	v_cmp_gt_i32_e32 vcc, s14, v6
	s_and_b64 exec, exec, vcc
	s_cbranch_execz .LBB200_29
; %bb.10:
	s_load_dwordx8 s[4:11], s[0:1], 0x10
	v_ashrrev_i32_e32 v7, 31, v6
	s_cmp_lg_u32 s15, 0
	s_waitcnt lgkmcnt(0)
	v_lshl_add_u64 v[8:9], v[6:7], 2, s[4:5]
	global_load_dwordx2 v[8:9], v[8:9], off
	v_and_b32_e32 v7, 31, v0
	s_waitcnt vmcnt(0)
	v_subrev_u32_e32 v0, s12, v8
	v_subrev_u32_e32 v22, s12, v9
	v_add_u32_e32 v0, v0, v7
	v_cmp_lt_i32_e64 s[2:3], v0, v22
	s_cbranch_scc0 .LBB200_18
; %bb.11:
	v_mov_b32_e32 v11, 0
	v_mov_b32_e32 v10, v11
	;; [unrolled: 1-line block ×4, first 2 shown]
	s_and_saveexec_b64 s[4:5], s[2:3]
	s_cbranch_execz .LBB200_15
; %bb.12:
	v_mov_b32_e32 v13, 0
	v_mul_lo_u32 v12, v0, 22
	s_mov_b64 s[14:15], 0
	v_mov_b32_e32 v14, v0
	v_mov_b32_e32 v8, v13
	;; [unrolled: 1-line block ×5, first 2 shown]
.LBB200_13:                             ; =>This Inner Loop Header: Depth=1
	v_ashrrev_i32_e32 v15, 31, v14
	v_lshl_add_u64 v[58:59], v[14:15], 2, s[6:7]
	global_load_dword v1, v[58:59], off
	v_mov_b32_e32 v17, v13
	v_lshl_add_u64 v[24:25], v[12:13], 3, s[8:9]
	global_load_dwordx4 v[24:27], v[24:25], off
	v_mov_b32_e32 v31, v13
	v_add_u32_e32 v28, 2, v12
	v_mov_b32_e32 v29, v13
	v_add_u32_e32 v32, 4, v12
	v_mov_b32_e32 v33, v13
	v_mov_b32_e32 v35, v13
	v_add_u32_e32 v36, 6, v12
	v_mov_b32_e32 v37, v13
	;; [unrolled: 3-line block ×3, first 2 shown]
	v_add_u32_e32 v40, 10, v12
	v_mov_b32_e32 v41, v13
	v_add_u32_e32 v42, 12, v12
	v_mov_b32_e32 v43, v13
	;; [unrolled: 2-line block ×4, first 2 shown]
	v_mov_b32_e32 v19, v13
	v_add_u32_e32 v56, 18, v12
	v_mov_b32_e32 v57, v13
	v_mov_b32_e32 v49, v13
	;; [unrolled: 1-line block ×6, first 2 shown]
	v_lshl_add_u64 v[56:57], v[56:57], 3, s[8:9]
	v_add_u32_e32 v14, 32, v14
	v_cmp_ge_i32_e32 vcc, v14, v22
	s_or_b64 s[14:15], vcc, s[14:15]
	s_waitcnt vmcnt(1)
	v_subrev_u32_e32 v1, s12, v1
	v_mul_lo_u32 v16, v1, 11
	v_lshl_add_u64 v[60:61], v[16:17], 3, s[10:11]
	global_load_dwordx2 v[60:61], v[60:61], off
	v_add_u32_e32 v30, 1, v16
	v_lshl_add_u64 v[30:31], v[30:31], 3, s[10:11]
	global_load_dwordx2 v[30:31], v[30:31], off
	s_waitcnt vmcnt(2)
	v_xor_b32_e32 v58, 0x80000000, v27
	v_mov_b32_e32 v59, v26
	v_add_u32_e32 v34, 2, v16
	v_add_u32_e32 v20, 3, v16
	v_lshl_add_u64 v[20:21], v[20:21], 3, s[10:11]
	v_add_u32_e32 v18, 4, v16
	v_add_u32_e32 v48, 5, v16
	;; [unrolled: 1-line block ×7, first 2 shown]
	v_lshl_add_u64 v[18:19], v[18:19], 3, s[10:11]
	v_lshl_add_u64 v[48:49], v[48:49], 3, s[10:11]
	;; [unrolled: 1-line block ×6, first 2 shown]
	s_waitcnt vmcnt(1)
	v_pk_fma_f32 v[10:11], v[24:25], v[60:61], v[10:11] op_sel_hi:[1,0,1]
	v_pk_fma_f32 v[8:9], v[26:27], v[60:61], v[8:9] op_sel_hi:[1,0,1]
	v_pk_fma_f32 v[24:25], v[24:25], v[60:61], v[10:11] op_sel:[1,1,0] op_sel_hi:[0,1,1] neg_lo:[1,0,0]
	v_lshl_add_u64 v[10:11], v[28:29], 3, s[8:9]
	v_pk_fma_f32 v[28:29], v[58:59], v[60:61], v[8:9] op_sel:[0,1,0]
	global_load_dwordx4 v[8:11], v[10:11], off
	v_add_u32_e32 v26, 20, v12
	v_mov_b32_e32 v27, v13
	v_lshl_add_u64 v[64:65], v[26:27], 3, s[8:9]
	v_add_u32_e32 v12, 0x2c0, v12
	s_waitcnt vmcnt(0)
	v_xor_b32_e32 v58, 0x80000000, v11
	v_mov_b32_e32 v59, v10
	v_pk_fma_f32 v[24:25], v[8:9], v[30:31], v[24:25] op_sel_hi:[1,0,1]
	v_pk_fma_f32 v[28:29], v[10:11], v[30:31], v[28:29] op_sel_hi:[1,0,1]
	v_pk_fma_f32 v[60:61], v[8:9], v[30:31], v[24:25] op_sel:[1,1,0] op_sel_hi:[0,1,1] neg_lo:[1,0,0]
	v_lshl_add_u64 v[8:9], v[32:33], 3, s[8:9]
	v_pk_fma_f32 v[28:29], v[58:59], v[30:31], v[28:29] op_sel:[0,1,0]
	v_lshl_add_u64 v[30:31], v[34:35], 3, s[10:11]
	global_load_dwordx4 v[8:11], v[8:9], off
	v_lshl_add_u64 v[24:25], v[36:37], 3, s[8:9]
	global_load_dwordx4 v[24:27], v[24:25], off
	v_lshl_add_u64 v[32:33], v[38:39], 3, s[8:9]
	global_load_dwordx2 v[34:35], v[30:31], off
	v_lshl_add_u64 v[36:37], v[40:41], 3, s[8:9]
	v_lshl_add_u64 v[38:39], v[42:43], 3, s[8:9]
	;; [unrolled: 1-line block ×4, first 2 shown]
	s_waitcnt vmcnt(2)
	v_xor_b32_e32 v44, 0x80000000, v11
	v_mov_b32_e32 v45, v10
	s_waitcnt vmcnt(0)
	v_pk_fma_f32 v[30:31], v[8:9], v[34:35], v[60:61] op_sel_hi:[1,0,1]
	v_pk_fma_f32 v[46:47], v[10:11], v[34:35], v[28:29] op_sel_hi:[1,0,1]
	v_pk_fma_f32 v[58:59], v[8:9], v[34:35], v[30:31] op_sel:[1,1,0] op_sel_hi:[0,1,1] neg_lo:[1,0,0]
	global_load_dwordx4 v[8:11], v[32:33], off
	global_load_dwordx4 v[28:31], v[36:37], off
	v_pk_fma_f32 v[36:37], v[44:45], v[34:35], v[46:47] op_sel:[0,1,0]
	global_load_dwordx2 v[20:21], v[20:21], off
	v_xor_b32_e32 v44, 0x80000000, v27
	global_load_dwordx4 v[32:35], v[38:39], off
	v_mov_b32_e32 v45, v26
	s_waitcnt vmcnt(1)
	v_pk_fma_f32 v[38:39], v[24:25], v[20:21], v[58:59] op_sel_hi:[1,0,1]
	v_pk_fma_f32 v[46:47], v[26:27], v[20:21], v[36:37] op_sel_hi:[1,0,1]
	v_pk_fma_f32 v[58:59], v[24:25], v[20:21], v[38:39] op_sel:[1,1,0] op_sel_hi:[0,1,1] neg_lo:[1,0,0]
	global_load_dwordx4 v[24:27], v[40:41], off
	global_load_dwordx4 v[36:39], v[42:43], off
	v_pk_fma_f32 v[20:21], v[44:45], v[20:21], v[46:47] op_sel:[0,1,0]
	global_load_dwordx4 v[40:43], v[56:57], off
	global_load_dwordx4 v[44:47], v[64:65], off
	v_lshl_add_u64 v[56:57], v[62:63], 3, s[10:11]
	global_load_dwordx2 v[60:61], v[18:19], off
	global_load_dwordx2 v[62:63], v[48:49], off
	;; [unrolled: 1-line block ×7, first 2 shown]
	v_xor_b32_e32 v16, 0x80000000, v11
	v_mov_b32_e32 v17, v10
	s_waitcnt vmcnt(6)
	v_pk_fma_f32 v[18:19], v[8:9], v[60:61], v[58:59] op_sel_hi:[1,0,1]
	v_pk_fma_f32 v[10:11], v[10:11], v[60:61], v[20:21] op_sel_hi:[1,0,1]
	v_pk_fma_f32 v[8:9], v[8:9], v[60:61], v[18:19] op_sel:[1,1,0] op_sel_hi:[0,1,1] neg_lo:[1,0,0]
	v_pk_fma_f32 v[10:11], v[16:17], v[60:61], v[10:11] op_sel:[0,1,0]
	v_xor_b32_e32 v18, 0x80000000, v31
	v_mov_b32_e32 v19, v30
	s_waitcnt vmcnt(5)
	v_pk_fma_f32 v[8:9], v[28:29], v[62:63], v[8:9] op_sel_hi:[1,0,1]
	v_pk_fma_f32 v[10:11], v[30:31], v[62:63], v[10:11] op_sel_hi:[1,0,1]
	v_pk_fma_f32 v[8:9], v[28:29], v[62:63], v[8:9] op_sel:[1,1,0] op_sel_hi:[0,1,1] neg_lo:[1,0,0]
	v_pk_fma_f32 v[10:11], v[18:19], v[62:63], v[10:11] op_sel:[0,1,0]
	;; [unrolled: 7-line block ×7, first 2 shown]
	s_andn2_b64 exec, exec, s[14:15]
	s_cbranch_execnz .LBB200_13
; %bb.14:
	s_or_b64 exec, exec, s[14:15]
.LBB200_15:
	s_or_b64 exec, exec, s[4:5]
	s_cbranch_execz .LBB200_19
	s_branch .LBB200_24
.LBB200_16:
	v_mov_b64_e32 v[4:5], s[8:9]
	flat_load_dword v3, v[4:5] offset:4
	s_and_b64 vcc, exec, s[4:5]
	v_mov_b32_e32 v4, s6
	s_cbranch_vccnz .LBB200_4
.LBB200_17:
	v_mov_b64_e32 v[4:5], s[6:7]
	flat_load_dword v4, v[4:5]
	s_and_b64 vcc, exec, s[4:5]
	v_mov_b32_e32 v5, s7
	s_cbranch_vccz .LBB200_5
	s_branch .LBB200_6
.LBB200_18:
                                        ; implicit-def: $vgpr11
                                        ; implicit-def: $vgpr9
.LBB200_19:
	v_mov_b32_e32 v11, 0
	v_mov_b32_e32 v10, v11
	;; [unrolled: 1-line block ×4, first 2 shown]
	s_and_saveexec_b64 s[4:5], s[2:3]
	s_cbranch_execz .LBB200_23
; %bb.20:
	v_mad_u64_u32 v[12:13], s[2:3], v0, 22, 21
	v_mov_b32_e32 v15, 0
	s_mov_b64 s[2:3], 0
	v_mov_b32_e32 v8, v15
	v_mov_b32_e32 v9, v15
	;; [unrolled: 1-line block ×4, first 2 shown]
.LBB200_21:                             ; =>This Inner Loop Header: Depth=1
	v_ashrrev_i32_e32 v1, 31, v0
	v_subrev_u32_e32 v14, 21, v12
	v_add_u32_e32 v18, -10, v12
	v_mov_b32_e32 v19, v15
	v_mov_b32_e32 v13, v15
	v_lshl_add_u64 v[24:25], v[0:1], 2, s[6:7]
	v_lshl_add_u64 v[26:27], v[14:15], 3, s[8:9]
	;; [unrolled: 1-line block ×4, first 2 shown]
	global_load_dword v1, v[24:25], off
	global_load_dwordx4 v[18:21], v[26:27], off
	global_load_dwordx2 v[32:33], v[28:29], off
	global_load_dwordx2 v[34:35], v[30:31], off
	v_mov_b32_e32 v17, v15
	v_add_u32_e32 v0, 32, v0
	v_cmp_ge_i32_e32 vcc, v0, v22
	s_or_b64 s[2:3], vcc, s[2:3]
	s_waitcnt vmcnt(3)
	v_subrev_u32_e32 v1, s12, v1
	v_mul_lo_u32 v16, v1, 11
	v_lshl_add_u64 v[26:27], v[16:17], 3, s[10:11]
	global_load_dwordx2 v[26:27], v[26:27], off
	v_add_u32_e32 v14, 1, v16
	v_lshl_add_u64 v[28:29], v[14:15], 3, s[10:11]
	global_load_dwordx2 v[28:29], v[28:29], off
	v_add_u32_e32 v14, -9, v12
	v_lshl_add_u64 v[30:31], v[14:15], 3, s[8:9]
	v_subrev_u32_e32 v14, 19, v12
	global_load_dwordx2 v[30:31], v[30:31], off
	v_lshl_add_u64 v[36:37], v[14:15], 3, s[8:9]
	v_add_u32_e32 v14, 2, v16
	v_lshl_add_u64 v[38:39], v[14:15], 3, s[10:11]
	v_add_u32_e32 v14, -8, v12
	global_load_dwordx2 v[36:37], v[36:37], off
	v_lshl_add_u64 v[40:41], v[14:15], 3, s[8:9]
	global_load_dwordx2 v[38:39], v[38:39], off
	v_subrev_u32_e32 v14, 18, v12
	global_load_dwordx2 v[40:41], v[40:41], off
	v_lshl_add_u64 v[42:43], v[14:15], 3, s[8:9]
	v_add_u32_e32 v14, 3, v16
	v_lshl_add_u64 v[44:45], v[14:15], 3, s[10:11]
	v_add_u32_e32 v14, -7, v12
	v_lshl_add_u64 v[46:47], v[14:15], 3, s[8:9]
	v_subrev_u32_e32 v14, 17, v12
	v_lshl_add_u64 v[48:49], v[14:15], 3, s[8:9]
	v_add_u32_e32 v14, 4, v16
	v_lshl_add_u64 v[50:51], v[14:15], 3, s[10:11]
	v_add_u32_e32 v14, -6, v12
	v_lshl_add_u64 v[52:53], v[14:15], 3, s[8:9]
	v_add_u32_e32 v14, -16, v12
	v_lshl_add_u64 v[54:55], v[14:15], 3, s[8:9]
	v_add_u32_e32 v14, 5, v16
	v_lshl_add_u64 v[56:57], v[14:15], 3, s[10:11]
	v_add_u32_e32 v14, -5, v12
	v_lshl_add_u64 v[58:59], v[14:15], 3, s[8:9]
	v_add_u32_e32 v14, -15, v12
	global_load_dwordx2 v[42:43], v[42:43], off
	v_lshl_add_u64 v[60:61], v[14:15], 3, s[8:9]
	global_load_dwordx2 v[44:45], v[44:45], off
	v_add_u32_e32 v14, 6, v16
	global_load_dwordx2 v[46:47], v[46:47], off
	v_lshl_add_u64 v[62:63], v[14:15], 3, s[10:11]
	global_load_dwordx2 v[48:49], v[48:49], off
	v_add_u32_e32 v14, -4, v12
	global_load_dwordx2 v[50:51], v[50:51], off
	v_lshl_add_u64 v[64:65], v[14:15], 3, s[8:9]
	global_load_dwordx2 v[52:53], v[52:53], off
	v_add_u32_e32 v14, -14, v12
	global_load_dwordx2 v[54:55], v[54:55], off
	s_waitcnt vmcnt(15)
	v_xor_b32_e32 v24, 0x80000000, v21
	global_load_dwordx2 v[56:57], v[56:57], off
	v_mov_b32_e32 v25, v20
	global_load_dwordx2 v[58:59], v[58:59], off
	s_waitcnt vmcnt(14)
	v_pk_fma_f32 v[8:9], v[32:33], v[26:27], v[8:9] op_sel_hi:[1,0,1]
	global_load_dwordx2 v[60:61], v[60:61], off
	v_pk_fma_f32 v[8:9], v[32:33], v[26:27], v[8:9] op_sel:[1,1,0] op_sel_hi:[0,1,1] neg_lo:[1,0,0]
	v_lshl_add_u64 v[32:33], v[14:15], 3, s[8:9]
	v_add_u32_e32 v14, 7, v16
	v_pk_fma_f32 v[10:11], v[18:19], v[26:27], v[10:11] op_sel_hi:[1,0,1]
	global_load_dwordx2 v[62:63], v[62:63], off
	v_pk_fma_f32 v[10:11], v[18:19], v[26:27], v[10:11] op_sel:[1,1,0] op_sel_hi:[0,1,1] neg_lo:[1,0,0]
	v_lshl_add_u64 v[18:19], v[14:15], 3, s[10:11]
	v_add_u32_e32 v14, -3, v12
	s_waitcnt vmcnt(15)
	v_pk_fma_f32 v[10:11], v[20:21], v[28:29], v[10:11] op_sel_hi:[1,0,1]
	v_lshl_add_u64 v[20:21], v[14:15], 3, s[8:9]
	v_add_u32_e32 v14, -13, v12
	global_load_dwordx2 v[64:65], v[64:65], off
	v_pk_fma_f32 v[10:11], v[24:25], v[28:29], v[10:11] op_sel:[0,1,0]
	global_load_dwordx2 v[26:27], v[32:33], off
	v_lshl_add_u64 v[32:33], v[14:15], 3, s[8:9]
	v_add_u32_e32 v14, 8, v16
	v_lshl_add_u64 v[24:25], v[14:15], 3, s[10:11]
	v_add_u32_e32 v14, -2, v12
	s_waitcnt vmcnt(16)
	v_pk_fma_f32 v[8:9], v[30:31], v[28:29], v[8:9] op_sel_hi:[1,0,1]
	global_load_dwordx2 v[18:19], v[18:19], off
	v_pk_fma_f32 v[8:9], v[30:31], v[28:29], v[8:9] op_sel:[1,1,0] op_sel_hi:[0,1,1] neg_lo:[1,0,0]
	global_load_dwordx2 v[20:21], v[20:21], off
	v_lshl_add_u64 v[28:29], v[14:15], 3, s[8:9]
	v_add_u32_e32 v14, -12, v12
	v_lshl_add_u64 v[30:31], v[14:15], 3, s[8:9]
	v_add_u32_e32 v14, 9, v16
	s_waitcnt vmcnt(16)
	v_pk_fma_f32 v[10:11], v[36:37], v[38:39], v[10:11] op_sel_hi:[1,0,1]
	global_load_dwordx2 v[32:33], v[32:33], off
	v_pk_fma_f32 v[10:11], v[36:37], v[38:39], v[10:11] op_sel:[1,1,0] op_sel_hi:[0,1,1] neg_lo:[1,0,0]
	global_load_dwordx2 v[30:31], v[30:31], off
	v_lshl_add_u64 v[36:37], v[14:15], 3, s[10:11]
	global_load_dwordx2 v[24:25], v[24:25], off
	v_add_u32_e32 v14, -1, v12
	global_load_dwordx2 v[28:29], v[28:29], off
	s_waitcnt vmcnt(19)
	v_pk_fma_f32 v[8:9], v[40:41], v[38:39], v[8:9] op_sel_hi:[1,0,1]
	global_load_dwordx2 v[36:37], v[36:37], off
	v_pk_fma_f32 v[8:9], v[40:41], v[38:39], v[8:9] op_sel:[1,1,0] op_sel_hi:[0,1,1] neg_lo:[1,0,0]
	v_lshl_add_u64 v[38:39], v[14:15], 3, s[8:9]
	v_add_u32_e32 v14, -11, v12
	v_lshl_add_u64 v[40:41], v[14:15], 3, s[8:9]
	v_add_u32_e32 v14, 10, v16
	global_load_dwordx2 v[16:17], v[38:39], off
	v_lshl_add_u64 v[38:39], v[14:15], 3, s[10:11]
	global_load_dwordx2 v[66:67], v[40:41], off
	global_load_dwordx2 v[68:69], v[38:39], off
	s_waitcnt vmcnt(21)
	v_pk_fma_f32 v[10:11], v[42:43], v[44:45], v[10:11] op_sel_hi:[1,0,1]
	s_waitcnt vmcnt(20)
	v_pk_fma_f32 v[8:9], v[46:47], v[44:45], v[8:9] op_sel_hi:[1,0,1]
	v_pk_fma_f32 v[10:11], v[42:43], v[44:45], v[10:11] op_sel:[1,1,0] op_sel_hi:[0,1,1] neg_lo:[1,0,0]
	v_pk_fma_f32 v[8:9], v[46:47], v[44:45], v[8:9] op_sel:[1,1,0] op_sel_hi:[0,1,1] neg_lo:[1,0,0]
	s_waitcnt vmcnt(18)
	v_pk_fma_f32 v[10:11], v[48:49], v[50:51], v[10:11] op_sel_hi:[1,0,1]
	s_waitcnt vmcnt(17)
	v_pk_fma_f32 v[8:9], v[52:53], v[50:51], v[8:9] op_sel_hi:[1,0,1]
	v_pk_fma_f32 v[10:11], v[48:49], v[50:51], v[10:11] op_sel:[1,1,0] op_sel_hi:[0,1,1] neg_lo:[1,0,0]
	v_pk_fma_f32 v[8:9], v[52:53], v[50:51], v[8:9] op_sel:[1,1,0] op_sel_hi:[0,1,1] neg_lo:[1,0,0]
	;; [unrolled: 6-line block ×3, first 2 shown]
	v_add_u32_e32 v12, 0x2c0, v12
	s_waitcnt vmcnt(12)
	v_pk_fma_f32 v[10:11], v[60:61], v[62:63], v[10:11] op_sel_hi:[1,0,1]
	s_nop 0
	v_pk_fma_f32 v[10:11], v[60:61], v[62:63], v[10:11] op_sel:[1,1,0] op_sel_hi:[0,1,1] neg_lo:[1,0,0]
	s_waitcnt vmcnt(11)
	v_pk_fma_f32 v[8:9], v[64:65], v[62:63], v[8:9] op_sel_hi:[1,0,1]
	s_nop 0
	v_pk_fma_f32 v[8:9], v[64:65], v[62:63], v[8:9] op_sel:[1,1,0] op_sel_hi:[0,1,1] neg_lo:[1,0,0]
	;; [unrolled: 4-line block ×3, first 2 shown]
	s_waitcnt vmcnt(8)
	v_pk_fma_f32 v[8:9], v[20:21], v[18:19], v[8:9] op_sel_hi:[1,0,1]
	s_waitcnt vmcnt(5)
	v_pk_fma_f32 v[10:11], v[32:33], v[24:25], v[10:11] op_sel_hi:[1,0,1]
	v_pk_fma_f32 v[8:9], v[20:21], v[18:19], v[8:9] op_sel:[1,1,0] op_sel_hi:[0,1,1] neg_lo:[1,0,0]
	s_waitcnt vmcnt(4)
	v_pk_fma_f32 v[8:9], v[28:29], v[24:25], v[8:9] op_sel_hi:[1,0,1]
	v_pk_fma_f32 v[10:11], v[32:33], v[24:25], v[10:11] op_sel:[1,1,0] op_sel_hi:[0,1,1] neg_lo:[1,0,0]
	v_pk_fma_f32 v[8:9], v[28:29], v[24:25], v[8:9] op_sel:[1,1,0] op_sel_hi:[0,1,1] neg_lo:[1,0,0]
	s_waitcnt vmcnt(3)
	v_pk_fma_f32 v[10:11], v[30:31], v[36:37], v[10:11] op_sel_hi:[1,0,1]
	s_waitcnt vmcnt(2)
	v_pk_fma_f32 v[8:9], v[16:17], v[36:37], v[8:9] op_sel_hi:[1,0,1]
	v_pk_fma_f32 v[10:11], v[30:31], v[36:37], v[10:11] op_sel:[1,1,0] op_sel_hi:[0,1,1] neg_lo:[1,0,0]
	v_pk_fma_f32 v[8:9], v[16:17], v[36:37], v[8:9] op_sel:[1,1,0] op_sel_hi:[0,1,1] neg_lo:[1,0,0]
	s_waitcnt vmcnt(0)
	v_pk_fma_f32 v[10:11], v[66:67], v[68:69], v[10:11] op_sel_hi:[1,0,1]
	v_pk_fma_f32 v[8:9], v[34:35], v[68:69], v[8:9] op_sel_hi:[1,0,1]
	v_pk_fma_f32 v[10:11], v[66:67], v[68:69], v[10:11] op_sel:[1,1,0] op_sel_hi:[0,1,1] neg_lo:[1,0,0]
	v_pk_fma_f32 v[8:9], v[34:35], v[68:69], v[8:9] op_sel:[1,1,0] op_sel_hi:[0,1,1] neg_lo:[1,0,0]
	s_andn2_b64 exec, exec, s[2:3]
	s_cbranch_execnz .LBB200_21
; %bb.22:
	s_or_b64 exec, exec, s[2:3]
.LBB200_23:
	s_or_b64 exec, exec, s[4:5]
.LBB200_24:
	v_mov_b32_dpp v12, v8 row_shr:1 row_mask:0xf bank_mask:0xf
	v_add_f32_e32 v8, v8, v12
	v_mov_b32_dpp v0, v10 row_shr:1 row_mask:0xf bank_mask:0xf
	v_add_f32_e32 v0, v10, v0
	;; [unrolled: 2-line block ×5, first 2 shown]
	v_mov_b32_dpp v1, v0 row_shr:2 row_mask:0xf bank_mask:0xf
	v_mov_b32_dpp v11, v10 row_shr:2 row_mask:0xf bank_mask:0xf
	;; [unrolled: 1-line block ×3, first 2 shown]
	v_add_f32_e32 v13, v8, v12
	v_mov_b32_dpp v8, v9 row_shr:1 row_mask:0xf bank_mask:0xf
	v_add_f32_e32 v8, v9, v8
	v_add_f32_e32 v0, v0, v1
	;; [unrolled: 1-line block ×3, first 2 shown]
	v_mov_b32_dpp v9, v8 row_shr:2 row_mask:0xf bank_mask:0xf
	v_add_f32_e32 v8, v8, v9
	v_mov_b32_dpp v1, v0 row_shr:4 row_mask:0xf bank_mask:0xe
	v_mov_b32_dpp v11, v10 row_shr:4 row_mask:0xf bank_mask:0xe
	;; [unrolled: 1-line block ×3, first 2 shown]
	v_add_f32_e32 v0, v0, v1
	v_add_f32_e32 v10, v10, v11
	;; [unrolled: 1-line block ×3, first 2 shown]
	v_mov_b32_dpp v1, v0 row_shr:8 row_mask:0xf bank_mask:0xc
	v_mov_b32_dpp v11, v10 row_shr:8 row_mask:0xf bank_mask:0xc
	v_mov_b32_dpp v9, v8 row_shr:8 row_mask:0xf bank_mask:0xc
	v_add_f32_e32 v0, v0, v1
	v_add_f32_e32 v10, v10, v11
	;; [unrolled: 1-line block ×3, first 2 shown]
	v_mov_b32_dpp v1, v0 row_bcast:15 row_mask:0xa bank_mask:0xf
	v_mov_b32_dpp v11, v10 row_bcast:15 row_mask:0xa bank_mask:0xf
	;; [unrolled: 1-line block ×4, first 2 shown]
	v_cmp_eq_u32_e32 vcc, 31, v7
	s_and_b64 exec, exec, vcc
	s_cbranch_execz .LBB200_29
; %bb.25:
	s_load_dwordx2 s[2:3], s[0:1], 0x38
	v_add_f32_e32 v8, v0, v1
	v_and_b32_e32 v1, 0x7fffffff, v4
	v_cmp_eq_u32_e32 vcc, 0, v1
	v_cmp_eq_f32_e64 s[0:1], 0, v5
	v_add_f32_e32 v12, v10, v11
	v_add_f32_e32 v0, v13, v14
	;; [unrolled: 1-line block ×3, first 2 shown]
	s_and_b64 s[0:1], vcc, s[0:1]
	s_and_saveexec_b64 s[4:5], s[0:1]
	s_xor_b64 s[0:1], exec, s[4:5]
	s_cbranch_execz .LBB200_27
; %bb.26:
	v_lshlrev_b32_e32 v4, 1, v6
	v_xor_b32_e32 v14, 0x80000000, v3
	v_ashrrev_i32_e32 v5, 31, v4
	v_mov_b32_e32 v15, v2
	s_waitcnt lgkmcnt(0)
	v_lshl_add_u64 v[16:17], v[4:5], 3, s[2:3]
	v_pk_mul_f32 v[4:5], v[12:13], v[14:15] op_sel_hi:[0,1]
	v_pk_mul_f32 v[6:7], v[10:11], v[14:15] op_sel_hi:[0,1]
	v_pk_fma_f32 v[4:5], v[2:3], v[8:9], v[4:5] op_sel_hi:[1,0,1]
	v_pk_fma_f32 v[6:7], v[2:3], v[0:1], v[6:7] op_sel_hi:[1,0,1]
	global_store_dwordx4 v[16:17], v[4:7], off
                                        ; implicit-def: $vgpr3
                                        ; implicit-def: $vgpr4
                                        ; implicit-def: $vgpr6
                                        ; implicit-def: $vgpr8
                                        ; implicit-def: $vgpr12
                                        ; implicit-def: $vgpr0
                                        ; implicit-def: $vgpr10
.LBB200_27:
	s_andn2_saveexec_b64 s[0:1], s[0:1]
	s_cbranch_execz .LBB200_29
; %bb.28:
	v_lshlrev_b32_e32 v6, 1, v6
	v_ashrrev_i32_e32 v7, 31, v6
	s_waitcnt lgkmcnt(0)
	v_lshl_add_u64 v[6:7], v[6:7], 3, s[2:3]
	global_load_dwordx4 v[14:17], v[6:7], off
	v_xor_b32_e32 v18, 0x80000000, v3
	v_mov_b32_e32 v19, v2
	v_pk_mul_f32 v[12:13], v[12:13], v[18:19] op_sel_hi:[0,1]
	v_pk_mul_f32 v[10:11], v[10:11], v[18:19] op_sel_hi:[0,1]
	v_pk_fma_f32 v[8:9], v[2:3], v[8:9], v[12:13] op_sel_hi:[1,0,1]
	v_pk_fma_f32 v[0:1], v[2:3], v[0:1], v[10:11] op_sel_hi:[1,0,1]
	v_xor_b32_e32 v20, 0x80000000, v5
	v_mov_b32_e32 v21, v4
	s_waitcnt vmcnt(0)
	v_pk_fma_f32 v[2:3], v[4:5], v[14:15], v[8:9] op_sel_hi:[1,0,1]
	v_pk_fma_f32 v[4:5], v[4:5], v[16:17], v[0:1] op_sel_hi:[1,0,1]
	v_mov_b32_e32 v8, v17
	v_pk_fma_f32 v[0:1], v[20:21], v[14:15], v[2:3] op_sel:[0,1,0]
	v_pk_fma_f32 v[2:3], v[20:21], v[8:9], v[4:5] op_sel_hi:[1,0,1]
	global_store_dwordx4 v[6:7], v[0:3], off
.LBB200_29:
	s_endpgm
	.section	.rodata,"a",@progbits
	.p2align	6, 0x0
	.amdhsa_kernel _ZN9rocsparseL19gebsrmvn_2xn_kernelILj128ELj11ELj32E21rocsparse_complex_numIfEEEvi20rocsparse_direction_NS_24const_host_device_scalarIT2_EEPKiS8_PKS5_SA_S6_PS5_21rocsparse_index_base_b
		.amdhsa_group_segment_fixed_size 0
		.amdhsa_private_segment_fixed_size 0
		.amdhsa_kernarg_size 72
		.amdhsa_user_sgpr_count 2
		.amdhsa_user_sgpr_dispatch_ptr 0
		.amdhsa_user_sgpr_queue_ptr 0
		.amdhsa_user_sgpr_kernarg_segment_ptr 1
		.amdhsa_user_sgpr_dispatch_id 0
		.amdhsa_user_sgpr_kernarg_preload_length 0
		.amdhsa_user_sgpr_kernarg_preload_offset 0
		.amdhsa_user_sgpr_private_segment_size 0
		.amdhsa_uses_dynamic_stack 0
		.amdhsa_enable_private_segment 0
		.amdhsa_system_sgpr_workgroup_id_x 1
		.amdhsa_system_sgpr_workgroup_id_y 0
		.amdhsa_system_sgpr_workgroup_id_z 0
		.amdhsa_system_sgpr_workgroup_info 0
		.amdhsa_system_vgpr_workitem_id 0
		.amdhsa_next_free_vgpr 74
		.amdhsa_next_free_sgpr 16
		.amdhsa_accum_offset 76
		.amdhsa_reserve_vcc 1
		.amdhsa_float_round_mode_32 0
		.amdhsa_float_round_mode_16_64 0
		.amdhsa_float_denorm_mode_32 3
		.amdhsa_float_denorm_mode_16_64 3
		.amdhsa_dx10_clamp 1
		.amdhsa_ieee_mode 1
		.amdhsa_fp16_overflow 0
		.amdhsa_tg_split 0
		.amdhsa_exception_fp_ieee_invalid_op 0
		.amdhsa_exception_fp_denorm_src 0
		.amdhsa_exception_fp_ieee_div_zero 0
		.amdhsa_exception_fp_ieee_overflow 0
		.amdhsa_exception_fp_ieee_underflow 0
		.amdhsa_exception_fp_ieee_inexact 0
		.amdhsa_exception_int_div_zero 0
	.end_amdhsa_kernel
	.section	.text._ZN9rocsparseL19gebsrmvn_2xn_kernelILj128ELj11ELj32E21rocsparse_complex_numIfEEEvi20rocsparse_direction_NS_24const_host_device_scalarIT2_EEPKiS8_PKS5_SA_S6_PS5_21rocsparse_index_base_b,"axG",@progbits,_ZN9rocsparseL19gebsrmvn_2xn_kernelILj128ELj11ELj32E21rocsparse_complex_numIfEEEvi20rocsparse_direction_NS_24const_host_device_scalarIT2_EEPKiS8_PKS5_SA_S6_PS5_21rocsparse_index_base_b,comdat
.Lfunc_end200:
	.size	_ZN9rocsparseL19gebsrmvn_2xn_kernelILj128ELj11ELj32E21rocsparse_complex_numIfEEEvi20rocsparse_direction_NS_24const_host_device_scalarIT2_EEPKiS8_PKS5_SA_S6_PS5_21rocsparse_index_base_b, .Lfunc_end200-_ZN9rocsparseL19gebsrmvn_2xn_kernelILj128ELj11ELj32E21rocsparse_complex_numIfEEEvi20rocsparse_direction_NS_24const_host_device_scalarIT2_EEPKiS8_PKS5_SA_S6_PS5_21rocsparse_index_base_b
                                        ; -- End function
	.section	.AMDGPU.csdata,"",@progbits
; Kernel info:
; codeLenInByte = 3292
; NumSgprs: 22
; NumVgprs: 74
; NumAgprs: 0
; TotalNumVgprs: 74
; ScratchSize: 0
; MemoryBound: 0
; FloatMode: 240
; IeeeMode: 1
; LDSByteSize: 0 bytes/workgroup (compile time only)
; SGPRBlocks: 2
; VGPRBlocks: 9
; NumSGPRsForWavesPerEU: 22
; NumVGPRsForWavesPerEU: 74
; AccumOffset: 76
; Occupancy: 6
; WaveLimiterHint : 1
; COMPUTE_PGM_RSRC2:SCRATCH_EN: 0
; COMPUTE_PGM_RSRC2:USER_SGPR: 2
; COMPUTE_PGM_RSRC2:TRAP_HANDLER: 0
; COMPUTE_PGM_RSRC2:TGID_X_EN: 1
; COMPUTE_PGM_RSRC2:TGID_Y_EN: 0
; COMPUTE_PGM_RSRC2:TGID_Z_EN: 0
; COMPUTE_PGM_RSRC2:TIDIG_COMP_CNT: 0
; COMPUTE_PGM_RSRC3_GFX90A:ACCUM_OFFSET: 18
; COMPUTE_PGM_RSRC3_GFX90A:TG_SPLIT: 0
	.section	.text._ZN9rocsparseL19gebsrmvn_2xn_kernelILj128ELj11ELj64E21rocsparse_complex_numIfEEEvi20rocsparse_direction_NS_24const_host_device_scalarIT2_EEPKiS8_PKS5_SA_S6_PS5_21rocsparse_index_base_b,"axG",@progbits,_ZN9rocsparseL19gebsrmvn_2xn_kernelILj128ELj11ELj64E21rocsparse_complex_numIfEEEvi20rocsparse_direction_NS_24const_host_device_scalarIT2_EEPKiS8_PKS5_SA_S6_PS5_21rocsparse_index_base_b,comdat
	.globl	_ZN9rocsparseL19gebsrmvn_2xn_kernelILj128ELj11ELj64E21rocsparse_complex_numIfEEEvi20rocsparse_direction_NS_24const_host_device_scalarIT2_EEPKiS8_PKS5_SA_S6_PS5_21rocsparse_index_base_b ; -- Begin function _ZN9rocsparseL19gebsrmvn_2xn_kernelILj128ELj11ELj64E21rocsparse_complex_numIfEEEvi20rocsparse_direction_NS_24const_host_device_scalarIT2_EEPKiS8_PKS5_SA_S6_PS5_21rocsparse_index_base_b
	.p2align	8
	.type	_ZN9rocsparseL19gebsrmvn_2xn_kernelILj128ELj11ELj64E21rocsparse_complex_numIfEEEvi20rocsparse_direction_NS_24const_host_device_scalarIT2_EEPKiS8_PKS5_SA_S6_PS5_21rocsparse_index_base_b,@function
_ZN9rocsparseL19gebsrmvn_2xn_kernelILj128ELj11ELj64E21rocsparse_complex_numIfEEEvi20rocsparse_direction_NS_24const_host_device_scalarIT2_EEPKiS8_PKS5_SA_S6_PS5_21rocsparse_index_base_b: ; @_ZN9rocsparseL19gebsrmvn_2xn_kernelILj128ELj11ELj64E21rocsparse_complex_numIfEEEvi20rocsparse_direction_NS_24const_host_device_scalarIT2_EEPKiS8_PKS5_SA_S6_PS5_21rocsparse_index_base_b
; %bb.0:
	s_load_dwordx2 s[12:13], s[0:1], 0x40
	s_load_dwordx2 s[8:9], s[0:1], 0x8
	;; [unrolled: 1-line block ×3, first 2 shown]
	s_waitcnt lgkmcnt(0)
	s_bitcmp1_b32 s13, 0
	s_cselect_b64 s[4:5], -1, 0
	s_xor_b64 s[10:11], s[4:5], -1
	s_and_b64 vcc, exec, s[4:5]
	v_mov_b32_e32 v2, s8
	s_cbranch_vccnz .LBB201_2
; %bb.1:
	v_mov_b64_e32 v[2:3], s[8:9]
	flat_load_dword v2, v[2:3]
.LBB201_2:
	v_cndmask_b32_e64 v1, 0, 1, s[10:11]
	v_cmp_ne_u32_e64 s[4:5], 1, v1
	s_andn2_b64 vcc, exec, s[10:11]
	v_mov_b32_e32 v3, s9
	s_cbranch_vccz .LBB201_16
; %bb.3:
	s_and_b64 vcc, exec, s[4:5]
	v_mov_b32_e32 v4, s6
	s_cbranch_vccz .LBB201_17
.LBB201_4:
	s_and_b64 vcc, exec, s[4:5]
	v_mov_b32_e32 v5, s7
	s_cbranch_vccnz .LBB201_6
.LBB201_5:
	v_mov_b64_e32 v[6:7], s[6:7]
	flat_load_dword v5, v[6:7] offset:4
.LBB201_6:
	s_waitcnt vmcnt(0) lgkmcnt(0)
	v_and_b32_e32 v1, 0x7fffffff, v2
	v_cmp_eq_u32_e32 vcc, 0, v1
	v_cmp_eq_f32_e64 s[4:5], 0, v3
	s_and_b64 s[8:9], vcc, s[4:5]
	s_mov_b64 s[4:5], -1
	s_and_saveexec_b64 s[6:7], s[8:9]
; %bb.7:
	v_and_b32_e32 v1, 0x7fffffff, v5
	v_cmp_neq_f32_e32 vcc, 1.0, v4
	v_cmp_ne_u32_e64 s[4:5], 0, v1
	s_or_b64 s[4:5], vcc, s[4:5]
	s_orn2_b64 s[4:5], s[4:5], exec
; %bb.8:
	s_or_b64 exec, exec, s[6:7]
	s_and_saveexec_b64 s[6:7], s[4:5]
	s_cbranch_execz .LBB201_29
; %bb.9:
	s_load_dwordx2 s[14:15], s[0:1], 0x0
	v_lshrrev_b32_e32 v1, 6, v0
	v_lshl_or_b32 v6, s2, 1, v1
	s_waitcnt lgkmcnt(0)
	v_cmp_gt_i32_e32 vcc, s14, v6
	s_and_b64 exec, exec, vcc
	s_cbranch_execz .LBB201_29
; %bb.10:
	s_load_dwordx8 s[4:11], s[0:1], 0x10
	v_ashrrev_i32_e32 v7, 31, v6
	s_cmp_lg_u32 s15, 0
	s_waitcnt lgkmcnt(0)
	v_lshl_add_u64 v[8:9], v[6:7], 2, s[4:5]
	global_load_dwordx2 v[8:9], v[8:9], off
	v_and_b32_e32 v7, 63, v0
	s_waitcnt vmcnt(0)
	v_subrev_u32_e32 v0, s12, v8
	v_subrev_u32_e32 v22, s12, v9
	v_add_u32_e32 v0, v0, v7
	v_cmp_lt_i32_e64 s[2:3], v0, v22
	s_cbranch_scc0 .LBB201_18
; %bb.11:
	v_mov_b32_e32 v11, 0
	v_mov_b32_e32 v10, v11
	v_mov_b32_e32 v9, v11
	v_mov_b32_e32 v8, v11
	s_and_saveexec_b64 s[4:5], s[2:3]
	s_cbranch_execz .LBB201_15
; %bb.12:
	v_mov_b32_e32 v13, 0
	v_mul_lo_u32 v12, v0, 22
	s_mov_b64 s[14:15], 0
	v_mov_b32_e32 v14, v0
	v_mov_b32_e32 v8, v13
	;; [unrolled: 1-line block ×5, first 2 shown]
.LBB201_13:                             ; =>This Inner Loop Header: Depth=1
	v_ashrrev_i32_e32 v15, 31, v14
	v_lshl_add_u64 v[58:59], v[14:15], 2, s[6:7]
	global_load_dword v1, v[58:59], off
	v_mov_b32_e32 v17, v13
	v_lshl_add_u64 v[24:25], v[12:13], 3, s[8:9]
	global_load_dwordx4 v[24:27], v[24:25], off
	v_mov_b32_e32 v31, v13
	v_add_u32_e32 v28, 2, v12
	v_mov_b32_e32 v29, v13
	v_add_u32_e32 v32, 4, v12
	v_mov_b32_e32 v33, v13
	v_mov_b32_e32 v35, v13
	v_add_u32_e32 v36, 6, v12
	v_mov_b32_e32 v37, v13
	;; [unrolled: 3-line block ×3, first 2 shown]
	v_add_u32_e32 v40, 10, v12
	v_mov_b32_e32 v41, v13
	v_add_u32_e32 v42, 12, v12
	v_mov_b32_e32 v43, v13
	;; [unrolled: 2-line block ×4, first 2 shown]
	v_mov_b32_e32 v19, v13
	v_add_u32_e32 v56, 18, v12
	v_mov_b32_e32 v57, v13
	v_mov_b32_e32 v49, v13
	;; [unrolled: 1-line block ×6, first 2 shown]
	v_lshl_add_u64 v[56:57], v[56:57], 3, s[8:9]
	v_add_u32_e32 v14, 64, v14
	v_cmp_ge_i32_e32 vcc, v14, v22
	s_or_b64 s[14:15], vcc, s[14:15]
	s_waitcnt vmcnt(1)
	v_subrev_u32_e32 v1, s12, v1
	v_mul_lo_u32 v16, v1, 11
	v_lshl_add_u64 v[60:61], v[16:17], 3, s[10:11]
	global_load_dwordx2 v[60:61], v[60:61], off
	v_add_u32_e32 v30, 1, v16
	v_lshl_add_u64 v[30:31], v[30:31], 3, s[10:11]
	global_load_dwordx2 v[30:31], v[30:31], off
	s_waitcnt vmcnt(2)
	v_xor_b32_e32 v58, 0x80000000, v27
	v_mov_b32_e32 v59, v26
	v_add_u32_e32 v34, 2, v16
	v_add_u32_e32 v20, 3, v16
	v_lshl_add_u64 v[20:21], v[20:21], 3, s[10:11]
	v_add_u32_e32 v18, 4, v16
	v_add_u32_e32 v48, 5, v16
	;; [unrolled: 1-line block ×7, first 2 shown]
	v_lshl_add_u64 v[18:19], v[18:19], 3, s[10:11]
	v_lshl_add_u64 v[48:49], v[48:49], 3, s[10:11]
	v_lshl_add_u64 v[50:51], v[50:51], 3, s[10:11]
	v_lshl_add_u64 v[52:53], v[52:53], 3, s[10:11]
	v_lshl_add_u64 v[54:55], v[54:55], 3, s[10:11]
	v_lshl_add_u64 v[16:17], v[16:17], 3, s[10:11]
	s_waitcnt vmcnt(1)
	v_pk_fma_f32 v[10:11], v[24:25], v[60:61], v[10:11] op_sel_hi:[1,0,1]
	v_pk_fma_f32 v[8:9], v[26:27], v[60:61], v[8:9] op_sel_hi:[1,0,1]
	v_pk_fma_f32 v[24:25], v[24:25], v[60:61], v[10:11] op_sel:[1,1,0] op_sel_hi:[0,1,1] neg_lo:[1,0,0]
	v_lshl_add_u64 v[10:11], v[28:29], 3, s[8:9]
	v_pk_fma_f32 v[28:29], v[58:59], v[60:61], v[8:9] op_sel:[0,1,0]
	global_load_dwordx4 v[8:11], v[10:11], off
	v_add_u32_e32 v26, 20, v12
	v_mov_b32_e32 v27, v13
	v_lshl_add_u64 v[64:65], v[26:27], 3, s[8:9]
	v_add_u32_e32 v12, 0x580, v12
	s_waitcnt vmcnt(0)
	v_xor_b32_e32 v58, 0x80000000, v11
	v_mov_b32_e32 v59, v10
	v_pk_fma_f32 v[24:25], v[8:9], v[30:31], v[24:25] op_sel_hi:[1,0,1]
	v_pk_fma_f32 v[28:29], v[10:11], v[30:31], v[28:29] op_sel_hi:[1,0,1]
	v_pk_fma_f32 v[60:61], v[8:9], v[30:31], v[24:25] op_sel:[1,1,0] op_sel_hi:[0,1,1] neg_lo:[1,0,0]
	v_lshl_add_u64 v[8:9], v[32:33], 3, s[8:9]
	v_pk_fma_f32 v[28:29], v[58:59], v[30:31], v[28:29] op_sel:[0,1,0]
	v_lshl_add_u64 v[30:31], v[34:35], 3, s[10:11]
	global_load_dwordx4 v[8:11], v[8:9], off
	v_lshl_add_u64 v[24:25], v[36:37], 3, s[8:9]
	global_load_dwordx4 v[24:27], v[24:25], off
	v_lshl_add_u64 v[32:33], v[38:39], 3, s[8:9]
	global_load_dwordx2 v[34:35], v[30:31], off
	v_lshl_add_u64 v[36:37], v[40:41], 3, s[8:9]
	v_lshl_add_u64 v[38:39], v[42:43], 3, s[8:9]
	;; [unrolled: 1-line block ×4, first 2 shown]
	s_waitcnt vmcnt(2)
	v_xor_b32_e32 v44, 0x80000000, v11
	v_mov_b32_e32 v45, v10
	s_waitcnt vmcnt(0)
	v_pk_fma_f32 v[30:31], v[8:9], v[34:35], v[60:61] op_sel_hi:[1,0,1]
	v_pk_fma_f32 v[46:47], v[10:11], v[34:35], v[28:29] op_sel_hi:[1,0,1]
	v_pk_fma_f32 v[58:59], v[8:9], v[34:35], v[30:31] op_sel:[1,1,0] op_sel_hi:[0,1,1] neg_lo:[1,0,0]
	global_load_dwordx4 v[8:11], v[32:33], off
	global_load_dwordx4 v[28:31], v[36:37], off
	v_pk_fma_f32 v[36:37], v[44:45], v[34:35], v[46:47] op_sel:[0,1,0]
	global_load_dwordx2 v[20:21], v[20:21], off
	v_xor_b32_e32 v44, 0x80000000, v27
	global_load_dwordx4 v[32:35], v[38:39], off
	v_mov_b32_e32 v45, v26
	s_waitcnt vmcnt(1)
	v_pk_fma_f32 v[38:39], v[24:25], v[20:21], v[58:59] op_sel_hi:[1,0,1]
	v_pk_fma_f32 v[46:47], v[26:27], v[20:21], v[36:37] op_sel_hi:[1,0,1]
	v_pk_fma_f32 v[58:59], v[24:25], v[20:21], v[38:39] op_sel:[1,1,0] op_sel_hi:[0,1,1] neg_lo:[1,0,0]
	global_load_dwordx4 v[24:27], v[40:41], off
	global_load_dwordx4 v[36:39], v[42:43], off
	v_pk_fma_f32 v[20:21], v[44:45], v[20:21], v[46:47] op_sel:[0,1,0]
	global_load_dwordx4 v[40:43], v[56:57], off
	global_load_dwordx4 v[44:47], v[64:65], off
	v_lshl_add_u64 v[56:57], v[62:63], 3, s[10:11]
	global_load_dwordx2 v[60:61], v[18:19], off
	global_load_dwordx2 v[62:63], v[48:49], off
	;; [unrolled: 1-line block ×7, first 2 shown]
	v_xor_b32_e32 v16, 0x80000000, v11
	v_mov_b32_e32 v17, v10
	s_waitcnt vmcnt(6)
	v_pk_fma_f32 v[18:19], v[8:9], v[60:61], v[58:59] op_sel_hi:[1,0,1]
	v_pk_fma_f32 v[10:11], v[10:11], v[60:61], v[20:21] op_sel_hi:[1,0,1]
	v_pk_fma_f32 v[8:9], v[8:9], v[60:61], v[18:19] op_sel:[1,1,0] op_sel_hi:[0,1,1] neg_lo:[1,0,0]
	v_pk_fma_f32 v[10:11], v[16:17], v[60:61], v[10:11] op_sel:[0,1,0]
	v_xor_b32_e32 v18, 0x80000000, v31
	v_mov_b32_e32 v19, v30
	s_waitcnt vmcnt(5)
	v_pk_fma_f32 v[8:9], v[28:29], v[62:63], v[8:9] op_sel_hi:[1,0,1]
	v_pk_fma_f32 v[10:11], v[30:31], v[62:63], v[10:11] op_sel_hi:[1,0,1]
	v_pk_fma_f32 v[8:9], v[28:29], v[62:63], v[8:9] op_sel:[1,1,0] op_sel_hi:[0,1,1] neg_lo:[1,0,0]
	v_pk_fma_f32 v[10:11], v[18:19], v[62:63], v[10:11] op_sel:[0,1,0]
	;; [unrolled: 7-line block ×7, first 2 shown]
	s_andn2_b64 exec, exec, s[14:15]
	s_cbranch_execnz .LBB201_13
; %bb.14:
	s_or_b64 exec, exec, s[14:15]
.LBB201_15:
	s_or_b64 exec, exec, s[4:5]
	s_cbranch_execz .LBB201_19
	s_branch .LBB201_24
.LBB201_16:
	v_mov_b64_e32 v[4:5], s[8:9]
	flat_load_dword v3, v[4:5] offset:4
	s_and_b64 vcc, exec, s[4:5]
	v_mov_b32_e32 v4, s6
	s_cbranch_vccnz .LBB201_4
.LBB201_17:
	v_mov_b64_e32 v[4:5], s[6:7]
	flat_load_dword v4, v[4:5]
	s_and_b64 vcc, exec, s[4:5]
	v_mov_b32_e32 v5, s7
	s_cbranch_vccz .LBB201_5
	s_branch .LBB201_6
.LBB201_18:
                                        ; implicit-def: $vgpr11
                                        ; implicit-def: $vgpr9
.LBB201_19:
	v_mov_b32_e32 v11, 0
	v_mov_b32_e32 v10, v11
	;; [unrolled: 1-line block ×4, first 2 shown]
	s_and_saveexec_b64 s[4:5], s[2:3]
	s_cbranch_execz .LBB201_23
; %bb.20:
	v_mad_u64_u32 v[12:13], s[2:3], v0, 22, 21
	v_mov_b32_e32 v15, 0
	s_mov_b64 s[2:3], 0
	v_mov_b32_e32 v8, v15
	v_mov_b32_e32 v9, v15
	v_mov_b32_e32 v10, v15
	v_mov_b32_e32 v11, v15
.LBB201_21:                             ; =>This Inner Loop Header: Depth=1
	v_ashrrev_i32_e32 v1, 31, v0
	v_subrev_u32_e32 v14, 21, v12
	v_add_u32_e32 v18, -10, v12
	v_mov_b32_e32 v19, v15
	v_mov_b32_e32 v13, v15
	v_lshl_add_u64 v[24:25], v[0:1], 2, s[6:7]
	v_lshl_add_u64 v[26:27], v[14:15], 3, s[8:9]
	;; [unrolled: 1-line block ×4, first 2 shown]
	global_load_dword v1, v[24:25], off
	global_load_dwordx4 v[18:21], v[26:27], off
	global_load_dwordx2 v[32:33], v[28:29], off
	global_load_dwordx2 v[34:35], v[30:31], off
	v_mov_b32_e32 v17, v15
	v_add_u32_e32 v0, 64, v0
	v_cmp_ge_i32_e32 vcc, v0, v22
	s_or_b64 s[2:3], vcc, s[2:3]
	s_waitcnt vmcnt(3)
	v_subrev_u32_e32 v1, s12, v1
	v_mul_lo_u32 v16, v1, 11
	v_lshl_add_u64 v[26:27], v[16:17], 3, s[10:11]
	global_load_dwordx2 v[26:27], v[26:27], off
	v_add_u32_e32 v14, 1, v16
	v_lshl_add_u64 v[28:29], v[14:15], 3, s[10:11]
	global_load_dwordx2 v[28:29], v[28:29], off
	v_add_u32_e32 v14, -9, v12
	v_lshl_add_u64 v[30:31], v[14:15], 3, s[8:9]
	v_subrev_u32_e32 v14, 19, v12
	global_load_dwordx2 v[30:31], v[30:31], off
	v_lshl_add_u64 v[36:37], v[14:15], 3, s[8:9]
	v_add_u32_e32 v14, 2, v16
	v_lshl_add_u64 v[38:39], v[14:15], 3, s[10:11]
	v_add_u32_e32 v14, -8, v12
	global_load_dwordx2 v[36:37], v[36:37], off
	v_lshl_add_u64 v[40:41], v[14:15], 3, s[8:9]
	global_load_dwordx2 v[38:39], v[38:39], off
	v_subrev_u32_e32 v14, 18, v12
	global_load_dwordx2 v[40:41], v[40:41], off
	v_lshl_add_u64 v[42:43], v[14:15], 3, s[8:9]
	v_add_u32_e32 v14, 3, v16
	v_lshl_add_u64 v[44:45], v[14:15], 3, s[10:11]
	v_add_u32_e32 v14, -7, v12
	v_lshl_add_u64 v[46:47], v[14:15], 3, s[8:9]
	v_subrev_u32_e32 v14, 17, v12
	v_lshl_add_u64 v[48:49], v[14:15], 3, s[8:9]
	v_add_u32_e32 v14, 4, v16
	v_lshl_add_u64 v[50:51], v[14:15], 3, s[10:11]
	v_add_u32_e32 v14, -6, v12
	v_lshl_add_u64 v[52:53], v[14:15], 3, s[8:9]
	v_add_u32_e32 v14, -16, v12
	v_lshl_add_u64 v[54:55], v[14:15], 3, s[8:9]
	v_add_u32_e32 v14, 5, v16
	v_lshl_add_u64 v[56:57], v[14:15], 3, s[10:11]
	v_add_u32_e32 v14, -5, v12
	v_lshl_add_u64 v[58:59], v[14:15], 3, s[8:9]
	v_add_u32_e32 v14, -15, v12
	global_load_dwordx2 v[42:43], v[42:43], off
	v_lshl_add_u64 v[60:61], v[14:15], 3, s[8:9]
	global_load_dwordx2 v[44:45], v[44:45], off
	v_add_u32_e32 v14, 6, v16
	global_load_dwordx2 v[46:47], v[46:47], off
	v_lshl_add_u64 v[62:63], v[14:15], 3, s[10:11]
	global_load_dwordx2 v[48:49], v[48:49], off
	v_add_u32_e32 v14, -4, v12
	global_load_dwordx2 v[50:51], v[50:51], off
	v_lshl_add_u64 v[64:65], v[14:15], 3, s[8:9]
	global_load_dwordx2 v[52:53], v[52:53], off
	v_add_u32_e32 v14, -14, v12
	global_load_dwordx2 v[54:55], v[54:55], off
	s_waitcnt vmcnt(15)
	v_xor_b32_e32 v24, 0x80000000, v21
	global_load_dwordx2 v[56:57], v[56:57], off
	v_mov_b32_e32 v25, v20
	global_load_dwordx2 v[58:59], v[58:59], off
	s_waitcnt vmcnt(14)
	v_pk_fma_f32 v[8:9], v[32:33], v[26:27], v[8:9] op_sel_hi:[1,0,1]
	global_load_dwordx2 v[60:61], v[60:61], off
	v_pk_fma_f32 v[8:9], v[32:33], v[26:27], v[8:9] op_sel:[1,1,0] op_sel_hi:[0,1,1] neg_lo:[1,0,0]
	v_lshl_add_u64 v[32:33], v[14:15], 3, s[8:9]
	v_add_u32_e32 v14, 7, v16
	v_pk_fma_f32 v[10:11], v[18:19], v[26:27], v[10:11] op_sel_hi:[1,0,1]
	global_load_dwordx2 v[62:63], v[62:63], off
	v_pk_fma_f32 v[10:11], v[18:19], v[26:27], v[10:11] op_sel:[1,1,0] op_sel_hi:[0,1,1] neg_lo:[1,0,0]
	v_lshl_add_u64 v[18:19], v[14:15], 3, s[10:11]
	v_add_u32_e32 v14, -3, v12
	s_waitcnt vmcnt(15)
	v_pk_fma_f32 v[10:11], v[20:21], v[28:29], v[10:11] op_sel_hi:[1,0,1]
	v_lshl_add_u64 v[20:21], v[14:15], 3, s[8:9]
	v_add_u32_e32 v14, -13, v12
	global_load_dwordx2 v[64:65], v[64:65], off
	v_pk_fma_f32 v[10:11], v[24:25], v[28:29], v[10:11] op_sel:[0,1,0]
	global_load_dwordx2 v[26:27], v[32:33], off
	v_lshl_add_u64 v[32:33], v[14:15], 3, s[8:9]
	v_add_u32_e32 v14, 8, v16
	v_lshl_add_u64 v[24:25], v[14:15], 3, s[10:11]
	v_add_u32_e32 v14, -2, v12
	s_waitcnt vmcnt(16)
	v_pk_fma_f32 v[8:9], v[30:31], v[28:29], v[8:9] op_sel_hi:[1,0,1]
	global_load_dwordx2 v[18:19], v[18:19], off
	v_pk_fma_f32 v[8:9], v[30:31], v[28:29], v[8:9] op_sel:[1,1,0] op_sel_hi:[0,1,1] neg_lo:[1,0,0]
	global_load_dwordx2 v[20:21], v[20:21], off
	v_lshl_add_u64 v[28:29], v[14:15], 3, s[8:9]
	v_add_u32_e32 v14, -12, v12
	v_lshl_add_u64 v[30:31], v[14:15], 3, s[8:9]
	v_add_u32_e32 v14, 9, v16
	s_waitcnt vmcnt(16)
	v_pk_fma_f32 v[10:11], v[36:37], v[38:39], v[10:11] op_sel_hi:[1,0,1]
	global_load_dwordx2 v[32:33], v[32:33], off
	v_pk_fma_f32 v[10:11], v[36:37], v[38:39], v[10:11] op_sel:[1,1,0] op_sel_hi:[0,1,1] neg_lo:[1,0,0]
	global_load_dwordx2 v[30:31], v[30:31], off
	v_lshl_add_u64 v[36:37], v[14:15], 3, s[10:11]
	global_load_dwordx2 v[24:25], v[24:25], off
	v_add_u32_e32 v14, -1, v12
	global_load_dwordx2 v[28:29], v[28:29], off
	s_waitcnt vmcnt(19)
	v_pk_fma_f32 v[8:9], v[40:41], v[38:39], v[8:9] op_sel_hi:[1,0,1]
	global_load_dwordx2 v[36:37], v[36:37], off
	v_pk_fma_f32 v[8:9], v[40:41], v[38:39], v[8:9] op_sel:[1,1,0] op_sel_hi:[0,1,1] neg_lo:[1,0,0]
	v_lshl_add_u64 v[38:39], v[14:15], 3, s[8:9]
	v_add_u32_e32 v14, -11, v12
	v_lshl_add_u64 v[40:41], v[14:15], 3, s[8:9]
	v_add_u32_e32 v14, 10, v16
	global_load_dwordx2 v[16:17], v[38:39], off
	v_lshl_add_u64 v[38:39], v[14:15], 3, s[10:11]
	global_load_dwordx2 v[66:67], v[40:41], off
	global_load_dwordx2 v[68:69], v[38:39], off
	s_waitcnt vmcnt(21)
	v_pk_fma_f32 v[10:11], v[42:43], v[44:45], v[10:11] op_sel_hi:[1,0,1]
	s_waitcnt vmcnt(20)
	v_pk_fma_f32 v[8:9], v[46:47], v[44:45], v[8:9] op_sel_hi:[1,0,1]
	v_pk_fma_f32 v[10:11], v[42:43], v[44:45], v[10:11] op_sel:[1,1,0] op_sel_hi:[0,1,1] neg_lo:[1,0,0]
	v_pk_fma_f32 v[8:9], v[46:47], v[44:45], v[8:9] op_sel:[1,1,0] op_sel_hi:[0,1,1] neg_lo:[1,0,0]
	s_waitcnt vmcnt(18)
	v_pk_fma_f32 v[10:11], v[48:49], v[50:51], v[10:11] op_sel_hi:[1,0,1]
	s_waitcnt vmcnt(17)
	v_pk_fma_f32 v[8:9], v[52:53], v[50:51], v[8:9] op_sel_hi:[1,0,1]
	v_pk_fma_f32 v[10:11], v[48:49], v[50:51], v[10:11] op_sel:[1,1,0] op_sel_hi:[0,1,1] neg_lo:[1,0,0]
	v_pk_fma_f32 v[8:9], v[52:53], v[50:51], v[8:9] op_sel:[1,1,0] op_sel_hi:[0,1,1] neg_lo:[1,0,0]
	;; [unrolled: 6-line block ×3, first 2 shown]
	v_add_u32_e32 v12, 0x580, v12
	s_waitcnt vmcnt(12)
	v_pk_fma_f32 v[10:11], v[60:61], v[62:63], v[10:11] op_sel_hi:[1,0,1]
	s_nop 0
	v_pk_fma_f32 v[10:11], v[60:61], v[62:63], v[10:11] op_sel:[1,1,0] op_sel_hi:[0,1,1] neg_lo:[1,0,0]
	s_waitcnt vmcnt(11)
	v_pk_fma_f32 v[8:9], v[64:65], v[62:63], v[8:9] op_sel_hi:[1,0,1]
	s_nop 0
	v_pk_fma_f32 v[8:9], v[64:65], v[62:63], v[8:9] op_sel:[1,1,0] op_sel_hi:[0,1,1] neg_lo:[1,0,0]
	s_waitcnt vmcnt(9)
	v_pk_fma_f32 v[10:11], v[26:27], v[18:19], v[10:11] op_sel_hi:[1,0,1]
	s_nop 0
	v_pk_fma_f32 v[10:11], v[26:27], v[18:19], v[10:11] op_sel:[1,1,0] op_sel_hi:[0,1,1] neg_lo:[1,0,0]
	s_waitcnt vmcnt(8)
	v_pk_fma_f32 v[8:9], v[20:21], v[18:19], v[8:9] op_sel_hi:[1,0,1]
	s_waitcnt vmcnt(5)
	v_pk_fma_f32 v[10:11], v[32:33], v[24:25], v[10:11] op_sel_hi:[1,0,1]
	v_pk_fma_f32 v[8:9], v[20:21], v[18:19], v[8:9] op_sel:[1,1,0] op_sel_hi:[0,1,1] neg_lo:[1,0,0]
	s_waitcnt vmcnt(4)
	v_pk_fma_f32 v[8:9], v[28:29], v[24:25], v[8:9] op_sel_hi:[1,0,1]
	v_pk_fma_f32 v[10:11], v[32:33], v[24:25], v[10:11] op_sel:[1,1,0] op_sel_hi:[0,1,1] neg_lo:[1,0,0]
	v_pk_fma_f32 v[8:9], v[28:29], v[24:25], v[8:9] op_sel:[1,1,0] op_sel_hi:[0,1,1] neg_lo:[1,0,0]
	s_waitcnt vmcnt(3)
	v_pk_fma_f32 v[10:11], v[30:31], v[36:37], v[10:11] op_sel_hi:[1,0,1]
	s_waitcnt vmcnt(2)
	v_pk_fma_f32 v[8:9], v[16:17], v[36:37], v[8:9] op_sel_hi:[1,0,1]
	v_pk_fma_f32 v[10:11], v[30:31], v[36:37], v[10:11] op_sel:[1,1,0] op_sel_hi:[0,1,1] neg_lo:[1,0,0]
	v_pk_fma_f32 v[8:9], v[16:17], v[36:37], v[8:9] op_sel:[1,1,0] op_sel_hi:[0,1,1] neg_lo:[1,0,0]
	s_waitcnt vmcnt(0)
	v_pk_fma_f32 v[10:11], v[66:67], v[68:69], v[10:11] op_sel_hi:[1,0,1]
	v_pk_fma_f32 v[8:9], v[34:35], v[68:69], v[8:9] op_sel_hi:[1,0,1]
	v_pk_fma_f32 v[10:11], v[66:67], v[68:69], v[10:11] op_sel:[1,1,0] op_sel_hi:[0,1,1] neg_lo:[1,0,0]
	v_pk_fma_f32 v[8:9], v[34:35], v[68:69], v[8:9] op_sel:[1,1,0] op_sel_hi:[0,1,1] neg_lo:[1,0,0]
	s_andn2_b64 exec, exec, s[2:3]
	s_cbranch_execnz .LBB201_21
; %bb.22:
	s_or_b64 exec, exec, s[2:3]
.LBB201_23:
	s_or_b64 exec, exec, s[4:5]
.LBB201_24:
	v_mov_b32_dpp v12, v8 row_shr:1 row_mask:0xf bank_mask:0xf
	v_add_f32_e32 v8, v8, v12
	v_mov_b32_dpp v0, v10 row_shr:1 row_mask:0xf bank_mask:0xf
	v_add_f32_e32 v0, v10, v0
	;; [unrolled: 2-line block ×5, first 2 shown]
	v_mov_b32_dpp v1, v0 row_shr:2 row_mask:0xf bank_mask:0xf
	v_mov_b32_dpp v11, v10 row_shr:2 row_mask:0xf bank_mask:0xf
	;; [unrolled: 1-line block ×3, first 2 shown]
	v_add_f32_e32 v8, v8, v12
	v_add_f32_e32 v0, v0, v1
	;; [unrolled: 1-line block ×3, first 2 shown]
	v_mov_b32_dpp v12, v8 row_bcast:15 row_mask:0xa bank_mask:0xf
	v_add_f32_e32 v13, v8, v12
	v_mov_b32_dpp v8, v9 row_shr:1 row_mask:0xf bank_mask:0xf
	v_add_f32_e32 v8, v9, v8
	v_mov_b32_dpp v1, v0 row_shr:4 row_mask:0xf bank_mask:0xe
	v_mov_b32_dpp v11, v10 row_shr:4 row_mask:0xf bank_mask:0xe
	;; [unrolled: 1-line block ×3, first 2 shown]
	v_add_f32_e32 v8, v8, v9
	v_add_f32_e32 v0, v0, v1
	;; [unrolled: 1-line block ×3, first 2 shown]
	v_mov_b32_dpp v9, v8 row_shr:4 row_mask:0xf bank_mask:0xe
	v_add_f32_e32 v8, v8, v9
	v_mov_b32_dpp v1, v0 row_shr:8 row_mask:0xf bank_mask:0xc
	v_mov_b32_dpp v11, v10 row_shr:8 row_mask:0xf bank_mask:0xc
	;; [unrolled: 1-line block ×3, first 2 shown]
	v_add_f32_e32 v0, v0, v1
	v_add_f32_e32 v10, v10, v11
	;; [unrolled: 1-line block ×3, first 2 shown]
	v_mov_b32_dpp v1, v0 row_bcast:15 row_mask:0xa bank_mask:0xf
	v_mov_b32_dpp v11, v10 row_bcast:15 row_mask:0xa bank_mask:0xf
	;; [unrolled: 1-line block ×3, first 2 shown]
	v_add_f32_e32 v0, v0, v1
	v_add_f32_e32 v10, v10, v11
	;; [unrolled: 1-line block ×3, first 2 shown]
	v_mov_b32_dpp v1, v0 row_bcast:31 row_mask:0xc bank_mask:0xf
	v_mov_b32_dpp v11, v10 row_bcast:31 row_mask:0xc bank_mask:0xf
	;; [unrolled: 1-line block ×4, first 2 shown]
	v_cmp_eq_u32_e32 vcc, 63, v7
	s_and_b64 exec, exec, vcc
	s_cbranch_execz .LBB201_29
; %bb.25:
	s_load_dwordx2 s[2:3], s[0:1], 0x38
	v_add_f32_e32 v8, v0, v1
	v_and_b32_e32 v1, 0x7fffffff, v4
	v_cmp_eq_u32_e32 vcc, 0, v1
	v_cmp_eq_f32_e64 s[0:1], 0, v5
	v_add_f32_e32 v12, v10, v11
	v_add_f32_e32 v0, v13, v14
	;; [unrolled: 1-line block ×3, first 2 shown]
	s_and_b64 s[0:1], vcc, s[0:1]
	s_and_saveexec_b64 s[4:5], s[0:1]
	s_xor_b64 s[0:1], exec, s[4:5]
	s_cbranch_execz .LBB201_27
; %bb.26:
	v_lshlrev_b32_e32 v4, 1, v6
	v_xor_b32_e32 v14, 0x80000000, v3
	v_ashrrev_i32_e32 v5, 31, v4
	v_mov_b32_e32 v15, v2
	s_waitcnt lgkmcnt(0)
	v_lshl_add_u64 v[16:17], v[4:5], 3, s[2:3]
	v_pk_mul_f32 v[4:5], v[12:13], v[14:15] op_sel_hi:[0,1]
	v_pk_mul_f32 v[6:7], v[10:11], v[14:15] op_sel_hi:[0,1]
	v_pk_fma_f32 v[4:5], v[2:3], v[8:9], v[4:5] op_sel_hi:[1,0,1]
	v_pk_fma_f32 v[6:7], v[2:3], v[0:1], v[6:7] op_sel_hi:[1,0,1]
	global_store_dwordx4 v[16:17], v[4:7], off
                                        ; implicit-def: $vgpr3
                                        ; implicit-def: $vgpr4
                                        ; implicit-def: $vgpr6
                                        ; implicit-def: $vgpr8
                                        ; implicit-def: $vgpr12
                                        ; implicit-def: $vgpr0
                                        ; implicit-def: $vgpr10
.LBB201_27:
	s_andn2_saveexec_b64 s[0:1], s[0:1]
	s_cbranch_execz .LBB201_29
; %bb.28:
	v_lshlrev_b32_e32 v6, 1, v6
	v_ashrrev_i32_e32 v7, 31, v6
	s_waitcnt lgkmcnt(0)
	v_lshl_add_u64 v[6:7], v[6:7], 3, s[2:3]
	global_load_dwordx4 v[14:17], v[6:7], off
	v_xor_b32_e32 v18, 0x80000000, v3
	v_mov_b32_e32 v19, v2
	v_pk_mul_f32 v[12:13], v[12:13], v[18:19] op_sel_hi:[0,1]
	v_pk_mul_f32 v[10:11], v[10:11], v[18:19] op_sel_hi:[0,1]
	v_pk_fma_f32 v[8:9], v[2:3], v[8:9], v[12:13] op_sel_hi:[1,0,1]
	v_pk_fma_f32 v[0:1], v[2:3], v[0:1], v[10:11] op_sel_hi:[1,0,1]
	v_xor_b32_e32 v20, 0x80000000, v5
	v_mov_b32_e32 v21, v4
	s_waitcnt vmcnt(0)
	v_pk_fma_f32 v[2:3], v[4:5], v[14:15], v[8:9] op_sel_hi:[1,0,1]
	v_pk_fma_f32 v[4:5], v[4:5], v[16:17], v[0:1] op_sel_hi:[1,0,1]
	v_mov_b32_e32 v8, v17
	v_pk_fma_f32 v[0:1], v[20:21], v[14:15], v[2:3] op_sel:[0,1,0]
	v_pk_fma_f32 v[2:3], v[20:21], v[8:9], v[4:5] op_sel_hi:[1,0,1]
	global_store_dwordx4 v[6:7], v[0:3], off
.LBB201_29:
	s_endpgm
	.section	.rodata,"a",@progbits
	.p2align	6, 0x0
	.amdhsa_kernel _ZN9rocsparseL19gebsrmvn_2xn_kernelILj128ELj11ELj64E21rocsparse_complex_numIfEEEvi20rocsparse_direction_NS_24const_host_device_scalarIT2_EEPKiS8_PKS5_SA_S6_PS5_21rocsparse_index_base_b
		.amdhsa_group_segment_fixed_size 0
		.amdhsa_private_segment_fixed_size 0
		.amdhsa_kernarg_size 72
		.amdhsa_user_sgpr_count 2
		.amdhsa_user_sgpr_dispatch_ptr 0
		.amdhsa_user_sgpr_queue_ptr 0
		.amdhsa_user_sgpr_kernarg_segment_ptr 1
		.amdhsa_user_sgpr_dispatch_id 0
		.amdhsa_user_sgpr_kernarg_preload_length 0
		.amdhsa_user_sgpr_kernarg_preload_offset 0
		.amdhsa_user_sgpr_private_segment_size 0
		.amdhsa_uses_dynamic_stack 0
		.amdhsa_enable_private_segment 0
		.amdhsa_system_sgpr_workgroup_id_x 1
		.amdhsa_system_sgpr_workgroup_id_y 0
		.amdhsa_system_sgpr_workgroup_id_z 0
		.amdhsa_system_sgpr_workgroup_info 0
		.amdhsa_system_vgpr_workitem_id 0
		.amdhsa_next_free_vgpr 74
		.amdhsa_next_free_sgpr 16
		.amdhsa_accum_offset 76
		.amdhsa_reserve_vcc 1
		.amdhsa_float_round_mode_32 0
		.amdhsa_float_round_mode_16_64 0
		.amdhsa_float_denorm_mode_32 3
		.amdhsa_float_denorm_mode_16_64 3
		.amdhsa_dx10_clamp 1
		.amdhsa_ieee_mode 1
		.amdhsa_fp16_overflow 0
		.amdhsa_tg_split 0
		.amdhsa_exception_fp_ieee_invalid_op 0
		.amdhsa_exception_fp_denorm_src 0
		.amdhsa_exception_fp_ieee_div_zero 0
		.amdhsa_exception_fp_ieee_overflow 0
		.amdhsa_exception_fp_ieee_underflow 0
		.amdhsa_exception_fp_ieee_inexact 0
		.amdhsa_exception_int_div_zero 0
	.end_amdhsa_kernel
	.section	.text._ZN9rocsparseL19gebsrmvn_2xn_kernelILj128ELj11ELj64E21rocsparse_complex_numIfEEEvi20rocsparse_direction_NS_24const_host_device_scalarIT2_EEPKiS8_PKS5_SA_S6_PS5_21rocsparse_index_base_b,"axG",@progbits,_ZN9rocsparseL19gebsrmvn_2xn_kernelILj128ELj11ELj64E21rocsparse_complex_numIfEEEvi20rocsparse_direction_NS_24const_host_device_scalarIT2_EEPKiS8_PKS5_SA_S6_PS5_21rocsparse_index_base_b,comdat
.Lfunc_end201:
	.size	_ZN9rocsparseL19gebsrmvn_2xn_kernelILj128ELj11ELj64E21rocsparse_complex_numIfEEEvi20rocsparse_direction_NS_24const_host_device_scalarIT2_EEPKiS8_PKS5_SA_S6_PS5_21rocsparse_index_base_b, .Lfunc_end201-_ZN9rocsparseL19gebsrmvn_2xn_kernelILj128ELj11ELj64E21rocsparse_complex_numIfEEEvi20rocsparse_direction_NS_24const_host_device_scalarIT2_EEPKiS8_PKS5_SA_S6_PS5_21rocsparse_index_base_b
                                        ; -- End function
	.section	.AMDGPU.csdata,"",@progbits
; Kernel info:
; codeLenInByte = 3340
; NumSgprs: 22
; NumVgprs: 74
; NumAgprs: 0
; TotalNumVgprs: 74
; ScratchSize: 0
; MemoryBound: 0
; FloatMode: 240
; IeeeMode: 1
; LDSByteSize: 0 bytes/workgroup (compile time only)
; SGPRBlocks: 2
; VGPRBlocks: 9
; NumSGPRsForWavesPerEU: 22
; NumVGPRsForWavesPerEU: 74
; AccumOffset: 76
; Occupancy: 6
; WaveLimiterHint : 1
; COMPUTE_PGM_RSRC2:SCRATCH_EN: 0
; COMPUTE_PGM_RSRC2:USER_SGPR: 2
; COMPUTE_PGM_RSRC2:TRAP_HANDLER: 0
; COMPUTE_PGM_RSRC2:TGID_X_EN: 1
; COMPUTE_PGM_RSRC2:TGID_Y_EN: 0
; COMPUTE_PGM_RSRC2:TGID_Z_EN: 0
; COMPUTE_PGM_RSRC2:TIDIG_COMP_CNT: 0
; COMPUTE_PGM_RSRC3_GFX90A:ACCUM_OFFSET: 18
; COMPUTE_PGM_RSRC3_GFX90A:TG_SPLIT: 0
	.section	.text._ZN9rocsparseL19gebsrmvn_2xn_kernelILj128ELj12ELj4E21rocsparse_complex_numIfEEEvi20rocsparse_direction_NS_24const_host_device_scalarIT2_EEPKiS8_PKS5_SA_S6_PS5_21rocsparse_index_base_b,"axG",@progbits,_ZN9rocsparseL19gebsrmvn_2xn_kernelILj128ELj12ELj4E21rocsparse_complex_numIfEEEvi20rocsparse_direction_NS_24const_host_device_scalarIT2_EEPKiS8_PKS5_SA_S6_PS5_21rocsparse_index_base_b,comdat
	.globl	_ZN9rocsparseL19gebsrmvn_2xn_kernelILj128ELj12ELj4E21rocsparse_complex_numIfEEEvi20rocsparse_direction_NS_24const_host_device_scalarIT2_EEPKiS8_PKS5_SA_S6_PS5_21rocsparse_index_base_b ; -- Begin function _ZN9rocsparseL19gebsrmvn_2xn_kernelILj128ELj12ELj4E21rocsparse_complex_numIfEEEvi20rocsparse_direction_NS_24const_host_device_scalarIT2_EEPKiS8_PKS5_SA_S6_PS5_21rocsparse_index_base_b
	.p2align	8
	.type	_ZN9rocsparseL19gebsrmvn_2xn_kernelILj128ELj12ELj4E21rocsparse_complex_numIfEEEvi20rocsparse_direction_NS_24const_host_device_scalarIT2_EEPKiS8_PKS5_SA_S6_PS5_21rocsparse_index_base_b,@function
_ZN9rocsparseL19gebsrmvn_2xn_kernelILj128ELj12ELj4E21rocsparse_complex_numIfEEEvi20rocsparse_direction_NS_24const_host_device_scalarIT2_EEPKiS8_PKS5_SA_S6_PS5_21rocsparse_index_base_b: ; @_ZN9rocsparseL19gebsrmvn_2xn_kernelILj128ELj12ELj4E21rocsparse_complex_numIfEEEvi20rocsparse_direction_NS_24const_host_device_scalarIT2_EEPKiS8_PKS5_SA_S6_PS5_21rocsparse_index_base_b
; %bb.0:
	s_load_dwordx2 s[12:13], s[0:1], 0x40
	s_load_dwordx2 s[8:9], s[0:1], 0x8
	;; [unrolled: 1-line block ×3, first 2 shown]
	s_waitcnt lgkmcnt(0)
	s_bitcmp1_b32 s13, 0
	s_cselect_b64 s[4:5], -1, 0
	s_xor_b64 s[10:11], s[4:5], -1
	s_and_b64 vcc, exec, s[4:5]
	v_mov_b32_e32 v2, s8
	s_cbranch_vccnz .LBB202_2
; %bb.1:
	v_mov_b64_e32 v[2:3], s[8:9]
	flat_load_dword v2, v[2:3]
.LBB202_2:
	v_cndmask_b32_e64 v1, 0, 1, s[10:11]
	v_cmp_ne_u32_e64 s[4:5], 1, v1
	s_andn2_b64 vcc, exec, s[10:11]
	v_mov_b32_e32 v3, s9
	s_cbranch_vccz .LBB202_16
; %bb.3:
	s_and_b64 vcc, exec, s[4:5]
	v_mov_b32_e32 v4, s6
	s_cbranch_vccz .LBB202_17
.LBB202_4:
	s_and_b64 vcc, exec, s[4:5]
	v_mov_b32_e32 v5, s7
	s_cbranch_vccnz .LBB202_6
.LBB202_5:
	v_mov_b64_e32 v[6:7], s[6:7]
	flat_load_dword v5, v[6:7] offset:4
.LBB202_6:
	s_waitcnt vmcnt(0) lgkmcnt(0)
	v_and_b32_e32 v1, 0x7fffffff, v2
	v_cmp_eq_u32_e32 vcc, 0, v1
	v_cmp_eq_f32_e64 s[4:5], 0, v3
	s_and_b64 s[8:9], vcc, s[4:5]
	s_mov_b64 s[4:5], -1
	s_and_saveexec_b64 s[6:7], s[8:9]
; %bb.7:
	v_and_b32_e32 v1, 0x7fffffff, v5
	v_cmp_neq_f32_e32 vcc, 1.0, v4
	v_cmp_ne_u32_e64 s[4:5], 0, v1
	s_or_b64 s[4:5], vcc, s[4:5]
	s_orn2_b64 s[4:5], s[4:5], exec
; %bb.8:
	s_or_b64 exec, exec, s[6:7]
	s_and_saveexec_b64 s[6:7], s[4:5]
	s_cbranch_execz .LBB202_29
; %bb.9:
	s_load_dwordx2 s[14:15], s[0:1], 0x0
	v_lshrrev_b32_e32 v1, 2, v0
	v_lshl_or_b32 v6, s2, 5, v1
	s_waitcnt lgkmcnt(0)
	v_cmp_gt_i32_e32 vcc, s14, v6
	s_and_b64 exec, exec, vcc
	s_cbranch_execz .LBB202_29
; %bb.10:
	s_load_dwordx8 s[4:11], s[0:1], 0x10
	v_ashrrev_i32_e32 v7, 31, v6
	s_cmp_lg_u32 s15, 0
	s_waitcnt lgkmcnt(0)
	v_lshl_add_u64 v[8:9], v[6:7], 2, s[4:5]
	global_load_dwordx2 v[8:9], v[8:9], off
	v_and_b32_e32 v7, 3, v0
	s_waitcnt vmcnt(0)
	v_subrev_u32_e32 v0, s12, v8
	v_subrev_u32_e32 v18, s12, v9
	v_add_u32_e32 v0, v0, v7
	v_cmp_lt_i32_e64 s[2:3], v0, v18
	s_cbranch_scc0 .LBB202_18
; %bb.11:
	v_mov_b32_e32 v9, 0
	v_mov_b32_e32 v8, v9
	;; [unrolled: 1-line block ×4, first 2 shown]
	s_and_saveexec_b64 s[4:5], s[2:3]
	s_cbranch_execz .LBB202_15
; %bb.12:
	v_mov_b32_e32 v13, 0
	v_mul_lo_u32 v12, v0, 24
	s_mov_b64 s[14:15], 0
	v_mov_b32_e32 v14, v0
	v_mov_b32_e32 v10, v13
	;; [unrolled: 1-line block ×5, first 2 shown]
.LBB202_13:                             ; =>This Inner Loop Header: Depth=1
	v_ashrrev_i32_e32 v15, 31, v14
	v_lshl_add_u64 v[16:17], v[12:13], 3, s[8:9]
	v_add_u32_e32 v36, 8, v12
	v_mov_b32_e32 v37, v13
	v_add_u32_e32 v38, 16, v12
	v_mov_b32_e32 v39, v13
	v_lshl_add_u64 v[66:67], v[14:15], 2, s[6:7]
	global_load_dwordx4 v[20:23], v[16:17], off offset:16
	global_load_dwordx4 v[24:27], v[16:17], off
	global_load_dwordx4 v[28:31], v[16:17], off offset:48
	global_load_dwordx4 v[32:35], v[16:17], off offset:32
	v_lshl_add_u64 v[16:17], v[36:37], 3, s[8:9]
	v_lshl_add_u64 v[76:77], v[38:39], 3, s[8:9]
	global_load_dword v1, v[66:67], off
	global_load_dwordx4 v[36:39], v[16:17], off offset:48
	global_load_dwordx4 v[40:43], v[16:17], off offset:32
	;; [unrolled: 1-line block ×3, first 2 shown]
	global_load_dwordx4 v[48:51], v[16:17], off
	global_load_dwordx4 v[52:55], v[76:77], off offset:32
	global_load_dwordx4 v[56:59], v[76:77], off offset:16
	global_load_dwordx4 v[60:63], v[76:77], off
	v_mov_b32_e32 v65, v13
	v_mov_b32_e32 v73, v13
	;; [unrolled: 1-line block ×3, first 2 shown]
	v_add_u32_e32 v14, 4, v14
	v_cmp_ge_i32_e32 vcc, v14, v18
	v_add_u32_e32 v12, 0x60, v12
	s_or_b64 s[14:15], vcc, s[14:15]
	s_waitcnt vmcnt(7)
	v_subrev_u32_e32 v1, s12, v1
	v_mul_lo_u32 v64, v1, 12
	v_lshl_add_u64 v[80:81], v[64:65], 3, s[10:11]
	v_add_u32_e32 v72, 4, v64
	v_add_u32_e32 v74, 8, v64
	global_load_dwordx4 v[64:67], v[80:81], off
	global_load_dwordx4 v[68:71], v[80:81], off offset:16
	v_lshl_add_u64 v[80:81], v[72:73], 3, s[10:11]
	v_lshl_add_u64 v[82:83], v[74:75], 3, s[10:11]
	global_load_dwordx4 v[72:75], v[80:81], off
	v_xor_b32_e32 v16, 0x80000000, v27
	v_mov_b32_e32 v17, v26
	v_xor_b32_e32 v78, 0x80000000, v23
	v_mov_b32_e32 v79, v22
	s_waitcnt vmcnt(2)
	v_pk_fma_f32 v[8:9], v[24:25], v[64:65], v[8:9] op_sel_hi:[1,0,1]
	v_pk_fma_f32 v[26:27], v[26:27], v[64:65], v[10:11] op_sel_hi:[1,0,1]
	v_pk_fma_f32 v[84:85], v[24:25], v[64:65], v[8:9] op_sel:[1,1,0] op_sel_hi:[0,1,1] neg_lo:[1,0,0]
	global_load_dwordx4 v[8:11], v[80:81], off offset:16
	v_pk_fma_f32 v[16:17], v[16:17], v[64:65], v[26:27] op_sel:[0,1,0]
	global_load_dwordx4 v[24:27], v[82:83], off offset:16
	v_pk_fma_f32 v[80:81], v[20:21], v[66:67], v[84:85] op_sel_hi:[1,0,1]
	v_pk_fma_f32 v[16:17], v[22:23], v[66:67], v[16:17] op_sel_hi:[1,0,1]
	v_mov_b32_e32 v84, v67
	global_load_dwordx4 v[64:67], v[82:83], off
	v_pk_fma_f32 v[80:81], v[20:21], v[84:85], v[80:81] op_sel:[1,0,0] op_sel_hi:[0,0,1] neg_lo:[1,0,0]
	global_load_dwordx4 v[20:23], v[76:77], off offset:48
	v_pk_fma_f32 v[16:17], v[78:79], v[84:85], v[16:17] op_sel_hi:[1,0,1]
	v_xor_b32_e32 v76, 0x80000000, v35
	v_mov_b32_e32 v77, v34
	s_waitcnt vmcnt(5)
	v_pk_fma_f32 v[80:81], v[32:33], v[68:69], v[80:81] op_sel_hi:[1,0,1]
	v_pk_fma_f32 v[16:17], v[34:35], v[68:69], v[16:17] op_sel_hi:[1,0,1]
	v_pk_fma_f32 v[32:33], v[32:33], v[68:69], v[80:81] op_sel:[1,1,0] op_sel_hi:[0,1,1] neg_lo:[1,0,0]
	v_pk_fma_f32 v[16:17], v[76:77], v[68:69], v[16:17] op_sel:[0,1,0]
	v_xor_b32_e32 v78, 0x80000000, v31
	v_mov_b32_e32 v79, v30
	v_pk_fma_f32 v[32:33], v[28:29], v[70:71], v[32:33] op_sel_hi:[1,0,1]
	v_pk_fma_f32 v[16:17], v[30:31], v[70:71], v[16:17] op_sel_hi:[1,0,1]
	v_mov_b32_e32 v30, v71
	v_pk_fma_f32 v[28:29], v[28:29], v[30:31], v[32:33] op_sel:[1,0,0] op_sel_hi:[0,0,1] neg_lo:[1,0,0]
	v_pk_fma_f32 v[16:17], v[78:79], v[30:31], v[16:17] op_sel_hi:[1,0,1]
	v_xor_b32_e32 v82, 0x80000000, v51
	v_mov_b32_e32 v83, v50
	s_waitcnt vmcnt(4)
	v_pk_fma_f32 v[28:29], v[48:49], v[72:73], v[28:29] op_sel_hi:[1,0,1]
	v_pk_fma_f32 v[16:17], v[50:51], v[72:73], v[16:17] op_sel_hi:[1,0,1]
	v_pk_fma_f32 v[28:29], v[48:49], v[72:73], v[28:29] op_sel:[1,1,0] op_sel_hi:[0,1,1] neg_lo:[1,0,0]
	v_pk_fma_f32 v[16:17], v[82:83], v[72:73], v[16:17] op_sel:[0,1,0]
	v_xor_b32_e32 v34, 0x80000000, v47
	v_mov_b32_e32 v35, v46
	v_mov_b32_e32 v78, v75
	v_pk_fma_f32 v[28:29], v[44:45], v[74:75], v[28:29] op_sel_hi:[1,0,1]
	v_pk_fma_f32 v[16:17], v[46:47], v[74:75], v[16:17] op_sel_hi:[1,0,1]
	v_pk_fma_f32 v[28:29], v[44:45], v[78:79], v[28:29] op_sel:[1,0,0] op_sel_hi:[0,0,1] neg_lo:[1,0,0]
	v_pk_fma_f32 v[16:17], v[34:35], v[78:79], v[16:17] op_sel_hi:[1,0,1]
	v_xor_b32_e32 v80, 0x80000000, v43
	v_mov_b32_e32 v81, v42
	v_xor_b32_e32 v68, 0x80000000, v39
	v_mov_b32_e32 v69, v38
	;; [unrolled: 2-line block ×5, first 2 shown]
	s_waitcnt vmcnt(3)
	v_pk_fma_f32 v[28:29], v[40:41], v[8:9], v[28:29] op_sel_hi:[1,0,1]
	v_pk_fma_f32 v[16:17], v[42:43], v[8:9], v[16:17] op_sel_hi:[1,0,1]
	v_pk_fma_f32 v[28:29], v[40:41], v[8:9], v[28:29] op_sel:[1,1,0] op_sel_hi:[0,1,1] neg_lo:[1,0,0]
	v_pk_fma_f32 v[8:9], v[80:81], v[8:9], v[16:17] op_sel:[0,1,0]
	v_mov_b32_e32 v48, v11
	v_pk_fma_f32 v[16:17], v[36:37], v[10:11], v[28:29] op_sel_hi:[1,0,1]
	v_pk_fma_f32 v[8:9], v[38:39], v[10:11], v[8:9] op_sel_hi:[1,0,1]
	v_pk_fma_f32 v[10:11], v[36:37], v[48:49], v[16:17] op_sel:[1,0,0] op_sel_hi:[0,0,1] neg_lo:[1,0,0]
	v_pk_fma_f32 v[8:9], v[68:69], v[48:49], v[8:9] op_sel_hi:[1,0,1]
	s_waitcnt vmcnt(1)
	v_pk_fma_f32 v[10:11], v[60:61], v[64:65], v[10:11] op_sel_hi:[1,0,1]
	v_pk_fma_f32 v[8:9], v[62:63], v[64:65], v[8:9] op_sel_hi:[1,0,1]
	v_pk_fma_f32 v[10:11], v[60:61], v[64:65], v[10:11] op_sel:[1,1,0] op_sel_hi:[0,1,1] neg_lo:[1,0,0]
	v_pk_fma_f32 v[8:9], v[70:71], v[64:65], v[8:9] op_sel:[0,1,0]
	v_mov_b32_e32 v50, v67
	v_pk_fma_f32 v[10:11], v[56:57], v[66:67], v[10:11] op_sel_hi:[1,0,1]
	v_pk_fma_f32 v[8:9], v[58:59], v[66:67], v[8:9] op_sel_hi:[1,0,1]
	v_pk_fma_f32 v[10:11], v[56:57], v[50:51], v[10:11] op_sel:[1,0,0] op_sel_hi:[0,0,1] neg_lo:[1,0,0]
	v_pk_fma_f32 v[8:9], v[32:33], v[50:51], v[8:9] op_sel_hi:[1,0,1]
	v_pk_fma_f32 v[10:11], v[52:53], v[24:25], v[10:11] op_sel_hi:[1,0,1]
	;; [unrolled: 1-line block ×3, first 2 shown]
	v_pk_fma_f32 v[10:11], v[52:53], v[24:25], v[10:11] op_sel:[1,1,0] op_sel_hi:[0,1,1] neg_lo:[1,0,0]
	v_pk_fma_f32 v[8:9], v[76:77], v[24:25], v[8:9] op_sel:[0,1,0]
	s_waitcnt vmcnt(0)
	v_xor_b32_e32 v30, 0x80000000, v23
	v_mov_b32_e32 v31, v22
	v_mov_b32_e32 v72, v27
	v_pk_fma_f32 v[10:11], v[20:21], v[26:27], v[10:11] op_sel_hi:[1,0,1]
	v_pk_fma_f32 v[16:17], v[22:23], v[26:27], v[8:9] op_sel_hi:[1,0,1]
	v_pk_fma_f32 v[8:9], v[20:21], v[72:73], v[10:11] op_sel:[1,0,0] op_sel_hi:[0,0,1] neg_lo:[1,0,0]
	v_pk_fma_f32 v[10:11], v[30:31], v[72:73], v[16:17] op_sel_hi:[1,0,1]
	s_andn2_b64 exec, exec, s[14:15]
	s_cbranch_execnz .LBB202_13
; %bb.14:
	s_or_b64 exec, exec, s[14:15]
.LBB202_15:
	s_or_b64 exec, exec, s[4:5]
	s_cbranch_execz .LBB202_19
	s_branch .LBB202_24
.LBB202_16:
	v_mov_b64_e32 v[4:5], s[8:9]
	flat_load_dword v3, v[4:5] offset:4
	s_and_b64 vcc, exec, s[4:5]
	v_mov_b32_e32 v4, s6
	s_cbranch_vccnz .LBB202_4
.LBB202_17:
	v_mov_b64_e32 v[4:5], s[6:7]
	flat_load_dword v4, v[4:5]
	s_and_b64 vcc, exec, s[4:5]
	v_mov_b32_e32 v5, s7
	s_cbranch_vccz .LBB202_5
	s_branch .LBB202_6
.LBB202_18:
                                        ; implicit-def: $vgpr9
                                        ; implicit-def: $vgpr11
.LBB202_19:
	v_mov_b32_e32 v9, 0
	v_mov_b32_e32 v8, v9
	;; [unrolled: 1-line block ×4, first 2 shown]
	s_and_saveexec_b64 s[4:5], s[2:3]
	s_cbranch_execz .LBB202_23
; %bb.20:
	v_mad_u64_u32 v[12:13], s[2:3], v0, 24, 23
	v_mov_b32_e32 v15, 0
	s_mov_b64 s[2:3], 0
	v_mov_b32_e32 v10, v15
	v_mov_b32_e32 v11, v15
	;; [unrolled: 1-line block ×4, first 2 shown]
.LBB202_21:                             ; =>This Inner Loop Header: Depth=1
	v_ashrrev_i32_e32 v1, 31, v0
	v_subrev_u32_e32 v14, 23, v12
	v_add_u32_e32 v20, -11, v12
	v_mov_b32_e32 v21, v15
	v_lshl_add_u64 v[36:37], v[0:1], 2, s[6:7]
	v_lshl_add_u64 v[38:39], v[14:15], 3, s[8:9]
	;; [unrolled: 1-line block ×3, first 2 shown]
	global_load_dword v1, v[36:37], off
	global_load_dwordx4 v[20:23], v[38:39], off
	global_load_dwordx4 v[24:27], v[38:39], off offset:16
	global_load_dwordx4 v[28:31], v[38:39], off offset:32
	;; [unrolled: 1-line block ×3, first 2 shown]
	v_add_u32_e32 v14, -10, v12
	v_lshl_add_u64 v[36:37], v[14:15], 3, s[8:9]
	v_add_u32_e32 v14, -9, v12
	v_mov_b32_e32 v17, v15
	v_lshl_add_u64 v[38:39], v[14:15], 3, s[8:9]
	v_add_u32_e32 v14, -8, v12
	global_load_dwordx2 v[54:55], v[40:41], off
	global_load_dwordx2 v[56:57], v[36:37], off
	v_lshl_add_u64 v[36:37], v[14:15], 3, s[8:9]
	global_load_dwordx2 v[58:59], v[38:39], off
	global_load_dwordx2 v[60:61], v[36:37], off
	v_mov_b32_e32 v13, v15
	v_lshl_add_u64 v[52:53], v[12:13], 3, s[8:9]
	v_add_u32_e32 v0, 4, v0
	v_cmp_ge_i32_e32 vcc, v0, v18
	s_or_b64 s[2:3], vcc, s[2:3]
	s_waitcnt vmcnt(8)
	v_subrev_u32_e32 v1, s12, v1
	v_mul_lo_u32 v16, v1, 12
	v_lshl_add_u64 v[44:45], v[16:17], 3, s[10:11]
	global_load_dwordx4 v[36:39], v[44:45], off
	global_load_dwordx4 v[40:43], v[44:45], off offset:16
	v_add_u32_e32 v14, 4, v16
	v_lshl_add_u64 v[66:67], v[14:15], 3, s[10:11]
	v_add_u32_e32 v14, -7, v12
	v_lshl_add_u64 v[68:69], v[14:15], 3, s[8:9]
	v_add_u32_e32 v14, -6, v12
	global_load_dwordx4 v[44:47], v[66:67], off
	v_lshl_add_u64 v[70:71], v[14:15], 3, s[8:9]
	v_add_u32_e32 v14, -5, v12
	v_lshl_add_u64 v[72:73], v[14:15], 3, s[8:9]
	v_add_u32_e32 v14, -4, v12
	;; [unrolled: 2-line block ×3, first 2 shown]
	v_lshl_add_u64 v[76:77], v[14:15], 3, s[8:9]
	v_add_u32_e32 v14, 8, v16
	global_load_dwordx4 v[48:51], v[66:67], off offset:16
	global_load_dwordx2 v[16:17], v[68:69], off
	global_load_dwordx2 v[78:79], v[70:71], off
	;; [unrolled: 1-line block ×4, first 2 shown]
	s_waitcnt vmcnt(15)
	v_xor_b32_e32 v62, 0x80000000, v23
	v_mov_b32_e32 v63, v22
	v_lshl_add_u64 v[66:67], v[14:15], 3, s[10:11]
	v_add_u32_e32 v14, -3, v12
	global_load_dwordx2 v[68:69], v[76:77], off
	s_waitcnt vmcnt(15)
	v_xor_b32_e32 v64, 0x80000000, v27
	v_mov_b32_e32 v65, v26
	s_waitcnt vmcnt(8)
	v_pk_fma_f32 v[10:11], v[54:55], v[36:37], v[10:11] op_sel_hi:[1,0,1]
	v_pk_fma_f32 v[8:9], v[20:21], v[36:37], v[8:9] op_sel_hi:[1,0,1]
	v_pk_fma_f32 v[54:55], v[54:55], v[36:37], v[10:11] op_sel:[1,1,0] op_sel_hi:[0,1,1] neg_lo:[1,0,0]
	v_pk_fma_f32 v[8:9], v[20:21], v[36:37], v[8:9] op_sel:[1,1,0] op_sel_hi:[0,1,1] neg_lo:[1,0,0]
	v_pk_fma_f32 v[36:37], v[22:23], v[38:39], v[8:9] op_sel_hi:[1,0,1]
	v_pk_fma_f32 v[54:55], v[56:57], v[38:39], v[54:55] op_sel_hi:[1,0,1]
	v_mov_b32_e32 v38, v39
	v_pk_fma_f32 v[36:37], v[62:63], v[38:39], v[36:37] op_sel_hi:[1,0,1]
	v_lshl_add_u64 v[62:63], v[14:15], 3, s[8:9]
	v_add_u32_e32 v14, -14, v12
	global_load_dwordx4 v[8:11], v[66:67], off
	global_load_dwordx4 v[20:23], v[66:67], off offset:16
	v_pk_fma_f32 v[38:39], v[56:57], v[38:39], v[54:55] op_sel:[1,0,0] op_sel_hi:[0,0,1] neg_lo:[1,0,0]
	v_lshl_add_u64 v[54:55], v[14:15], 3, s[8:9]
	v_add_u32_e32 v14, -2, v12
	global_load_dwordx2 v[56:57], v[62:63], off
	s_waitcnt vmcnt(10)
	v_pk_fma_f32 v[36:37], v[24:25], v[40:41], v[36:37] op_sel_hi:[1,0,1]
	global_load_dwordx2 v[54:55], v[54:55], off
	v_lshl_add_u64 v[62:63], v[14:15], 3, s[8:9]
	v_add_u32_e32 v14, -13, v12
	v_pk_fma_f32 v[24:25], v[24:25], v[40:41], v[36:37] op_sel:[1,1,0] op_sel_hi:[0,1,1] neg_lo:[1,0,0]
	v_pk_fma_f32 v[24:25], v[26:27], v[42:43], v[24:25] op_sel_hi:[1,0,1]
	v_lshl_add_u64 v[26:27], v[14:15], 3, s[8:9]
	v_add_u32_e32 v14, -1, v12
	global_load_dwordx2 v[36:37], v[62:63], off
	global_load_dwordx2 v[66:67], v[26:27], off
	v_lshl_add_u64 v[26:27], v[14:15], 3, s[8:9]
	v_add_u32_e32 v14, -12, v12
	global_load_dwordx2 v[26:27], v[26:27], off
	v_pk_fma_f32 v[38:39], v[58:59], v[40:41], v[38:39] op_sel_hi:[1,0,1]
	v_add_u32_e32 v12, 0x60, v12
	v_pk_fma_f32 v[38:39], v[58:59], v[40:41], v[38:39] op_sel:[1,1,0] op_sel_hi:[0,1,1] neg_lo:[1,0,0]
	v_lshl_add_u64 v[40:41], v[14:15], 3, s[8:9]
	global_load_dwordx2 v[58:59], v[40:41], off
	global_load_dwordx2 v[62:63], v[52:53], off
	v_pk_fma_f32 v[38:39], v[60:61], v[42:43], v[38:39] op_sel_hi:[1,0,1]
	v_mov_b32_e32 v14, v43
	v_pk_fma_f32 v[24:25], v[64:65], v[14:15], v[24:25] op_sel_hi:[1,0,1]
	v_pk_fma_f32 v[38:39], v[60:61], v[14:15], v[38:39] op_sel:[1,0,0] op_sel_hi:[0,0,1] neg_lo:[1,0,0]
	s_waitcnt vmcnt(15)
	v_pk_fma_f32 v[24:25], v[28:29], v[44:45], v[24:25] op_sel_hi:[1,0,1]
	s_waitcnt vmcnt(13)
	v_pk_fma_f32 v[38:39], v[16:17], v[44:45], v[38:39] op_sel_hi:[1,0,1]
	v_pk_fma_f32 v[24:25], v[28:29], v[44:45], v[24:25] op_sel:[1,1,0] op_sel_hi:[0,1,1] neg_lo:[1,0,0]
	v_pk_fma_f32 v[16:17], v[16:17], v[44:45], v[38:39] op_sel:[1,1,0] op_sel_hi:[0,1,1] neg_lo:[1,0,0]
	v_xor_b32_e32 v40, 0x80000000, v31
	v_mov_b32_e32 v41, v30
	v_mov_b32_e32 v14, v47
	v_pk_fma_f32 v[24:25], v[30:31], v[46:47], v[24:25] op_sel_hi:[1,0,1]
	s_waitcnt vmcnt(12)
	v_pk_fma_f32 v[16:17], v[78:79], v[46:47], v[16:17] op_sel_hi:[1,0,1]
	v_pk_fma_f32 v[24:25], v[40:41], v[14:15], v[24:25] op_sel_hi:[1,0,1]
	v_pk_fma_f32 v[16:17], v[78:79], v[14:15], v[16:17] op_sel:[1,0,0] op_sel_hi:[0,0,1] neg_lo:[1,0,0]
	v_pk_fma_f32 v[24:25], v[32:33], v[48:49], v[24:25] op_sel_hi:[1,0,1]
	s_waitcnt vmcnt(11)
	v_pk_fma_f32 v[16:17], v[80:81], v[48:49], v[16:17] op_sel_hi:[1,0,1]
	v_pk_fma_f32 v[24:25], v[32:33], v[48:49], v[24:25] op_sel:[1,1,0] op_sel_hi:[0,1,1] neg_lo:[1,0,0]
	v_pk_fma_f32 v[16:17], v[80:81], v[48:49], v[16:17] op_sel:[1,1,0] op_sel_hi:[0,1,1] neg_lo:[1,0,0]
	v_xor_b32_e32 v42, 0x80000000, v35
	v_mov_b32_e32 v43, v34
	v_mov_b32_e32 v52, v51
	v_pk_fma_f32 v[24:25], v[34:35], v[50:51], v[24:25] op_sel_hi:[1,0,1]
	s_waitcnt vmcnt(10)
	v_pk_fma_f32 v[16:17], v[82:83], v[50:51], v[16:17] op_sel_hi:[1,0,1]
	v_pk_fma_f32 v[24:25], v[42:43], v[52:53], v[24:25] op_sel_hi:[1,0,1]
	v_pk_fma_f32 v[16:17], v[82:83], v[52:53], v[16:17] op_sel:[1,0,0] op_sel_hi:[0,0,1] neg_lo:[1,0,0]
	s_waitcnt vmcnt(8)
	v_pk_fma_f32 v[24:25], v[68:69], v[8:9], v[24:25] op_sel_hi:[1,0,1]
	s_nop 0
	v_pk_fma_f32 v[24:25], v[68:69], v[8:9], v[24:25] op_sel:[1,1,0] op_sel_hi:[0,1,1] neg_lo:[1,0,0]
	v_mov_b32_e32 v28, v11
	s_waitcnt vmcnt(7)
	v_mov_b32_e32 v30, v23
	s_waitcnt vmcnt(6)
	v_pk_fma_f32 v[16:17], v[56:57], v[8:9], v[16:17] op_sel_hi:[1,0,1]
	s_nop 0
	v_pk_fma_f32 v[8:9], v[56:57], v[8:9], v[16:17] op_sel:[1,1,0] op_sel_hi:[0,1,1] neg_lo:[1,0,0]
	s_waitcnt vmcnt(5)
	v_pk_fma_f32 v[16:17], v[54:55], v[10:11], v[24:25] op_sel_hi:[1,0,1]
	s_waitcnt vmcnt(4)
	v_pk_fma_f32 v[8:9], v[36:37], v[10:11], v[8:9] op_sel_hi:[1,0,1]
	v_pk_fma_f32 v[10:11], v[54:55], v[28:29], v[16:17] op_sel:[1,0,0] op_sel_hi:[0,0,1] neg_lo:[1,0,0]
	v_pk_fma_f32 v[8:9], v[36:37], v[28:29], v[8:9] op_sel:[1,0,0] op_sel_hi:[0,0,1] neg_lo:[1,0,0]
	s_waitcnt vmcnt(3)
	v_pk_fma_f32 v[10:11], v[66:67], v[20:21], v[10:11] op_sel_hi:[1,0,1]
	s_waitcnt vmcnt(2)
	v_pk_fma_f32 v[8:9], v[26:27], v[20:21], v[8:9] op_sel_hi:[1,0,1]
	v_pk_fma_f32 v[10:11], v[66:67], v[20:21], v[10:11] op_sel:[1,1,0] op_sel_hi:[0,1,1] neg_lo:[1,0,0]
	;; [unrolled: 6-line block ×3, first 2 shown]
	v_pk_fma_f32 v[10:11], v[62:63], v[30:31], v[16:17] op_sel:[1,0,0] op_sel_hi:[0,0,1] neg_lo:[1,0,0]
	s_andn2_b64 exec, exec, s[2:3]
	s_cbranch_execnz .LBB202_21
; %bb.22:
	s_or_b64 exec, exec, s[2:3]
.LBB202_23:
	s_or_b64 exec, exec, s[4:5]
.LBB202_24:
	v_mov_b32_dpp v0, v8 row_shr:1 row_mask:0xf bank_mask:0xf
	v_add_f32_e32 v0, v8, v0
	v_mov_b32_dpp v8, v9 row_shr:1 row_mask:0xf bank_mask:0xf
	v_add_f32_e32 v9, v9, v8
	v_mov_b32_dpp v1, v0 row_shr:2 row_mask:0xf bank_mask:0xf
	v_mov_b32_dpp v8, v10 row_shr:1 row_mask:0xf bank_mask:0xf
	v_add_f32_e32 v10, v10, v8
	v_mov_b32_dpp v12, v9 row_shr:2 row_mask:0xf bank_mask:0xf
	;; [unrolled: 3-line block ×3, first 2 shown]
	v_cmp_eq_u32_e32 vcc, 3, v7
	v_mov_b32_dpp v14, v11 row_shr:2 row_mask:0xf bank_mask:0xf
	s_and_b64 exec, exec, vcc
	s_cbranch_execz .LBB202_29
; %bb.25:
	s_load_dwordx2 s[2:3], s[0:1], 0x38
	v_add_f32_e32 v8, v0, v1
	v_and_b32_e32 v1, 0x7fffffff, v4
	v_cmp_eq_u32_e32 vcc, 0, v1
	v_cmp_eq_f32_e64 s[0:1], 0, v5
	v_add_f32_e32 v12, v9, v12
	v_add_f32_e32 v0, v10, v13
	;; [unrolled: 1-line block ×3, first 2 shown]
	s_and_b64 s[0:1], vcc, s[0:1]
	s_and_saveexec_b64 s[4:5], s[0:1]
	s_xor_b64 s[0:1], exec, s[4:5]
	s_cbranch_execz .LBB202_27
; %bb.26:
	v_lshlrev_b32_e32 v4, 1, v6
	v_xor_b32_e32 v14, 0x80000000, v3
	v_ashrrev_i32_e32 v5, 31, v4
	v_mov_b32_e32 v15, v2
	s_waitcnt lgkmcnt(0)
	v_lshl_add_u64 v[16:17], v[4:5], 3, s[2:3]
	v_pk_mul_f32 v[4:5], v[12:13], v[14:15] op_sel_hi:[0,1]
	v_pk_mul_f32 v[6:7], v[10:11], v[14:15] op_sel_hi:[0,1]
	v_pk_fma_f32 v[4:5], v[2:3], v[8:9], v[4:5] op_sel_hi:[1,0,1]
	v_pk_fma_f32 v[6:7], v[2:3], v[0:1], v[6:7] op_sel_hi:[1,0,1]
	global_store_dwordx4 v[16:17], v[4:7], off
                                        ; implicit-def: $vgpr3
                                        ; implicit-def: $vgpr4
                                        ; implicit-def: $vgpr6
                                        ; implicit-def: $vgpr8
                                        ; implicit-def: $vgpr12
                                        ; implicit-def: $vgpr0
                                        ; implicit-def: $vgpr10
.LBB202_27:
	s_andn2_saveexec_b64 s[0:1], s[0:1]
	s_cbranch_execz .LBB202_29
; %bb.28:
	v_lshlrev_b32_e32 v6, 1, v6
	v_ashrrev_i32_e32 v7, 31, v6
	s_waitcnt lgkmcnt(0)
	v_lshl_add_u64 v[6:7], v[6:7], 3, s[2:3]
	global_load_dwordx4 v[14:17], v[6:7], off
	v_xor_b32_e32 v18, 0x80000000, v3
	v_mov_b32_e32 v19, v2
	v_pk_mul_f32 v[12:13], v[12:13], v[18:19] op_sel_hi:[0,1]
	v_pk_mul_f32 v[10:11], v[10:11], v[18:19] op_sel_hi:[0,1]
	v_pk_fma_f32 v[8:9], v[2:3], v[8:9], v[12:13] op_sel_hi:[1,0,1]
	v_pk_fma_f32 v[0:1], v[2:3], v[0:1], v[10:11] op_sel_hi:[1,0,1]
	v_xor_b32_e32 v20, 0x80000000, v5
	v_mov_b32_e32 v21, v4
	s_waitcnt vmcnt(0)
	v_pk_fma_f32 v[2:3], v[4:5], v[14:15], v[8:9] op_sel_hi:[1,0,1]
	v_pk_fma_f32 v[4:5], v[4:5], v[16:17], v[0:1] op_sel_hi:[1,0,1]
	v_mov_b32_e32 v8, v17
	v_pk_fma_f32 v[0:1], v[20:21], v[14:15], v[2:3] op_sel:[0,1,0]
	v_pk_fma_f32 v[2:3], v[20:21], v[8:9], v[4:5] op_sel_hi:[1,0,1]
	global_store_dwordx4 v[6:7], v[0:3], off
.LBB202_29:
	s_endpgm
	.section	.rodata,"a",@progbits
	.p2align	6, 0x0
	.amdhsa_kernel _ZN9rocsparseL19gebsrmvn_2xn_kernelILj128ELj12ELj4E21rocsparse_complex_numIfEEEvi20rocsparse_direction_NS_24const_host_device_scalarIT2_EEPKiS8_PKS5_SA_S6_PS5_21rocsparse_index_base_b
		.amdhsa_group_segment_fixed_size 0
		.amdhsa_private_segment_fixed_size 0
		.amdhsa_kernarg_size 72
		.amdhsa_user_sgpr_count 2
		.amdhsa_user_sgpr_dispatch_ptr 0
		.amdhsa_user_sgpr_queue_ptr 0
		.amdhsa_user_sgpr_kernarg_segment_ptr 1
		.amdhsa_user_sgpr_dispatch_id 0
		.amdhsa_user_sgpr_kernarg_preload_length 0
		.amdhsa_user_sgpr_kernarg_preload_offset 0
		.amdhsa_user_sgpr_private_segment_size 0
		.amdhsa_uses_dynamic_stack 0
		.amdhsa_enable_private_segment 0
		.amdhsa_system_sgpr_workgroup_id_x 1
		.amdhsa_system_sgpr_workgroup_id_y 0
		.amdhsa_system_sgpr_workgroup_id_z 0
		.amdhsa_system_sgpr_workgroup_info 0
		.amdhsa_system_vgpr_workitem_id 0
		.amdhsa_next_free_vgpr 86
		.amdhsa_next_free_sgpr 16
		.amdhsa_accum_offset 88
		.amdhsa_reserve_vcc 1
		.amdhsa_float_round_mode_32 0
		.amdhsa_float_round_mode_16_64 0
		.amdhsa_float_denorm_mode_32 3
		.amdhsa_float_denorm_mode_16_64 3
		.amdhsa_dx10_clamp 1
		.amdhsa_ieee_mode 1
		.amdhsa_fp16_overflow 0
		.amdhsa_tg_split 0
		.amdhsa_exception_fp_ieee_invalid_op 0
		.amdhsa_exception_fp_denorm_src 0
		.amdhsa_exception_fp_ieee_div_zero 0
		.amdhsa_exception_fp_ieee_overflow 0
		.amdhsa_exception_fp_ieee_underflow 0
		.amdhsa_exception_fp_ieee_inexact 0
		.amdhsa_exception_int_div_zero 0
	.end_amdhsa_kernel
	.section	.text._ZN9rocsparseL19gebsrmvn_2xn_kernelILj128ELj12ELj4E21rocsparse_complex_numIfEEEvi20rocsparse_direction_NS_24const_host_device_scalarIT2_EEPKiS8_PKS5_SA_S6_PS5_21rocsparse_index_base_b,"axG",@progbits,_ZN9rocsparseL19gebsrmvn_2xn_kernelILj128ELj12ELj4E21rocsparse_complex_numIfEEEvi20rocsparse_direction_NS_24const_host_device_scalarIT2_EEPKiS8_PKS5_SA_S6_PS5_21rocsparse_index_base_b,comdat
.Lfunc_end202:
	.size	_ZN9rocsparseL19gebsrmvn_2xn_kernelILj128ELj12ELj4E21rocsparse_complex_numIfEEEvi20rocsparse_direction_NS_24const_host_device_scalarIT2_EEPKiS8_PKS5_SA_S6_PS5_21rocsparse_index_base_b, .Lfunc_end202-_ZN9rocsparseL19gebsrmvn_2xn_kernelILj128ELj12ELj4E21rocsparse_complex_numIfEEEvi20rocsparse_direction_NS_24const_host_device_scalarIT2_EEPKiS8_PKS5_SA_S6_PS5_21rocsparse_index_base_b
                                        ; -- End function
	.section	.AMDGPU.csdata,"",@progbits
; Kernel info:
; codeLenInByte = 2788
; NumSgprs: 22
; NumVgprs: 86
; NumAgprs: 0
; TotalNumVgprs: 86
; ScratchSize: 0
; MemoryBound: 0
; FloatMode: 240
; IeeeMode: 1
; LDSByteSize: 0 bytes/workgroup (compile time only)
; SGPRBlocks: 2
; VGPRBlocks: 10
; NumSGPRsForWavesPerEU: 22
; NumVGPRsForWavesPerEU: 86
; AccumOffset: 88
; Occupancy: 5
; WaveLimiterHint : 1
; COMPUTE_PGM_RSRC2:SCRATCH_EN: 0
; COMPUTE_PGM_RSRC2:USER_SGPR: 2
; COMPUTE_PGM_RSRC2:TRAP_HANDLER: 0
; COMPUTE_PGM_RSRC2:TGID_X_EN: 1
; COMPUTE_PGM_RSRC2:TGID_Y_EN: 0
; COMPUTE_PGM_RSRC2:TGID_Z_EN: 0
; COMPUTE_PGM_RSRC2:TIDIG_COMP_CNT: 0
; COMPUTE_PGM_RSRC3_GFX90A:ACCUM_OFFSET: 21
; COMPUTE_PGM_RSRC3_GFX90A:TG_SPLIT: 0
	.section	.text._ZN9rocsparseL19gebsrmvn_2xn_kernelILj128ELj12ELj8E21rocsparse_complex_numIfEEEvi20rocsparse_direction_NS_24const_host_device_scalarIT2_EEPKiS8_PKS5_SA_S6_PS5_21rocsparse_index_base_b,"axG",@progbits,_ZN9rocsparseL19gebsrmvn_2xn_kernelILj128ELj12ELj8E21rocsparse_complex_numIfEEEvi20rocsparse_direction_NS_24const_host_device_scalarIT2_EEPKiS8_PKS5_SA_S6_PS5_21rocsparse_index_base_b,comdat
	.globl	_ZN9rocsparseL19gebsrmvn_2xn_kernelILj128ELj12ELj8E21rocsparse_complex_numIfEEEvi20rocsparse_direction_NS_24const_host_device_scalarIT2_EEPKiS8_PKS5_SA_S6_PS5_21rocsparse_index_base_b ; -- Begin function _ZN9rocsparseL19gebsrmvn_2xn_kernelILj128ELj12ELj8E21rocsparse_complex_numIfEEEvi20rocsparse_direction_NS_24const_host_device_scalarIT2_EEPKiS8_PKS5_SA_S6_PS5_21rocsparse_index_base_b
	.p2align	8
	.type	_ZN9rocsparseL19gebsrmvn_2xn_kernelILj128ELj12ELj8E21rocsparse_complex_numIfEEEvi20rocsparse_direction_NS_24const_host_device_scalarIT2_EEPKiS8_PKS5_SA_S6_PS5_21rocsparse_index_base_b,@function
_ZN9rocsparseL19gebsrmvn_2xn_kernelILj128ELj12ELj8E21rocsparse_complex_numIfEEEvi20rocsparse_direction_NS_24const_host_device_scalarIT2_EEPKiS8_PKS5_SA_S6_PS5_21rocsparse_index_base_b: ; @_ZN9rocsparseL19gebsrmvn_2xn_kernelILj128ELj12ELj8E21rocsparse_complex_numIfEEEvi20rocsparse_direction_NS_24const_host_device_scalarIT2_EEPKiS8_PKS5_SA_S6_PS5_21rocsparse_index_base_b
; %bb.0:
	s_load_dwordx2 s[12:13], s[0:1], 0x40
	s_load_dwordx2 s[8:9], s[0:1], 0x8
	;; [unrolled: 1-line block ×3, first 2 shown]
	s_waitcnt lgkmcnt(0)
	s_bitcmp1_b32 s13, 0
	s_cselect_b64 s[4:5], -1, 0
	s_xor_b64 s[10:11], s[4:5], -1
	s_and_b64 vcc, exec, s[4:5]
	v_mov_b32_e32 v2, s8
	s_cbranch_vccnz .LBB203_2
; %bb.1:
	v_mov_b64_e32 v[2:3], s[8:9]
	flat_load_dword v2, v[2:3]
.LBB203_2:
	v_cndmask_b32_e64 v1, 0, 1, s[10:11]
	v_cmp_ne_u32_e64 s[4:5], 1, v1
	s_andn2_b64 vcc, exec, s[10:11]
	v_mov_b32_e32 v3, s9
	s_cbranch_vccz .LBB203_16
; %bb.3:
	s_and_b64 vcc, exec, s[4:5]
	v_mov_b32_e32 v4, s6
	s_cbranch_vccz .LBB203_17
.LBB203_4:
	s_and_b64 vcc, exec, s[4:5]
	v_mov_b32_e32 v5, s7
	s_cbranch_vccnz .LBB203_6
.LBB203_5:
	v_mov_b64_e32 v[6:7], s[6:7]
	flat_load_dword v5, v[6:7] offset:4
.LBB203_6:
	s_waitcnt vmcnt(0) lgkmcnt(0)
	v_and_b32_e32 v1, 0x7fffffff, v2
	v_cmp_eq_u32_e32 vcc, 0, v1
	v_cmp_eq_f32_e64 s[4:5], 0, v3
	s_and_b64 s[8:9], vcc, s[4:5]
	s_mov_b64 s[4:5], -1
	s_and_saveexec_b64 s[6:7], s[8:9]
; %bb.7:
	v_and_b32_e32 v1, 0x7fffffff, v5
	v_cmp_neq_f32_e32 vcc, 1.0, v4
	v_cmp_ne_u32_e64 s[4:5], 0, v1
	s_or_b64 s[4:5], vcc, s[4:5]
	s_orn2_b64 s[4:5], s[4:5], exec
; %bb.8:
	s_or_b64 exec, exec, s[6:7]
	s_and_saveexec_b64 s[6:7], s[4:5]
	s_cbranch_execz .LBB203_29
; %bb.9:
	s_load_dwordx2 s[14:15], s[0:1], 0x0
	v_lshrrev_b32_e32 v1, 3, v0
	v_lshl_or_b32 v6, s2, 4, v1
	s_waitcnt lgkmcnt(0)
	v_cmp_gt_i32_e32 vcc, s14, v6
	s_and_b64 exec, exec, vcc
	s_cbranch_execz .LBB203_29
; %bb.10:
	s_load_dwordx8 s[4:11], s[0:1], 0x10
	v_ashrrev_i32_e32 v7, 31, v6
	s_cmp_lg_u32 s15, 0
	s_waitcnt lgkmcnt(0)
	v_lshl_add_u64 v[8:9], v[6:7], 2, s[4:5]
	global_load_dwordx2 v[8:9], v[8:9], off
	v_and_b32_e32 v7, 7, v0
	s_waitcnt vmcnt(0)
	v_subrev_u32_e32 v0, s12, v8
	v_subrev_u32_e32 v18, s12, v9
	v_add_u32_e32 v0, v0, v7
	v_cmp_lt_i32_e64 s[2:3], v0, v18
	s_cbranch_scc0 .LBB203_18
; %bb.11:
	v_mov_b32_e32 v9, 0
	v_mov_b32_e32 v8, v9
	;; [unrolled: 1-line block ×4, first 2 shown]
	s_and_saveexec_b64 s[4:5], s[2:3]
	s_cbranch_execz .LBB203_15
; %bb.12:
	v_mov_b32_e32 v13, 0
	v_mul_lo_u32 v12, v0, 24
	s_mov_b64 s[14:15], 0
	v_mov_b32_e32 v14, v0
	v_mov_b32_e32 v10, v13
	;; [unrolled: 1-line block ×5, first 2 shown]
.LBB203_13:                             ; =>This Inner Loop Header: Depth=1
	v_ashrrev_i32_e32 v15, 31, v14
	v_lshl_add_u64 v[16:17], v[12:13], 3, s[8:9]
	v_add_u32_e32 v36, 8, v12
	v_mov_b32_e32 v37, v13
	v_add_u32_e32 v38, 16, v12
	v_mov_b32_e32 v39, v13
	v_lshl_add_u64 v[66:67], v[14:15], 2, s[6:7]
	global_load_dwordx4 v[20:23], v[16:17], off offset:16
	global_load_dwordx4 v[24:27], v[16:17], off
	global_load_dwordx4 v[28:31], v[16:17], off offset:48
	global_load_dwordx4 v[32:35], v[16:17], off offset:32
	v_lshl_add_u64 v[16:17], v[36:37], 3, s[8:9]
	v_lshl_add_u64 v[76:77], v[38:39], 3, s[8:9]
	global_load_dword v1, v[66:67], off
	global_load_dwordx4 v[36:39], v[16:17], off offset:48
	global_load_dwordx4 v[40:43], v[16:17], off offset:32
	;; [unrolled: 1-line block ×3, first 2 shown]
	global_load_dwordx4 v[48:51], v[16:17], off
	global_load_dwordx4 v[52:55], v[76:77], off offset:32
	global_load_dwordx4 v[56:59], v[76:77], off offset:16
	global_load_dwordx4 v[60:63], v[76:77], off
	v_mov_b32_e32 v65, v13
	v_mov_b32_e32 v73, v13
	;; [unrolled: 1-line block ×3, first 2 shown]
	v_add_u32_e32 v14, 8, v14
	v_cmp_ge_i32_e32 vcc, v14, v18
	v_add_u32_e32 v12, 0xc0, v12
	s_or_b64 s[14:15], vcc, s[14:15]
	s_waitcnt vmcnt(7)
	v_subrev_u32_e32 v1, s12, v1
	v_mul_lo_u32 v64, v1, 12
	v_lshl_add_u64 v[80:81], v[64:65], 3, s[10:11]
	v_add_u32_e32 v72, 4, v64
	v_add_u32_e32 v74, 8, v64
	global_load_dwordx4 v[64:67], v[80:81], off
	global_load_dwordx4 v[68:71], v[80:81], off offset:16
	v_lshl_add_u64 v[80:81], v[72:73], 3, s[10:11]
	v_lshl_add_u64 v[82:83], v[74:75], 3, s[10:11]
	global_load_dwordx4 v[72:75], v[80:81], off
	v_xor_b32_e32 v16, 0x80000000, v27
	v_mov_b32_e32 v17, v26
	v_xor_b32_e32 v78, 0x80000000, v23
	v_mov_b32_e32 v79, v22
	s_waitcnt vmcnt(2)
	v_pk_fma_f32 v[8:9], v[24:25], v[64:65], v[8:9] op_sel_hi:[1,0,1]
	v_pk_fma_f32 v[26:27], v[26:27], v[64:65], v[10:11] op_sel_hi:[1,0,1]
	v_pk_fma_f32 v[84:85], v[24:25], v[64:65], v[8:9] op_sel:[1,1,0] op_sel_hi:[0,1,1] neg_lo:[1,0,0]
	global_load_dwordx4 v[8:11], v[80:81], off offset:16
	v_pk_fma_f32 v[16:17], v[16:17], v[64:65], v[26:27] op_sel:[0,1,0]
	global_load_dwordx4 v[24:27], v[82:83], off offset:16
	v_pk_fma_f32 v[80:81], v[20:21], v[66:67], v[84:85] op_sel_hi:[1,0,1]
	v_pk_fma_f32 v[16:17], v[22:23], v[66:67], v[16:17] op_sel_hi:[1,0,1]
	v_mov_b32_e32 v84, v67
	global_load_dwordx4 v[64:67], v[82:83], off
	v_pk_fma_f32 v[80:81], v[20:21], v[84:85], v[80:81] op_sel:[1,0,0] op_sel_hi:[0,0,1] neg_lo:[1,0,0]
	global_load_dwordx4 v[20:23], v[76:77], off offset:48
	v_pk_fma_f32 v[16:17], v[78:79], v[84:85], v[16:17] op_sel_hi:[1,0,1]
	v_xor_b32_e32 v76, 0x80000000, v35
	v_mov_b32_e32 v77, v34
	s_waitcnt vmcnt(5)
	v_pk_fma_f32 v[80:81], v[32:33], v[68:69], v[80:81] op_sel_hi:[1,0,1]
	v_pk_fma_f32 v[16:17], v[34:35], v[68:69], v[16:17] op_sel_hi:[1,0,1]
	v_pk_fma_f32 v[32:33], v[32:33], v[68:69], v[80:81] op_sel:[1,1,0] op_sel_hi:[0,1,1] neg_lo:[1,0,0]
	v_pk_fma_f32 v[16:17], v[76:77], v[68:69], v[16:17] op_sel:[0,1,0]
	v_xor_b32_e32 v78, 0x80000000, v31
	v_mov_b32_e32 v79, v30
	v_pk_fma_f32 v[32:33], v[28:29], v[70:71], v[32:33] op_sel_hi:[1,0,1]
	v_pk_fma_f32 v[16:17], v[30:31], v[70:71], v[16:17] op_sel_hi:[1,0,1]
	v_mov_b32_e32 v30, v71
	v_pk_fma_f32 v[28:29], v[28:29], v[30:31], v[32:33] op_sel:[1,0,0] op_sel_hi:[0,0,1] neg_lo:[1,0,0]
	v_pk_fma_f32 v[16:17], v[78:79], v[30:31], v[16:17] op_sel_hi:[1,0,1]
	v_xor_b32_e32 v82, 0x80000000, v51
	v_mov_b32_e32 v83, v50
	s_waitcnt vmcnt(4)
	v_pk_fma_f32 v[28:29], v[48:49], v[72:73], v[28:29] op_sel_hi:[1,0,1]
	v_pk_fma_f32 v[16:17], v[50:51], v[72:73], v[16:17] op_sel_hi:[1,0,1]
	v_pk_fma_f32 v[28:29], v[48:49], v[72:73], v[28:29] op_sel:[1,1,0] op_sel_hi:[0,1,1] neg_lo:[1,0,0]
	v_pk_fma_f32 v[16:17], v[82:83], v[72:73], v[16:17] op_sel:[0,1,0]
	v_xor_b32_e32 v34, 0x80000000, v47
	v_mov_b32_e32 v35, v46
	v_mov_b32_e32 v78, v75
	v_pk_fma_f32 v[28:29], v[44:45], v[74:75], v[28:29] op_sel_hi:[1,0,1]
	v_pk_fma_f32 v[16:17], v[46:47], v[74:75], v[16:17] op_sel_hi:[1,0,1]
	v_pk_fma_f32 v[28:29], v[44:45], v[78:79], v[28:29] op_sel:[1,0,0] op_sel_hi:[0,0,1] neg_lo:[1,0,0]
	v_pk_fma_f32 v[16:17], v[34:35], v[78:79], v[16:17] op_sel_hi:[1,0,1]
	v_xor_b32_e32 v80, 0x80000000, v43
	v_mov_b32_e32 v81, v42
	v_xor_b32_e32 v68, 0x80000000, v39
	v_mov_b32_e32 v69, v38
	;; [unrolled: 2-line block ×5, first 2 shown]
	s_waitcnt vmcnt(3)
	v_pk_fma_f32 v[28:29], v[40:41], v[8:9], v[28:29] op_sel_hi:[1,0,1]
	v_pk_fma_f32 v[16:17], v[42:43], v[8:9], v[16:17] op_sel_hi:[1,0,1]
	v_pk_fma_f32 v[28:29], v[40:41], v[8:9], v[28:29] op_sel:[1,1,0] op_sel_hi:[0,1,1] neg_lo:[1,0,0]
	v_pk_fma_f32 v[8:9], v[80:81], v[8:9], v[16:17] op_sel:[0,1,0]
	v_mov_b32_e32 v48, v11
	v_pk_fma_f32 v[16:17], v[36:37], v[10:11], v[28:29] op_sel_hi:[1,0,1]
	v_pk_fma_f32 v[8:9], v[38:39], v[10:11], v[8:9] op_sel_hi:[1,0,1]
	v_pk_fma_f32 v[10:11], v[36:37], v[48:49], v[16:17] op_sel:[1,0,0] op_sel_hi:[0,0,1] neg_lo:[1,0,0]
	v_pk_fma_f32 v[8:9], v[68:69], v[48:49], v[8:9] op_sel_hi:[1,0,1]
	s_waitcnt vmcnt(1)
	v_pk_fma_f32 v[10:11], v[60:61], v[64:65], v[10:11] op_sel_hi:[1,0,1]
	v_pk_fma_f32 v[8:9], v[62:63], v[64:65], v[8:9] op_sel_hi:[1,0,1]
	v_pk_fma_f32 v[10:11], v[60:61], v[64:65], v[10:11] op_sel:[1,1,0] op_sel_hi:[0,1,1] neg_lo:[1,0,0]
	v_pk_fma_f32 v[8:9], v[70:71], v[64:65], v[8:9] op_sel:[0,1,0]
	v_mov_b32_e32 v50, v67
	v_pk_fma_f32 v[10:11], v[56:57], v[66:67], v[10:11] op_sel_hi:[1,0,1]
	v_pk_fma_f32 v[8:9], v[58:59], v[66:67], v[8:9] op_sel_hi:[1,0,1]
	v_pk_fma_f32 v[10:11], v[56:57], v[50:51], v[10:11] op_sel:[1,0,0] op_sel_hi:[0,0,1] neg_lo:[1,0,0]
	v_pk_fma_f32 v[8:9], v[32:33], v[50:51], v[8:9] op_sel_hi:[1,0,1]
	v_pk_fma_f32 v[10:11], v[52:53], v[24:25], v[10:11] op_sel_hi:[1,0,1]
	;; [unrolled: 1-line block ×3, first 2 shown]
	v_pk_fma_f32 v[10:11], v[52:53], v[24:25], v[10:11] op_sel:[1,1,0] op_sel_hi:[0,1,1] neg_lo:[1,0,0]
	v_pk_fma_f32 v[8:9], v[76:77], v[24:25], v[8:9] op_sel:[0,1,0]
	s_waitcnt vmcnt(0)
	v_xor_b32_e32 v30, 0x80000000, v23
	v_mov_b32_e32 v31, v22
	v_mov_b32_e32 v72, v27
	v_pk_fma_f32 v[10:11], v[20:21], v[26:27], v[10:11] op_sel_hi:[1,0,1]
	v_pk_fma_f32 v[16:17], v[22:23], v[26:27], v[8:9] op_sel_hi:[1,0,1]
	v_pk_fma_f32 v[8:9], v[20:21], v[72:73], v[10:11] op_sel:[1,0,0] op_sel_hi:[0,0,1] neg_lo:[1,0,0]
	v_pk_fma_f32 v[10:11], v[30:31], v[72:73], v[16:17] op_sel_hi:[1,0,1]
	s_andn2_b64 exec, exec, s[14:15]
	s_cbranch_execnz .LBB203_13
; %bb.14:
	s_or_b64 exec, exec, s[14:15]
.LBB203_15:
	s_or_b64 exec, exec, s[4:5]
	s_cbranch_execz .LBB203_19
	s_branch .LBB203_24
.LBB203_16:
	v_mov_b64_e32 v[4:5], s[8:9]
	flat_load_dword v3, v[4:5] offset:4
	s_and_b64 vcc, exec, s[4:5]
	v_mov_b32_e32 v4, s6
	s_cbranch_vccnz .LBB203_4
.LBB203_17:
	v_mov_b64_e32 v[4:5], s[6:7]
	flat_load_dword v4, v[4:5]
	s_and_b64 vcc, exec, s[4:5]
	v_mov_b32_e32 v5, s7
	s_cbranch_vccz .LBB203_5
	s_branch .LBB203_6
.LBB203_18:
                                        ; implicit-def: $vgpr9
                                        ; implicit-def: $vgpr11
.LBB203_19:
	v_mov_b32_e32 v9, 0
	v_mov_b32_e32 v8, v9
	;; [unrolled: 1-line block ×4, first 2 shown]
	s_and_saveexec_b64 s[4:5], s[2:3]
	s_cbranch_execz .LBB203_23
; %bb.20:
	v_mad_u64_u32 v[12:13], s[2:3], v0, 24, 23
	v_mov_b32_e32 v15, 0
	s_mov_b64 s[2:3], 0
	v_mov_b32_e32 v10, v15
	v_mov_b32_e32 v11, v15
	;; [unrolled: 1-line block ×4, first 2 shown]
.LBB203_21:                             ; =>This Inner Loop Header: Depth=1
	v_ashrrev_i32_e32 v1, 31, v0
	v_subrev_u32_e32 v14, 23, v12
	v_add_u32_e32 v20, -11, v12
	v_mov_b32_e32 v21, v15
	v_lshl_add_u64 v[36:37], v[0:1], 2, s[6:7]
	v_lshl_add_u64 v[38:39], v[14:15], 3, s[8:9]
	;; [unrolled: 1-line block ×3, first 2 shown]
	global_load_dword v1, v[36:37], off
	global_load_dwordx4 v[20:23], v[38:39], off
	global_load_dwordx4 v[24:27], v[38:39], off offset:16
	global_load_dwordx4 v[28:31], v[38:39], off offset:32
	;; [unrolled: 1-line block ×3, first 2 shown]
	v_add_u32_e32 v14, -10, v12
	v_lshl_add_u64 v[36:37], v[14:15], 3, s[8:9]
	v_add_u32_e32 v14, -9, v12
	v_mov_b32_e32 v17, v15
	v_lshl_add_u64 v[38:39], v[14:15], 3, s[8:9]
	v_add_u32_e32 v14, -8, v12
	global_load_dwordx2 v[54:55], v[40:41], off
	global_load_dwordx2 v[56:57], v[36:37], off
	v_lshl_add_u64 v[36:37], v[14:15], 3, s[8:9]
	global_load_dwordx2 v[58:59], v[38:39], off
	global_load_dwordx2 v[60:61], v[36:37], off
	v_mov_b32_e32 v13, v15
	v_lshl_add_u64 v[52:53], v[12:13], 3, s[8:9]
	v_add_u32_e32 v0, 8, v0
	v_cmp_ge_i32_e32 vcc, v0, v18
	s_or_b64 s[2:3], vcc, s[2:3]
	s_waitcnt vmcnt(8)
	v_subrev_u32_e32 v1, s12, v1
	v_mul_lo_u32 v16, v1, 12
	v_lshl_add_u64 v[44:45], v[16:17], 3, s[10:11]
	global_load_dwordx4 v[36:39], v[44:45], off
	global_load_dwordx4 v[40:43], v[44:45], off offset:16
	v_add_u32_e32 v14, 4, v16
	v_lshl_add_u64 v[66:67], v[14:15], 3, s[10:11]
	v_add_u32_e32 v14, -7, v12
	v_lshl_add_u64 v[68:69], v[14:15], 3, s[8:9]
	v_add_u32_e32 v14, -6, v12
	global_load_dwordx4 v[44:47], v[66:67], off
	v_lshl_add_u64 v[70:71], v[14:15], 3, s[8:9]
	v_add_u32_e32 v14, -5, v12
	v_lshl_add_u64 v[72:73], v[14:15], 3, s[8:9]
	v_add_u32_e32 v14, -4, v12
	;; [unrolled: 2-line block ×3, first 2 shown]
	v_lshl_add_u64 v[76:77], v[14:15], 3, s[8:9]
	v_add_u32_e32 v14, 8, v16
	global_load_dwordx4 v[48:51], v[66:67], off offset:16
	global_load_dwordx2 v[16:17], v[68:69], off
	global_load_dwordx2 v[78:79], v[70:71], off
	;; [unrolled: 1-line block ×4, first 2 shown]
	s_waitcnt vmcnt(15)
	v_xor_b32_e32 v62, 0x80000000, v23
	v_mov_b32_e32 v63, v22
	v_lshl_add_u64 v[66:67], v[14:15], 3, s[10:11]
	v_add_u32_e32 v14, -3, v12
	global_load_dwordx2 v[68:69], v[76:77], off
	s_waitcnt vmcnt(15)
	v_xor_b32_e32 v64, 0x80000000, v27
	v_mov_b32_e32 v65, v26
	s_waitcnt vmcnt(8)
	v_pk_fma_f32 v[10:11], v[54:55], v[36:37], v[10:11] op_sel_hi:[1,0,1]
	v_pk_fma_f32 v[8:9], v[20:21], v[36:37], v[8:9] op_sel_hi:[1,0,1]
	v_pk_fma_f32 v[54:55], v[54:55], v[36:37], v[10:11] op_sel:[1,1,0] op_sel_hi:[0,1,1] neg_lo:[1,0,0]
	v_pk_fma_f32 v[8:9], v[20:21], v[36:37], v[8:9] op_sel:[1,1,0] op_sel_hi:[0,1,1] neg_lo:[1,0,0]
	v_pk_fma_f32 v[36:37], v[22:23], v[38:39], v[8:9] op_sel_hi:[1,0,1]
	v_pk_fma_f32 v[54:55], v[56:57], v[38:39], v[54:55] op_sel_hi:[1,0,1]
	v_mov_b32_e32 v38, v39
	v_pk_fma_f32 v[36:37], v[62:63], v[38:39], v[36:37] op_sel_hi:[1,0,1]
	v_lshl_add_u64 v[62:63], v[14:15], 3, s[8:9]
	v_add_u32_e32 v14, -14, v12
	global_load_dwordx4 v[8:11], v[66:67], off
	global_load_dwordx4 v[20:23], v[66:67], off offset:16
	v_pk_fma_f32 v[38:39], v[56:57], v[38:39], v[54:55] op_sel:[1,0,0] op_sel_hi:[0,0,1] neg_lo:[1,0,0]
	v_lshl_add_u64 v[54:55], v[14:15], 3, s[8:9]
	v_add_u32_e32 v14, -2, v12
	global_load_dwordx2 v[56:57], v[62:63], off
	s_waitcnt vmcnt(10)
	v_pk_fma_f32 v[36:37], v[24:25], v[40:41], v[36:37] op_sel_hi:[1,0,1]
	global_load_dwordx2 v[54:55], v[54:55], off
	v_lshl_add_u64 v[62:63], v[14:15], 3, s[8:9]
	v_add_u32_e32 v14, -13, v12
	v_pk_fma_f32 v[24:25], v[24:25], v[40:41], v[36:37] op_sel:[1,1,0] op_sel_hi:[0,1,1] neg_lo:[1,0,0]
	v_pk_fma_f32 v[24:25], v[26:27], v[42:43], v[24:25] op_sel_hi:[1,0,1]
	v_lshl_add_u64 v[26:27], v[14:15], 3, s[8:9]
	v_add_u32_e32 v14, -1, v12
	global_load_dwordx2 v[36:37], v[62:63], off
	global_load_dwordx2 v[66:67], v[26:27], off
	v_lshl_add_u64 v[26:27], v[14:15], 3, s[8:9]
	v_add_u32_e32 v14, -12, v12
	global_load_dwordx2 v[26:27], v[26:27], off
	v_pk_fma_f32 v[38:39], v[58:59], v[40:41], v[38:39] op_sel_hi:[1,0,1]
	v_add_u32_e32 v12, 0xc0, v12
	v_pk_fma_f32 v[38:39], v[58:59], v[40:41], v[38:39] op_sel:[1,1,0] op_sel_hi:[0,1,1] neg_lo:[1,0,0]
	v_lshl_add_u64 v[40:41], v[14:15], 3, s[8:9]
	global_load_dwordx2 v[58:59], v[40:41], off
	global_load_dwordx2 v[62:63], v[52:53], off
	v_pk_fma_f32 v[38:39], v[60:61], v[42:43], v[38:39] op_sel_hi:[1,0,1]
	v_mov_b32_e32 v14, v43
	v_pk_fma_f32 v[24:25], v[64:65], v[14:15], v[24:25] op_sel_hi:[1,0,1]
	v_pk_fma_f32 v[38:39], v[60:61], v[14:15], v[38:39] op_sel:[1,0,0] op_sel_hi:[0,0,1] neg_lo:[1,0,0]
	s_waitcnt vmcnt(15)
	v_pk_fma_f32 v[24:25], v[28:29], v[44:45], v[24:25] op_sel_hi:[1,0,1]
	s_waitcnt vmcnt(13)
	v_pk_fma_f32 v[38:39], v[16:17], v[44:45], v[38:39] op_sel_hi:[1,0,1]
	v_pk_fma_f32 v[24:25], v[28:29], v[44:45], v[24:25] op_sel:[1,1,0] op_sel_hi:[0,1,1] neg_lo:[1,0,0]
	v_pk_fma_f32 v[16:17], v[16:17], v[44:45], v[38:39] op_sel:[1,1,0] op_sel_hi:[0,1,1] neg_lo:[1,0,0]
	v_xor_b32_e32 v40, 0x80000000, v31
	v_mov_b32_e32 v41, v30
	v_mov_b32_e32 v14, v47
	v_pk_fma_f32 v[24:25], v[30:31], v[46:47], v[24:25] op_sel_hi:[1,0,1]
	s_waitcnt vmcnt(12)
	v_pk_fma_f32 v[16:17], v[78:79], v[46:47], v[16:17] op_sel_hi:[1,0,1]
	v_pk_fma_f32 v[24:25], v[40:41], v[14:15], v[24:25] op_sel_hi:[1,0,1]
	v_pk_fma_f32 v[16:17], v[78:79], v[14:15], v[16:17] op_sel:[1,0,0] op_sel_hi:[0,0,1] neg_lo:[1,0,0]
	v_pk_fma_f32 v[24:25], v[32:33], v[48:49], v[24:25] op_sel_hi:[1,0,1]
	s_waitcnt vmcnt(11)
	v_pk_fma_f32 v[16:17], v[80:81], v[48:49], v[16:17] op_sel_hi:[1,0,1]
	v_pk_fma_f32 v[24:25], v[32:33], v[48:49], v[24:25] op_sel:[1,1,0] op_sel_hi:[0,1,1] neg_lo:[1,0,0]
	v_pk_fma_f32 v[16:17], v[80:81], v[48:49], v[16:17] op_sel:[1,1,0] op_sel_hi:[0,1,1] neg_lo:[1,0,0]
	v_xor_b32_e32 v42, 0x80000000, v35
	v_mov_b32_e32 v43, v34
	v_mov_b32_e32 v52, v51
	v_pk_fma_f32 v[24:25], v[34:35], v[50:51], v[24:25] op_sel_hi:[1,0,1]
	s_waitcnt vmcnt(10)
	v_pk_fma_f32 v[16:17], v[82:83], v[50:51], v[16:17] op_sel_hi:[1,0,1]
	v_pk_fma_f32 v[24:25], v[42:43], v[52:53], v[24:25] op_sel_hi:[1,0,1]
	v_pk_fma_f32 v[16:17], v[82:83], v[52:53], v[16:17] op_sel:[1,0,0] op_sel_hi:[0,0,1] neg_lo:[1,0,0]
	s_waitcnt vmcnt(8)
	v_pk_fma_f32 v[24:25], v[68:69], v[8:9], v[24:25] op_sel_hi:[1,0,1]
	s_nop 0
	v_pk_fma_f32 v[24:25], v[68:69], v[8:9], v[24:25] op_sel:[1,1,0] op_sel_hi:[0,1,1] neg_lo:[1,0,0]
	v_mov_b32_e32 v28, v11
	s_waitcnt vmcnt(7)
	v_mov_b32_e32 v30, v23
	s_waitcnt vmcnt(6)
	v_pk_fma_f32 v[16:17], v[56:57], v[8:9], v[16:17] op_sel_hi:[1,0,1]
	s_nop 0
	v_pk_fma_f32 v[8:9], v[56:57], v[8:9], v[16:17] op_sel:[1,1,0] op_sel_hi:[0,1,1] neg_lo:[1,0,0]
	s_waitcnt vmcnt(5)
	v_pk_fma_f32 v[16:17], v[54:55], v[10:11], v[24:25] op_sel_hi:[1,0,1]
	s_waitcnt vmcnt(4)
	v_pk_fma_f32 v[8:9], v[36:37], v[10:11], v[8:9] op_sel_hi:[1,0,1]
	v_pk_fma_f32 v[10:11], v[54:55], v[28:29], v[16:17] op_sel:[1,0,0] op_sel_hi:[0,0,1] neg_lo:[1,0,0]
	v_pk_fma_f32 v[8:9], v[36:37], v[28:29], v[8:9] op_sel:[1,0,0] op_sel_hi:[0,0,1] neg_lo:[1,0,0]
	s_waitcnt vmcnt(3)
	v_pk_fma_f32 v[10:11], v[66:67], v[20:21], v[10:11] op_sel_hi:[1,0,1]
	s_waitcnt vmcnt(2)
	v_pk_fma_f32 v[8:9], v[26:27], v[20:21], v[8:9] op_sel_hi:[1,0,1]
	v_pk_fma_f32 v[10:11], v[66:67], v[20:21], v[10:11] op_sel:[1,1,0] op_sel_hi:[0,1,1] neg_lo:[1,0,0]
	;; [unrolled: 6-line block ×3, first 2 shown]
	v_pk_fma_f32 v[10:11], v[62:63], v[30:31], v[16:17] op_sel:[1,0,0] op_sel_hi:[0,0,1] neg_lo:[1,0,0]
	s_andn2_b64 exec, exec, s[2:3]
	s_cbranch_execnz .LBB203_21
; %bb.22:
	s_or_b64 exec, exec, s[2:3]
.LBB203_23:
	s_or_b64 exec, exec, s[4:5]
.LBB203_24:
	v_mov_b32_dpp v0, v8 row_shr:1 row_mask:0xf bank_mask:0xf
	v_add_f32_e32 v0, v8, v0
	v_mov_b32_dpp v8, v9 row_shr:1 row_mask:0xf bank_mask:0xf
	v_add_f32_e32 v8, v9, v8
	;; [unrolled: 2-line block ×5, first 2 shown]
	v_mov_b32_dpp v1, v0 row_shr:4 row_mask:0xf bank_mask:0xe
	v_mov_b32_dpp v12, v9 row_shr:4 row_mask:0xf bank_mask:0xe
	;; [unrolled: 1-line block ×3, first 2 shown]
	v_add_f32_e32 v10, v8, v10
	v_mov_b32_dpp v8, v11 row_shr:1 row_mask:0xf bank_mask:0xf
	v_add_f32_e32 v8, v11, v8
	v_mov_b32_dpp v13, v10 row_shr:4 row_mask:0xf bank_mask:0xe
	v_cmp_eq_u32_e32 vcc, 7, v7
	v_mov_b32_dpp v11, v8 row_shr:2 row_mask:0xf bank_mask:0xf
	v_add_f32_e32 v11, v8, v11
	s_nop 1
	v_mov_b32_dpp v14, v11 row_shr:4 row_mask:0xf bank_mask:0xe
	s_and_b64 exec, exec, vcc
	s_cbranch_execz .LBB203_29
; %bb.25:
	s_load_dwordx2 s[2:3], s[0:1], 0x38
	v_add_f32_e32 v8, v0, v1
	v_and_b32_e32 v1, 0x7fffffff, v4
	v_cmp_eq_u32_e32 vcc, 0, v1
	v_cmp_eq_f32_e64 s[0:1], 0, v5
	v_add_f32_e32 v12, v9, v12
	v_add_f32_e32 v0, v10, v13
	;; [unrolled: 1-line block ×3, first 2 shown]
	s_and_b64 s[0:1], vcc, s[0:1]
	s_and_saveexec_b64 s[4:5], s[0:1]
	s_xor_b64 s[0:1], exec, s[4:5]
	s_cbranch_execz .LBB203_27
; %bb.26:
	v_lshlrev_b32_e32 v4, 1, v6
	v_xor_b32_e32 v14, 0x80000000, v3
	v_ashrrev_i32_e32 v5, 31, v4
	v_mov_b32_e32 v15, v2
	s_waitcnt lgkmcnt(0)
	v_lshl_add_u64 v[16:17], v[4:5], 3, s[2:3]
	v_pk_mul_f32 v[4:5], v[12:13], v[14:15] op_sel_hi:[0,1]
	v_pk_mul_f32 v[6:7], v[10:11], v[14:15] op_sel_hi:[0,1]
	v_pk_fma_f32 v[4:5], v[2:3], v[8:9], v[4:5] op_sel_hi:[1,0,1]
	v_pk_fma_f32 v[6:7], v[2:3], v[0:1], v[6:7] op_sel_hi:[1,0,1]
	global_store_dwordx4 v[16:17], v[4:7], off
                                        ; implicit-def: $vgpr3
                                        ; implicit-def: $vgpr4
                                        ; implicit-def: $vgpr6
                                        ; implicit-def: $vgpr8
                                        ; implicit-def: $vgpr12
                                        ; implicit-def: $vgpr0
                                        ; implicit-def: $vgpr10
.LBB203_27:
	s_andn2_saveexec_b64 s[0:1], s[0:1]
	s_cbranch_execz .LBB203_29
; %bb.28:
	v_lshlrev_b32_e32 v6, 1, v6
	v_ashrrev_i32_e32 v7, 31, v6
	s_waitcnt lgkmcnt(0)
	v_lshl_add_u64 v[6:7], v[6:7], 3, s[2:3]
	global_load_dwordx4 v[14:17], v[6:7], off
	v_xor_b32_e32 v18, 0x80000000, v3
	v_mov_b32_e32 v19, v2
	v_pk_mul_f32 v[12:13], v[12:13], v[18:19] op_sel_hi:[0,1]
	v_pk_mul_f32 v[10:11], v[10:11], v[18:19] op_sel_hi:[0,1]
	v_pk_fma_f32 v[8:9], v[2:3], v[8:9], v[12:13] op_sel_hi:[1,0,1]
	v_pk_fma_f32 v[0:1], v[2:3], v[0:1], v[10:11] op_sel_hi:[1,0,1]
	v_xor_b32_e32 v20, 0x80000000, v5
	v_mov_b32_e32 v21, v4
	s_waitcnt vmcnt(0)
	v_pk_fma_f32 v[2:3], v[4:5], v[14:15], v[8:9] op_sel_hi:[1,0,1]
	v_pk_fma_f32 v[4:5], v[4:5], v[16:17], v[0:1] op_sel_hi:[1,0,1]
	v_mov_b32_e32 v8, v17
	v_pk_fma_f32 v[0:1], v[20:21], v[14:15], v[2:3] op_sel:[0,1,0]
	v_pk_fma_f32 v[2:3], v[20:21], v[8:9], v[4:5] op_sel_hi:[1,0,1]
	global_store_dwordx4 v[6:7], v[0:3], off
.LBB203_29:
	s_endpgm
	.section	.rodata,"a",@progbits
	.p2align	6, 0x0
	.amdhsa_kernel _ZN9rocsparseL19gebsrmvn_2xn_kernelILj128ELj12ELj8E21rocsparse_complex_numIfEEEvi20rocsparse_direction_NS_24const_host_device_scalarIT2_EEPKiS8_PKS5_SA_S6_PS5_21rocsparse_index_base_b
		.amdhsa_group_segment_fixed_size 0
		.amdhsa_private_segment_fixed_size 0
		.amdhsa_kernarg_size 72
		.amdhsa_user_sgpr_count 2
		.amdhsa_user_sgpr_dispatch_ptr 0
		.amdhsa_user_sgpr_queue_ptr 0
		.amdhsa_user_sgpr_kernarg_segment_ptr 1
		.amdhsa_user_sgpr_dispatch_id 0
		.amdhsa_user_sgpr_kernarg_preload_length 0
		.amdhsa_user_sgpr_kernarg_preload_offset 0
		.amdhsa_user_sgpr_private_segment_size 0
		.amdhsa_uses_dynamic_stack 0
		.amdhsa_enable_private_segment 0
		.amdhsa_system_sgpr_workgroup_id_x 1
		.amdhsa_system_sgpr_workgroup_id_y 0
		.amdhsa_system_sgpr_workgroup_id_z 0
		.amdhsa_system_sgpr_workgroup_info 0
		.amdhsa_system_vgpr_workitem_id 0
		.amdhsa_next_free_vgpr 86
		.amdhsa_next_free_sgpr 16
		.amdhsa_accum_offset 88
		.amdhsa_reserve_vcc 1
		.amdhsa_float_round_mode_32 0
		.amdhsa_float_round_mode_16_64 0
		.amdhsa_float_denorm_mode_32 3
		.amdhsa_float_denorm_mode_16_64 3
		.amdhsa_dx10_clamp 1
		.amdhsa_ieee_mode 1
		.amdhsa_fp16_overflow 0
		.amdhsa_tg_split 0
		.amdhsa_exception_fp_ieee_invalid_op 0
		.amdhsa_exception_fp_denorm_src 0
		.amdhsa_exception_fp_ieee_div_zero 0
		.amdhsa_exception_fp_ieee_overflow 0
		.amdhsa_exception_fp_ieee_underflow 0
		.amdhsa_exception_fp_ieee_inexact 0
		.amdhsa_exception_int_div_zero 0
	.end_amdhsa_kernel
	.section	.text._ZN9rocsparseL19gebsrmvn_2xn_kernelILj128ELj12ELj8E21rocsparse_complex_numIfEEEvi20rocsparse_direction_NS_24const_host_device_scalarIT2_EEPKiS8_PKS5_SA_S6_PS5_21rocsparse_index_base_b,"axG",@progbits,_ZN9rocsparseL19gebsrmvn_2xn_kernelILj128ELj12ELj8E21rocsparse_complex_numIfEEEvi20rocsparse_direction_NS_24const_host_device_scalarIT2_EEPKiS8_PKS5_SA_S6_PS5_21rocsparse_index_base_b,comdat
.Lfunc_end203:
	.size	_ZN9rocsparseL19gebsrmvn_2xn_kernelILj128ELj12ELj8E21rocsparse_complex_numIfEEEvi20rocsparse_direction_NS_24const_host_device_scalarIT2_EEPKiS8_PKS5_SA_S6_PS5_21rocsparse_index_base_b, .Lfunc_end203-_ZN9rocsparseL19gebsrmvn_2xn_kernelILj128ELj12ELj8E21rocsparse_complex_numIfEEEvi20rocsparse_direction_NS_24const_host_device_scalarIT2_EEPKiS8_PKS5_SA_S6_PS5_21rocsparse_index_base_b
                                        ; -- End function
	.section	.AMDGPU.csdata,"",@progbits
; Kernel info:
; codeLenInByte = 2840
; NumSgprs: 22
; NumVgprs: 86
; NumAgprs: 0
; TotalNumVgprs: 86
; ScratchSize: 0
; MemoryBound: 0
; FloatMode: 240
; IeeeMode: 1
; LDSByteSize: 0 bytes/workgroup (compile time only)
; SGPRBlocks: 2
; VGPRBlocks: 10
; NumSGPRsForWavesPerEU: 22
; NumVGPRsForWavesPerEU: 86
; AccumOffset: 88
; Occupancy: 5
; WaveLimiterHint : 1
; COMPUTE_PGM_RSRC2:SCRATCH_EN: 0
; COMPUTE_PGM_RSRC2:USER_SGPR: 2
; COMPUTE_PGM_RSRC2:TRAP_HANDLER: 0
; COMPUTE_PGM_RSRC2:TGID_X_EN: 1
; COMPUTE_PGM_RSRC2:TGID_Y_EN: 0
; COMPUTE_PGM_RSRC2:TGID_Z_EN: 0
; COMPUTE_PGM_RSRC2:TIDIG_COMP_CNT: 0
; COMPUTE_PGM_RSRC3_GFX90A:ACCUM_OFFSET: 21
; COMPUTE_PGM_RSRC3_GFX90A:TG_SPLIT: 0
	.section	.text._ZN9rocsparseL19gebsrmvn_2xn_kernelILj128ELj12ELj16E21rocsparse_complex_numIfEEEvi20rocsparse_direction_NS_24const_host_device_scalarIT2_EEPKiS8_PKS5_SA_S6_PS5_21rocsparse_index_base_b,"axG",@progbits,_ZN9rocsparseL19gebsrmvn_2xn_kernelILj128ELj12ELj16E21rocsparse_complex_numIfEEEvi20rocsparse_direction_NS_24const_host_device_scalarIT2_EEPKiS8_PKS5_SA_S6_PS5_21rocsparse_index_base_b,comdat
	.globl	_ZN9rocsparseL19gebsrmvn_2xn_kernelILj128ELj12ELj16E21rocsparse_complex_numIfEEEvi20rocsparse_direction_NS_24const_host_device_scalarIT2_EEPKiS8_PKS5_SA_S6_PS5_21rocsparse_index_base_b ; -- Begin function _ZN9rocsparseL19gebsrmvn_2xn_kernelILj128ELj12ELj16E21rocsparse_complex_numIfEEEvi20rocsparse_direction_NS_24const_host_device_scalarIT2_EEPKiS8_PKS5_SA_S6_PS5_21rocsparse_index_base_b
	.p2align	8
	.type	_ZN9rocsparseL19gebsrmvn_2xn_kernelILj128ELj12ELj16E21rocsparse_complex_numIfEEEvi20rocsparse_direction_NS_24const_host_device_scalarIT2_EEPKiS8_PKS5_SA_S6_PS5_21rocsparse_index_base_b,@function
_ZN9rocsparseL19gebsrmvn_2xn_kernelILj128ELj12ELj16E21rocsparse_complex_numIfEEEvi20rocsparse_direction_NS_24const_host_device_scalarIT2_EEPKiS8_PKS5_SA_S6_PS5_21rocsparse_index_base_b: ; @_ZN9rocsparseL19gebsrmvn_2xn_kernelILj128ELj12ELj16E21rocsparse_complex_numIfEEEvi20rocsparse_direction_NS_24const_host_device_scalarIT2_EEPKiS8_PKS5_SA_S6_PS5_21rocsparse_index_base_b
; %bb.0:
	s_load_dwordx2 s[12:13], s[0:1], 0x40
	s_load_dwordx2 s[8:9], s[0:1], 0x8
	;; [unrolled: 1-line block ×3, first 2 shown]
	s_waitcnt lgkmcnt(0)
	s_bitcmp1_b32 s13, 0
	s_cselect_b64 s[4:5], -1, 0
	s_xor_b64 s[10:11], s[4:5], -1
	s_and_b64 vcc, exec, s[4:5]
	v_mov_b32_e32 v2, s8
	s_cbranch_vccnz .LBB204_2
; %bb.1:
	v_mov_b64_e32 v[2:3], s[8:9]
	flat_load_dword v2, v[2:3]
.LBB204_2:
	v_cndmask_b32_e64 v1, 0, 1, s[10:11]
	v_cmp_ne_u32_e64 s[4:5], 1, v1
	s_andn2_b64 vcc, exec, s[10:11]
	v_mov_b32_e32 v3, s9
	s_cbranch_vccz .LBB204_16
; %bb.3:
	s_and_b64 vcc, exec, s[4:5]
	v_mov_b32_e32 v4, s6
	s_cbranch_vccz .LBB204_17
.LBB204_4:
	s_and_b64 vcc, exec, s[4:5]
	v_mov_b32_e32 v5, s7
	s_cbranch_vccnz .LBB204_6
.LBB204_5:
	v_mov_b64_e32 v[6:7], s[6:7]
	flat_load_dword v5, v[6:7] offset:4
.LBB204_6:
	s_waitcnt vmcnt(0) lgkmcnt(0)
	v_and_b32_e32 v1, 0x7fffffff, v2
	v_cmp_eq_u32_e32 vcc, 0, v1
	v_cmp_eq_f32_e64 s[4:5], 0, v3
	s_and_b64 s[8:9], vcc, s[4:5]
	s_mov_b64 s[4:5], -1
	s_and_saveexec_b64 s[6:7], s[8:9]
; %bb.7:
	v_and_b32_e32 v1, 0x7fffffff, v5
	v_cmp_neq_f32_e32 vcc, 1.0, v4
	v_cmp_ne_u32_e64 s[4:5], 0, v1
	s_or_b64 s[4:5], vcc, s[4:5]
	s_orn2_b64 s[4:5], s[4:5], exec
; %bb.8:
	s_or_b64 exec, exec, s[6:7]
	s_and_saveexec_b64 s[6:7], s[4:5]
	s_cbranch_execz .LBB204_29
; %bb.9:
	s_load_dwordx2 s[14:15], s[0:1], 0x0
	v_lshrrev_b32_e32 v1, 4, v0
	v_lshl_or_b32 v6, s2, 3, v1
	s_waitcnt lgkmcnt(0)
	v_cmp_gt_i32_e32 vcc, s14, v6
	s_and_b64 exec, exec, vcc
	s_cbranch_execz .LBB204_29
; %bb.10:
	s_load_dwordx8 s[4:11], s[0:1], 0x10
	v_ashrrev_i32_e32 v7, 31, v6
	s_cmp_lg_u32 s15, 0
	s_waitcnt lgkmcnt(0)
	v_lshl_add_u64 v[8:9], v[6:7], 2, s[4:5]
	global_load_dwordx2 v[8:9], v[8:9], off
	v_and_b32_e32 v7, 15, v0
	s_waitcnt vmcnt(0)
	v_subrev_u32_e32 v0, s12, v8
	v_subrev_u32_e32 v18, s12, v9
	v_add_u32_e32 v0, v0, v7
	v_cmp_lt_i32_e64 s[2:3], v0, v18
	s_cbranch_scc0 .LBB204_18
; %bb.11:
	v_mov_b32_e32 v11, 0
	v_mov_b32_e32 v10, v11
	;; [unrolled: 1-line block ×4, first 2 shown]
	s_and_saveexec_b64 s[4:5], s[2:3]
	s_cbranch_execz .LBB204_15
; %bb.12:
	v_mov_b32_e32 v13, 0
	v_mul_lo_u32 v12, v0, 24
	s_mov_b64 s[14:15], 0
	v_mov_b32_e32 v14, v0
	v_mov_b32_e32 v8, v13
	;; [unrolled: 1-line block ×5, first 2 shown]
.LBB204_13:                             ; =>This Inner Loop Header: Depth=1
	v_ashrrev_i32_e32 v15, 31, v14
	v_lshl_add_u64 v[16:17], v[12:13], 3, s[8:9]
	v_add_u32_e32 v36, 8, v12
	v_mov_b32_e32 v37, v13
	v_add_u32_e32 v38, 16, v12
	v_mov_b32_e32 v39, v13
	v_lshl_add_u64 v[66:67], v[14:15], 2, s[6:7]
	global_load_dwordx4 v[20:23], v[16:17], off offset:16
	global_load_dwordx4 v[24:27], v[16:17], off
	global_load_dwordx4 v[28:31], v[16:17], off offset:48
	global_load_dwordx4 v[32:35], v[16:17], off offset:32
	v_lshl_add_u64 v[16:17], v[36:37], 3, s[8:9]
	v_lshl_add_u64 v[76:77], v[38:39], 3, s[8:9]
	global_load_dword v1, v[66:67], off
	global_load_dwordx4 v[36:39], v[16:17], off offset:48
	global_load_dwordx4 v[40:43], v[16:17], off offset:32
	;; [unrolled: 1-line block ×3, first 2 shown]
	global_load_dwordx4 v[48:51], v[16:17], off
	global_load_dwordx4 v[52:55], v[76:77], off offset:32
	global_load_dwordx4 v[56:59], v[76:77], off offset:16
	global_load_dwordx4 v[60:63], v[76:77], off
	v_mov_b32_e32 v65, v13
	v_mov_b32_e32 v73, v13
	;; [unrolled: 1-line block ×3, first 2 shown]
	v_add_u32_e32 v14, 16, v14
	v_cmp_ge_i32_e32 vcc, v14, v18
	v_add_u32_e32 v12, 0x180, v12
	s_or_b64 s[14:15], vcc, s[14:15]
	s_waitcnt vmcnt(7)
	v_subrev_u32_e32 v1, s12, v1
	v_mul_lo_u32 v64, v1, 12
	v_lshl_add_u64 v[80:81], v[64:65], 3, s[10:11]
	v_add_u32_e32 v72, 4, v64
	v_add_u32_e32 v74, 8, v64
	global_load_dwordx4 v[64:67], v[80:81], off
	global_load_dwordx4 v[68:71], v[80:81], off offset:16
	v_lshl_add_u64 v[80:81], v[72:73], 3, s[10:11]
	v_lshl_add_u64 v[82:83], v[74:75], 3, s[10:11]
	global_load_dwordx4 v[72:75], v[80:81], off
	v_xor_b32_e32 v16, 0x80000000, v27
	v_mov_b32_e32 v17, v26
	v_xor_b32_e32 v78, 0x80000000, v23
	v_mov_b32_e32 v79, v22
	s_waitcnt vmcnt(2)
	v_pk_fma_f32 v[10:11], v[24:25], v[64:65], v[10:11] op_sel_hi:[1,0,1]
	v_pk_fma_f32 v[26:27], v[26:27], v[64:65], v[8:9] op_sel_hi:[1,0,1]
	v_pk_fma_f32 v[84:85], v[24:25], v[64:65], v[10:11] op_sel:[1,1,0] op_sel_hi:[0,1,1] neg_lo:[1,0,0]
	global_load_dwordx4 v[8:11], v[80:81], off offset:16
	v_pk_fma_f32 v[16:17], v[16:17], v[64:65], v[26:27] op_sel:[0,1,0]
	global_load_dwordx4 v[24:27], v[82:83], off offset:16
	v_pk_fma_f32 v[80:81], v[20:21], v[66:67], v[84:85] op_sel_hi:[1,0,1]
	v_pk_fma_f32 v[16:17], v[22:23], v[66:67], v[16:17] op_sel_hi:[1,0,1]
	v_mov_b32_e32 v84, v67
	global_load_dwordx4 v[64:67], v[82:83], off
	v_pk_fma_f32 v[80:81], v[20:21], v[84:85], v[80:81] op_sel:[1,0,0] op_sel_hi:[0,0,1] neg_lo:[1,0,0]
	global_load_dwordx4 v[20:23], v[76:77], off offset:48
	v_pk_fma_f32 v[16:17], v[78:79], v[84:85], v[16:17] op_sel_hi:[1,0,1]
	v_xor_b32_e32 v76, 0x80000000, v35
	v_mov_b32_e32 v77, v34
	s_waitcnt vmcnt(5)
	v_pk_fma_f32 v[80:81], v[32:33], v[68:69], v[80:81] op_sel_hi:[1,0,1]
	v_pk_fma_f32 v[16:17], v[34:35], v[68:69], v[16:17] op_sel_hi:[1,0,1]
	v_pk_fma_f32 v[32:33], v[32:33], v[68:69], v[80:81] op_sel:[1,1,0] op_sel_hi:[0,1,1] neg_lo:[1,0,0]
	v_pk_fma_f32 v[16:17], v[76:77], v[68:69], v[16:17] op_sel:[0,1,0]
	v_xor_b32_e32 v78, 0x80000000, v31
	v_mov_b32_e32 v79, v30
	v_pk_fma_f32 v[32:33], v[28:29], v[70:71], v[32:33] op_sel_hi:[1,0,1]
	v_pk_fma_f32 v[16:17], v[30:31], v[70:71], v[16:17] op_sel_hi:[1,0,1]
	v_mov_b32_e32 v30, v71
	v_pk_fma_f32 v[28:29], v[28:29], v[30:31], v[32:33] op_sel:[1,0,0] op_sel_hi:[0,0,1] neg_lo:[1,0,0]
	v_pk_fma_f32 v[16:17], v[78:79], v[30:31], v[16:17] op_sel_hi:[1,0,1]
	v_xor_b32_e32 v82, 0x80000000, v51
	v_mov_b32_e32 v83, v50
	s_waitcnt vmcnt(4)
	v_pk_fma_f32 v[28:29], v[48:49], v[72:73], v[28:29] op_sel_hi:[1,0,1]
	v_pk_fma_f32 v[16:17], v[50:51], v[72:73], v[16:17] op_sel_hi:[1,0,1]
	v_pk_fma_f32 v[28:29], v[48:49], v[72:73], v[28:29] op_sel:[1,1,0] op_sel_hi:[0,1,1] neg_lo:[1,0,0]
	v_pk_fma_f32 v[16:17], v[82:83], v[72:73], v[16:17] op_sel:[0,1,0]
	v_xor_b32_e32 v34, 0x80000000, v47
	v_mov_b32_e32 v35, v46
	v_mov_b32_e32 v78, v75
	v_pk_fma_f32 v[28:29], v[44:45], v[74:75], v[28:29] op_sel_hi:[1,0,1]
	v_pk_fma_f32 v[16:17], v[46:47], v[74:75], v[16:17] op_sel_hi:[1,0,1]
	v_pk_fma_f32 v[28:29], v[44:45], v[78:79], v[28:29] op_sel:[1,0,0] op_sel_hi:[0,0,1] neg_lo:[1,0,0]
	v_pk_fma_f32 v[16:17], v[34:35], v[78:79], v[16:17] op_sel_hi:[1,0,1]
	v_xor_b32_e32 v80, 0x80000000, v43
	v_mov_b32_e32 v81, v42
	v_xor_b32_e32 v68, 0x80000000, v39
	v_mov_b32_e32 v69, v38
	;; [unrolled: 2-line block ×5, first 2 shown]
	s_waitcnt vmcnt(3)
	v_pk_fma_f32 v[28:29], v[40:41], v[8:9], v[28:29] op_sel_hi:[1,0,1]
	v_pk_fma_f32 v[16:17], v[42:43], v[8:9], v[16:17] op_sel_hi:[1,0,1]
	v_pk_fma_f32 v[28:29], v[40:41], v[8:9], v[28:29] op_sel:[1,1,0] op_sel_hi:[0,1,1] neg_lo:[1,0,0]
	v_pk_fma_f32 v[8:9], v[80:81], v[8:9], v[16:17] op_sel:[0,1,0]
	v_mov_b32_e32 v48, v11
	v_pk_fma_f32 v[16:17], v[36:37], v[10:11], v[28:29] op_sel_hi:[1,0,1]
	v_pk_fma_f32 v[8:9], v[38:39], v[10:11], v[8:9] op_sel_hi:[1,0,1]
	v_pk_fma_f32 v[10:11], v[36:37], v[48:49], v[16:17] op_sel:[1,0,0] op_sel_hi:[0,0,1] neg_lo:[1,0,0]
	v_pk_fma_f32 v[8:9], v[68:69], v[48:49], v[8:9] op_sel_hi:[1,0,1]
	s_waitcnt vmcnt(1)
	v_pk_fma_f32 v[10:11], v[60:61], v[64:65], v[10:11] op_sel_hi:[1,0,1]
	v_pk_fma_f32 v[8:9], v[62:63], v[64:65], v[8:9] op_sel_hi:[1,0,1]
	v_pk_fma_f32 v[10:11], v[60:61], v[64:65], v[10:11] op_sel:[1,1,0] op_sel_hi:[0,1,1] neg_lo:[1,0,0]
	v_pk_fma_f32 v[8:9], v[70:71], v[64:65], v[8:9] op_sel:[0,1,0]
	v_mov_b32_e32 v50, v67
	v_pk_fma_f32 v[10:11], v[56:57], v[66:67], v[10:11] op_sel_hi:[1,0,1]
	v_pk_fma_f32 v[8:9], v[58:59], v[66:67], v[8:9] op_sel_hi:[1,0,1]
	v_pk_fma_f32 v[10:11], v[56:57], v[50:51], v[10:11] op_sel:[1,0,0] op_sel_hi:[0,0,1] neg_lo:[1,0,0]
	v_pk_fma_f32 v[8:9], v[32:33], v[50:51], v[8:9] op_sel_hi:[1,0,1]
	v_pk_fma_f32 v[10:11], v[52:53], v[24:25], v[10:11] op_sel_hi:[1,0,1]
	;; [unrolled: 1-line block ×3, first 2 shown]
	v_pk_fma_f32 v[10:11], v[52:53], v[24:25], v[10:11] op_sel:[1,1,0] op_sel_hi:[0,1,1] neg_lo:[1,0,0]
	v_pk_fma_f32 v[8:9], v[76:77], v[24:25], v[8:9] op_sel:[0,1,0]
	s_waitcnt vmcnt(0)
	v_xor_b32_e32 v30, 0x80000000, v23
	v_mov_b32_e32 v31, v22
	v_mov_b32_e32 v72, v27
	v_pk_fma_f32 v[10:11], v[20:21], v[26:27], v[10:11] op_sel_hi:[1,0,1]
	v_pk_fma_f32 v[8:9], v[22:23], v[26:27], v[8:9] op_sel_hi:[1,0,1]
	v_pk_fma_f32 v[10:11], v[20:21], v[72:73], v[10:11] op_sel:[1,0,0] op_sel_hi:[0,0,1] neg_lo:[1,0,0]
	v_pk_fma_f32 v[8:9], v[30:31], v[72:73], v[8:9] op_sel_hi:[1,0,1]
	s_andn2_b64 exec, exec, s[14:15]
	s_cbranch_execnz .LBB204_13
; %bb.14:
	s_or_b64 exec, exec, s[14:15]
.LBB204_15:
	s_or_b64 exec, exec, s[4:5]
	s_cbranch_execz .LBB204_19
	s_branch .LBB204_24
.LBB204_16:
	v_mov_b64_e32 v[4:5], s[8:9]
	flat_load_dword v3, v[4:5] offset:4
	s_and_b64 vcc, exec, s[4:5]
	v_mov_b32_e32 v4, s6
	s_cbranch_vccnz .LBB204_4
.LBB204_17:
	v_mov_b64_e32 v[4:5], s[6:7]
	flat_load_dword v4, v[4:5]
	s_and_b64 vcc, exec, s[4:5]
	v_mov_b32_e32 v5, s7
	s_cbranch_vccz .LBB204_5
	s_branch .LBB204_6
.LBB204_18:
                                        ; implicit-def: $vgpr11
                                        ; implicit-def: $vgpr9
.LBB204_19:
	v_mov_b32_e32 v11, 0
	v_mov_b32_e32 v10, v11
	;; [unrolled: 1-line block ×4, first 2 shown]
	s_and_saveexec_b64 s[4:5], s[2:3]
	s_cbranch_execz .LBB204_23
; %bb.20:
	v_mad_u64_u32 v[12:13], s[2:3], v0, 24, 23
	v_mov_b32_e32 v15, 0
	s_mov_b64 s[2:3], 0
	v_mov_b32_e32 v8, v15
	v_mov_b32_e32 v9, v15
	;; [unrolled: 1-line block ×4, first 2 shown]
.LBB204_21:                             ; =>This Inner Loop Header: Depth=1
	v_ashrrev_i32_e32 v1, 31, v0
	v_subrev_u32_e32 v14, 23, v12
	v_add_u32_e32 v20, -11, v12
	v_mov_b32_e32 v21, v15
	v_lshl_add_u64 v[36:37], v[0:1], 2, s[6:7]
	v_lshl_add_u64 v[38:39], v[14:15], 3, s[8:9]
	;; [unrolled: 1-line block ×3, first 2 shown]
	global_load_dword v1, v[36:37], off
	global_load_dwordx4 v[20:23], v[38:39], off
	global_load_dwordx4 v[24:27], v[38:39], off offset:16
	global_load_dwordx4 v[28:31], v[38:39], off offset:32
	;; [unrolled: 1-line block ×3, first 2 shown]
	v_add_u32_e32 v14, -10, v12
	v_lshl_add_u64 v[36:37], v[14:15], 3, s[8:9]
	v_add_u32_e32 v14, -9, v12
	v_mov_b32_e32 v17, v15
	v_lshl_add_u64 v[38:39], v[14:15], 3, s[8:9]
	v_add_u32_e32 v14, -8, v12
	global_load_dwordx2 v[54:55], v[40:41], off
	global_load_dwordx2 v[56:57], v[36:37], off
	v_lshl_add_u64 v[36:37], v[14:15], 3, s[8:9]
	global_load_dwordx2 v[58:59], v[38:39], off
	global_load_dwordx2 v[60:61], v[36:37], off
	v_mov_b32_e32 v13, v15
	v_lshl_add_u64 v[52:53], v[12:13], 3, s[8:9]
	v_add_u32_e32 v0, 16, v0
	v_cmp_ge_i32_e32 vcc, v0, v18
	s_or_b64 s[2:3], vcc, s[2:3]
	s_waitcnt vmcnt(8)
	v_subrev_u32_e32 v1, s12, v1
	v_mul_lo_u32 v16, v1, 12
	v_lshl_add_u64 v[44:45], v[16:17], 3, s[10:11]
	global_load_dwordx4 v[36:39], v[44:45], off
	global_load_dwordx4 v[40:43], v[44:45], off offset:16
	v_add_u32_e32 v14, 4, v16
	v_lshl_add_u64 v[66:67], v[14:15], 3, s[10:11]
	v_add_u32_e32 v14, -7, v12
	v_lshl_add_u64 v[68:69], v[14:15], 3, s[8:9]
	v_add_u32_e32 v14, -6, v12
	global_load_dwordx4 v[44:47], v[66:67], off
	v_lshl_add_u64 v[70:71], v[14:15], 3, s[8:9]
	v_add_u32_e32 v14, -5, v12
	v_lshl_add_u64 v[72:73], v[14:15], 3, s[8:9]
	v_add_u32_e32 v14, -4, v12
	;; [unrolled: 2-line block ×3, first 2 shown]
	v_lshl_add_u64 v[76:77], v[14:15], 3, s[8:9]
	v_add_u32_e32 v14, 8, v16
	global_load_dwordx4 v[48:51], v[66:67], off offset:16
	global_load_dwordx2 v[16:17], v[68:69], off
	global_load_dwordx2 v[78:79], v[70:71], off
	;; [unrolled: 1-line block ×4, first 2 shown]
	s_waitcnt vmcnt(15)
	v_xor_b32_e32 v62, 0x80000000, v23
	v_mov_b32_e32 v63, v22
	v_lshl_add_u64 v[66:67], v[14:15], 3, s[10:11]
	v_add_u32_e32 v14, -3, v12
	global_load_dwordx2 v[68:69], v[76:77], off
	s_waitcnt vmcnt(15)
	v_xor_b32_e32 v64, 0x80000000, v27
	v_mov_b32_e32 v65, v26
	s_waitcnt vmcnt(8)
	v_pk_fma_f32 v[8:9], v[54:55], v[36:37], v[8:9] op_sel_hi:[1,0,1]
	s_nop 0
	v_pk_fma_f32 v[54:55], v[54:55], v[36:37], v[8:9] op_sel:[1,1,0] op_sel_hi:[0,1,1] neg_lo:[1,0,0]
	v_pk_fma_f32 v[8:9], v[20:21], v[36:37], v[10:11] op_sel_hi:[1,0,1]
	v_pk_fma_f32 v[54:55], v[56:57], v[38:39], v[54:55] op_sel_hi:[1,0,1]
	v_pk_fma_f32 v[8:9], v[20:21], v[36:37], v[8:9] op_sel:[1,1,0] op_sel_hi:[0,1,1] neg_lo:[1,0,0]
	v_pk_fma_f32 v[36:37], v[22:23], v[38:39], v[8:9] op_sel_hi:[1,0,1]
	v_mov_b32_e32 v38, v39
	v_pk_fma_f32 v[36:37], v[62:63], v[38:39], v[36:37] op_sel_hi:[1,0,1]
	v_lshl_add_u64 v[62:63], v[14:15], 3, s[8:9]
	v_add_u32_e32 v14, -14, v12
	global_load_dwordx4 v[8:11], v[66:67], off
	global_load_dwordx4 v[20:23], v[66:67], off offset:16
	v_pk_fma_f32 v[38:39], v[56:57], v[38:39], v[54:55] op_sel:[1,0,0] op_sel_hi:[0,0,1] neg_lo:[1,0,0]
	v_lshl_add_u64 v[54:55], v[14:15], 3, s[8:9]
	v_add_u32_e32 v14, -2, v12
	global_load_dwordx2 v[56:57], v[62:63], off
	s_waitcnt vmcnt(10)
	v_pk_fma_f32 v[36:37], v[24:25], v[40:41], v[36:37] op_sel_hi:[1,0,1]
	global_load_dwordx2 v[54:55], v[54:55], off
	v_lshl_add_u64 v[62:63], v[14:15], 3, s[8:9]
	v_add_u32_e32 v14, -13, v12
	v_pk_fma_f32 v[24:25], v[24:25], v[40:41], v[36:37] op_sel:[1,1,0] op_sel_hi:[0,1,1] neg_lo:[1,0,0]
	v_pk_fma_f32 v[24:25], v[26:27], v[42:43], v[24:25] op_sel_hi:[1,0,1]
	v_lshl_add_u64 v[26:27], v[14:15], 3, s[8:9]
	v_add_u32_e32 v14, -1, v12
	global_load_dwordx2 v[36:37], v[62:63], off
	global_load_dwordx2 v[66:67], v[26:27], off
	v_lshl_add_u64 v[26:27], v[14:15], 3, s[8:9]
	v_add_u32_e32 v14, -12, v12
	global_load_dwordx2 v[26:27], v[26:27], off
	v_pk_fma_f32 v[38:39], v[58:59], v[40:41], v[38:39] op_sel_hi:[1,0,1]
	v_add_u32_e32 v12, 0x180, v12
	v_pk_fma_f32 v[38:39], v[58:59], v[40:41], v[38:39] op_sel:[1,1,0] op_sel_hi:[0,1,1] neg_lo:[1,0,0]
	v_lshl_add_u64 v[40:41], v[14:15], 3, s[8:9]
	global_load_dwordx2 v[58:59], v[40:41], off
	global_load_dwordx2 v[62:63], v[52:53], off
	v_pk_fma_f32 v[38:39], v[60:61], v[42:43], v[38:39] op_sel_hi:[1,0,1]
	v_mov_b32_e32 v14, v43
	v_pk_fma_f32 v[24:25], v[64:65], v[14:15], v[24:25] op_sel_hi:[1,0,1]
	v_pk_fma_f32 v[38:39], v[60:61], v[14:15], v[38:39] op_sel:[1,0,0] op_sel_hi:[0,0,1] neg_lo:[1,0,0]
	s_waitcnt vmcnt(15)
	v_pk_fma_f32 v[24:25], v[28:29], v[44:45], v[24:25] op_sel_hi:[1,0,1]
	s_waitcnt vmcnt(13)
	v_pk_fma_f32 v[38:39], v[16:17], v[44:45], v[38:39] op_sel_hi:[1,0,1]
	v_pk_fma_f32 v[24:25], v[28:29], v[44:45], v[24:25] op_sel:[1,1,0] op_sel_hi:[0,1,1] neg_lo:[1,0,0]
	v_pk_fma_f32 v[16:17], v[16:17], v[44:45], v[38:39] op_sel:[1,1,0] op_sel_hi:[0,1,1] neg_lo:[1,0,0]
	v_xor_b32_e32 v40, 0x80000000, v31
	v_mov_b32_e32 v41, v30
	v_mov_b32_e32 v14, v47
	v_pk_fma_f32 v[24:25], v[30:31], v[46:47], v[24:25] op_sel_hi:[1,0,1]
	s_waitcnt vmcnt(12)
	v_pk_fma_f32 v[16:17], v[78:79], v[46:47], v[16:17] op_sel_hi:[1,0,1]
	v_pk_fma_f32 v[24:25], v[40:41], v[14:15], v[24:25] op_sel_hi:[1,0,1]
	v_pk_fma_f32 v[16:17], v[78:79], v[14:15], v[16:17] op_sel:[1,0,0] op_sel_hi:[0,0,1] neg_lo:[1,0,0]
	v_pk_fma_f32 v[24:25], v[32:33], v[48:49], v[24:25] op_sel_hi:[1,0,1]
	s_waitcnt vmcnt(11)
	v_pk_fma_f32 v[16:17], v[80:81], v[48:49], v[16:17] op_sel_hi:[1,0,1]
	v_pk_fma_f32 v[24:25], v[32:33], v[48:49], v[24:25] op_sel:[1,1,0] op_sel_hi:[0,1,1] neg_lo:[1,0,0]
	v_pk_fma_f32 v[16:17], v[80:81], v[48:49], v[16:17] op_sel:[1,1,0] op_sel_hi:[0,1,1] neg_lo:[1,0,0]
	v_xor_b32_e32 v42, 0x80000000, v35
	v_mov_b32_e32 v43, v34
	v_mov_b32_e32 v52, v51
	v_pk_fma_f32 v[24:25], v[34:35], v[50:51], v[24:25] op_sel_hi:[1,0,1]
	s_waitcnt vmcnt(10)
	v_pk_fma_f32 v[16:17], v[82:83], v[50:51], v[16:17] op_sel_hi:[1,0,1]
	v_pk_fma_f32 v[24:25], v[42:43], v[52:53], v[24:25] op_sel_hi:[1,0,1]
	v_pk_fma_f32 v[16:17], v[82:83], v[52:53], v[16:17] op_sel:[1,0,0] op_sel_hi:[0,0,1] neg_lo:[1,0,0]
	s_waitcnt vmcnt(8)
	v_pk_fma_f32 v[24:25], v[68:69], v[8:9], v[24:25] op_sel_hi:[1,0,1]
	s_nop 0
	v_pk_fma_f32 v[24:25], v[68:69], v[8:9], v[24:25] op_sel:[1,1,0] op_sel_hi:[0,1,1] neg_lo:[1,0,0]
	v_mov_b32_e32 v28, v11
	s_waitcnt vmcnt(7)
	v_mov_b32_e32 v30, v23
	s_waitcnt vmcnt(6)
	v_pk_fma_f32 v[16:17], v[56:57], v[8:9], v[16:17] op_sel_hi:[1,0,1]
	s_nop 0
	v_pk_fma_f32 v[8:9], v[56:57], v[8:9], v[16:17] op_sel:[1,1,0] op_sel_hi:[0,1,1] neg_lo:[1,0,0]
	s_waitcnt vmcnt(5)
	v_pk_fma_f32 v[16:17], v[54:55], v[10:11], v[24:25] op_sel_hi:[1,0,1]
	s_waitcnt vmcnt(4)
	v_pk_fma_f32 v[8:9], v[36:37], v[10:11], v[8:9] op_sel_hi:[1,0,1]
	v_pk_fma_f32 v[10:11], v[54:55], v[28:29], v[16:17] op_sel:[1,0,0] op_sel_hi:[0,0,1] neg_lo:[1,0,0]
	v_pk_fma_f32 v[8:9], v[36:37], v[28:29], v[8:9] op_sel:[1,0,0] op_sel_hi:[0,0,1] neg_lo:[1,0,0]
	s_waitcnt vmcnt(3)
	v_pk_fma_f32 v[10:11], v[66:67], v[20:21], v[10:11] op_sel_hi:[1,0,1]
	s_waitcnt vmcnt(2)
	v_pk_fma_f32 v[8:9], v[26:27], v[20:21], v[8:9] op_sel_hi:[1,0,1]
	v_pk_fma_f32 v[10:11], v[66:67], v[20:21], v[10:11] op_sel:[1,1,0] op_sel_hi:[0,1,1] neg_lo:[1,0,0]
	v_pk_fma_f32 v[8:9], v[26:27], v[20:21], v[8:9] op_sel:[1,1,0] op_sel_hi:[0,1,1] neg_lo:[1,0,0]
	s_waitcnt vmcnt(1)
	v_pk_fma_f32 v[10:11], v[58:59], v[22:23], v[10:11] op_sel_hi:[1,0,1]
	s_waitcnt vmcnt(0)
	v_pk_fma_f32 v[8:9], v[62:63], v[22:23], v[8:9] op_sel_hi:[1,0,1]
	v_pk_fma_f32 v[10:11], v[58:59], v[30:31], v[10:11] op_sel:[1,0,0] op_sel_hi:[0,0,1] neg_lo:[1,0,0]
	v_pk_fma_f32 v[8:9], v[62:63], v[30:31], v[8:9] op_sel:[1,0,0] op_sel_hi:[0,0,1] neg_lo:[1,0,0]
	s_andn2_b64 exec, exec, s[2:3]
	s_cbranch_execnz .LBB204_21
; %bb.22:
	s_or_b64 exec, exec, s[2:3]
.LBB204_23:
	s_or_b64 exec, exec, s[4:5]
.LBB204_24:
	v_mov_b32_dpp v12, v8 row_shr:1 row_mask:0xf bank_mask:0xf
	v_add_f32_e32 v8, v8, v12
	v_mov_b32_dpp v0, v10 row_shr:1 row_mask:0xf bank_mask:0xf
	v_add_f32_e32 v0, v10, v0
	;; [unrolled: 2-line block ×6, first 2 shown]
	v_mov_b32_dpp v1, v0 row_shr:2 row_mask:0xf bank_mask:0xf
	v_mov_b32_dpp v11, v10 row_shr:2 row_mask:0xf bank_mask:0xf
	;; [unrolled: 1-line block ×3, first 2 shown]
	v_add_f32_e32 v0, v0, v1
	v_add_f32_e32 v10, v10, v11
	;; [unrolled: 1-line block ×3, first 2 shown]
	v_mov_b32_dpp v1, v0 row_shr:4 row_mask:0xf bank_mask:0xe
	v_mov_b32_dpp v11, v10 row_shr:4 row_mask:0xf bank_mask:0xe
	;; [unrolled: 1-line block ×3, first 2 shown]
	v_add_f32_e32 v0, v0, v1
	v_add_f32_e32 v10, v10, v11
	;; [unrolled: 1-line block ×3, first 2 shown]
	v_mov_b32_dpp v1, v0 row_shr:8 row_mask:0xf bank_mask:0xc
	v_mov_b32_dpp v11, v10 row_shr:8 row_mask:0xf bank_mask:0xc
	;; [unrolled: 1-line block ×4, first 2 shown]
	v_cmp_eq_u32_e32 vcc, 15, v7
	s_and_b64 exec, exec, vcc
	s_cbranch_execz .LBB204_29
; %bb.25:
	s_load_dwordx2 s[2:3], s[0:1], 0x38
	v_add_f32_e32 v8, v0, v1
	v_and_b32_e32 v1, 0x7fffffff, v4
	v_cmp_eq_u32_e32 vcc, 0, v1
	v_cmp_eq_f32_e64 s[0:1], 0, v5
	v_add_f32_e32 v12, v10, v11
	v_add_f32_e32 v0, v13, v14
	;; [unrolled: 1-line block ×3, first 2 shown]
	s_and_b64 s[0:1], vcc, s[0:1]
	s_and_saveexec_b64 s[4:5], s[0:1]
	s_xor_b64 s[0:1], exec, s[4:5]
	s_cbranch_execz .LBB204_27
; %bb.26:
	v_lshlrev_b32_e32 v4, 1, v6
	v_xor_b32_e32 v14, 0x80000000, v3
	v_ashrrev_i32_e32 v5, 31, v4
	v_mov_b32_e32 v15, v2
	s_waitcnt lgkmcnt(0)
	v_lshl_add_u64 v[16:17], v[4:5], 3, s[2:3]
	v_pk_mul_f32 v[4:5], v[12:13], v[14:15] op_sel_hi:[0,1]
	v_pk_mul_f32 v[6:7], v[10:11], v[14:15] op_sel_hi:[0,1]
	v_pk_fma_f32 v[4:5], v[2:3], v[8:9], v[4:5] op_sel_hi:[1,0,1]
	v_pk_fma_f32 v[6:7], v[2:3], v[0:1], v[6:7] op_sel_hi:[1,0,1]
	global_store_dwordx4 v[16:17], v[4:7], off
                                        ; implicit-def: $vgpr3
                                        ; implicit-def: $vgpr4
                                        ; implicit-def: $vgpr6
                                        ; implicit-def: $vgpr8
                                        ; implicit-def: $vgpr12
                                        ; implicit-def: $vgpr0
                                        ; implicit-def: $vgpr10
.LBB204_27:
	s_andn2_saveexec_b64 s[0:1], s[0:1]
	s_cbranch_execz .LBB204_29
; %bb.28:
	v_lshlrev_b32_e32 v6, 1, v6
	v_ashrrev_i32_e32 v7, 31, v6
	s_waitcnt lgkmcnt(0)
	v_lshl_add_u64 v[6:7], v[6:7], 3, s[2:3]
	global_load_dwordx4 v[14:17], v[6:7], off
	v_xor_b32_e32 v18, 0x80000000, v3
	v_mov_b32_e32 v19, v2
	v_pk_mul_f32 v[12:13], v[12:13], v[18:19] op_sel_hi:[0,1]
	v_pk_mul_f32 v[10:11], v[10:11], v[18:19] op_sel_hi:[0,1]
	v_pk_fma_f32 v[8:9], v[2:3], v[8:9], v[12:13] op_sel_hi:[1,0,1]
	v_pk_fma_f32 v[0:1], v[2:3], v[0:1], v[10:11] op_sel_hi:[1,0,1]
	v_xor_b32_e32 v20, 0x80000000, v5
	v_mov_b32_e32 v21, v4
	s_waitcnt vmcnt(0)
	v_pk_fma_f32 v[2:3], v[4:5], v[14:15], v[8:9] op_sel_hi:[1,0,1]
	v_pk_fma_f32 v[4:5], v[4:5], v[16:17], v[0:1] op_sel_hi:[1,0,1]
	v_mov_b32_e32 v8, v17
	v_pk_fma_f32 v[0:1], v[20:21], v[14:15], v[2:3] op_sel:[0,1,0]
	v_pk_fma_f32 v[2:3], v[20:21], v[8:9], v[4:5] op_sel_hi:[1,0,1]
	global_store_dwordx4 v[6:7], v[0:3], off
.LBB204_29:
	s_endpgm
	.section	.rodata,"a",@progbits
	.p2align	6, 0x0
	.amdhsa_kernel _ZN9rocsparseL19gebsrmvn_2xn_kernelILj128ELj12ELj16E21rocsparse_complex_numIfEEEvi20rocsparse_direction_NS_24const_host_device_scalarIT2_EEPKiS8_PKS5_SA_S6_PS5_21rocsparse_index_base_b
		.amdhsa_group_segment_fixed_size 0
		.amdhsa_private_segment_fixed_size 0
		.amdhsa_kernarg_size 72
		.amdhsa_user_sgpr_count 2
		.amdhsa_user_sgpr_dispatch_ptr 0
		.amdhsa_user_sgpr_queue_ptr 0
		.amdhsa_user_sgpr_kernarg_segment_ptr 1
		.amdhsa_user_sgpr_dispatch_id 0
		.amdhsa_user_sgpr_kernarg_preload_length 0
		.amdhsa_user_sgpr_kernarg_preload_offset 0
		.amdhsa_user_sgpr_private_segment_size 0
		.amdhsa_uses_dynamic_stack 0
		.amdhsa_enable_private_segment 0
		.amdhsa_system_sgpr_workgroup_id_x 1
		.amdhsa_system_sgpr_workgroup_id_y 0
		.amdhsa_system_sgpr_workgroup_id_z 0
		.amdhsa_system_sgpr_workgroup_info 0
		.amdhsa_system_vgpr_workitem_id 0
		.amdhsa_next_free_vgpr 86
		.amdhsa_next_free_sgpr 16
		.amdhsa_accum_offset 88
		.amdhsa_reserve_vcc 1
		.amdhsa_float_round_mode_32 0
		.amdhsa_float_round_mode_16_64 0
		.amdhsa_float_denorm_mode_32 3
		.amdhsa_float_denorm_mode_16_64 3
		.amdhsa_dx10_clamp 1
		.amdhsa_ieee_mode 1
		.amdhsa_fp16_overflow 0
		.amdhsa_tg_split 0
		.amdhsa_exception_fp_ieee_invalid_op 0
		.amdhsa_exception_fp_denorm_src 0
		.amdhsa_exception_fp_ieee_div_zero 0
		.amdhsa_exception_fp_ieee_overflow 0
		.amdhsa_exception_fp_ieee_underflow 0
		.amdhsa_exception_fp_ieee_inexact 0
		.amdhsa_exception_int_div_zero 0
	.end_amdhsa_kernel
	.section	.text._ZN9rocsparseL19gebsrmvn_2xn_kernelILj128ELj12ELj16E21rocsparse_complex_numIfEEEvi20rocsparse_direction_NS_24const_host_device_scalarIT2_EEPKiS8_PKS5_SA_S6_PS5_21rocsparse_index_base_b,"axG",@progbits,_ZN9rocsparseL19gebsrmvn_2xn_kernelILj128ELj12ELj16E21rocsparse_complex_numIfEEEvi20rocsparse_direction_NS_24const_host_device_scalarIT2_EEPKiS8_PKS5_SA_S6_PS5_21rocsparse_index_base_b,comdat
.Lfunc_end204:
	.size	_ZN9rocsparseL19gebsrmvn_2xn_kernelILj128ELj12ELj16E21rocsparse_complex_numIfEEEvi20rocsparse_direction_NS_24const_host_device_scalarIT2_EEPKiS8_PKS5_SA_S6_PS5_21rocsparse_index_base_b, .Lfunc_end204-_ZN9rocsparseL19gebsrmvn_2xn_kernelILj128ELj12ELj16E21rocsparse_complex_numIfEEEvi20rocsparse_direction_NS_24const_host_device_scalarIT2_EEPKiS8_PKS5_SA_S6_PS5_21rocsparse_index_base_b
                                        ; -- End function
	.section	.AMDGPU.csdata,"",@progbits
; Kernel info:
; codeLenInByte = 2888
; NumSgprs: 22
; NumVgprs: 86
; NumAgprs: 0
; TotalNumVgprs: 86
; ScratchSize: 0
; MemoryBound: 0
; FloatMode: 240
; IeeeMode: 1
; LDSByteSize: 0 bytes/workgroup (compile time only)
; SGPRBlocks: 2
; VGPRBlocks: 10
; NumSGPRsForWavesPerEU: 22
; NumVGPRsForWavesPerEU: 86
; AccumOffset: 88
; Occupancy: 5
; WaveLimiterHint : 1
; COMPUTE_PGM_RSRC2:SCRATCH_EN: 0
; COMPUTE_PGM_RSRC2:USER_SGPR: 2
; COMPUTE_PGM_RSRC2:TRAP_HANDLER: 0
; COMPUTE_PGM_RSRC2:TGID_X_EN: 1
; COMPUTE_PGM_RSRC2:TGID_Y_EN: 0
; COMPUTE_PGM_RSRC2:TGID_Z_EN: 0
; COMPUTE_PGM_RSRC2:TIDIG_COMP_CNT: 0
; COMPUTE_PGM_RSRC3_GFX90A:ACCUM_OFFSET: 21
; COMPUTE_PGM_RSRC3_GFX90A:TG_SPLIT: 0
	.section	.text._ZN9rocsparseL19gebsrmvn_2xn_kernelILj128ELj12ELj32E21rocsparse_complex_numIfEEEvi20rocsparse_direction_NS_24const_host_device_scalarIT2_EEPKiS8_PKS5_SA_S6_PS5_21rocsparse_index_base_b,"axG",@progbits,_ZN9rocsparseL19gebsrmvn_2xn_kernelILj128ELj12ELj32E21rocsparse_complex_numIfEEEvi20rocsparse_direction_NS_24const_host_device_scalarIT2_EEPKiS8_PKS5_SA_S6_PS5_21rocsparse_index_base_b,comdat
	.globl	_ZN9rocsparseL19gebsrmvn_2xn_kernelILj128ELj12ELj32E21rocsparse_complex_numIfEEEvi20rocsparse_direction_NS_24const_host_device_scalarIT2_EEPKiS8_PKS5_SA_S6_PS5_21rocsparse_index_base_b ; -- Begin function _ZN9rocsparseL19gebsrmvn_2xn_kernelILj128ELj12ELj32E21rocsparse_complex_numIfEEEvi20rocsparse_direction_NS_24const_host_device_scalarIT2_EEPKiS8_PKS5_SA_S6_PS5_21rocsparse_index_base_b
	.p2align	8
	.type	_ZN9rocsparseL19gebsrmvn_2xn_kernelILj128ELj12ELj32E21rocsparse_complex_numIfEEEvi20rocsparse_direction_NS_24const_host_device_scalarIT2_EEPKiS8_PKS5_SA_S6_PS5_21rocsparse_index_base_b,@function
_ZN9rocsparseL19gebsrmvn_2xn_kernelILj128ELj12ELj32E21rocsparse_complex_numIfEEEvi20rocsparse_direction_NS_24const_host_device_scalarIT2_EEPKiS8_PKS5_SA_S6_PS5_21rocsparse_index_base_b: ; @_ZN9rocsparseL19gebsrmvn_2xn_kernelILj128ELj12ELj32E21rocsparse_complex_numIfEEEvi20rocsparse_direction_NS_24const_host_device_scalarIT2_EEPKiS8_PKS5_SA_S6_PS5_21rocsparse_index_base_b
; %bb.0:
	s_load_dwordx2 s[12:13], s[0:1], 0x40
	s_load_dwordx2 s[8:9], s[0:1], 0x8
	;; [unrolled: 1-line block ×3, first 2 shown]
	s_waitcnt lgkmcnt(0)
	s_bitcmp1_b32 s13, 0
	s_cselect_b64 s[4:5], -1, 0
	s_xor_b64 s[10:11], s[4:5], -1
	s_and_b64 vcc, exec, s[4:5]
	v_mov_b32_e32 v2, s8
	s_cbranch_vccnz .LBB205_2
; %bb.1:
	v_mov_b64_e32 v[2:3], s[8:9]
	flat_load_dword v2, v[2:3]
.LBB205_2:
	v_cndmask_b32_e64 v1, 0, 1, s[10:11]
	v_cmp_ne_u32_e64 s[4:5], 1, v1
	s_andn2_b64 vcc, exec, s[10:11]
	v_mov_b32_e32 v3, s9
	s_cbranch_vccz .LBB205_16
; %bb.3:
	s_and_b64 vcc, exec, s[4:5]
	v_mov_b32_e32 v4, s6
	s_cbranch_vccz .LBB205_17
.LBB205_4:
	s_and_b64 vcc, exec, s[4:5]
	v_mov_b32_e32 v5, s7
	s_cbranch_vccnz .LBB205_6
.LBB205_5:
	v_mov_b64_e32 v[6:7], s[6:7]
	flat_load_dword v5, v[6:7] offset:4
.LBB205_6:
	s_waitcnt vmcnt(0) lgkmcnt(0)
	v_and_b32_e32 v1, 0x7fffffff, v2
	v_cmp_eq_u32_e32 vcc, 0, v1
	v_cmp_eq_f32_e64 s[4:5], 0, v3
	s_and_b64 s[8:9], vcc, s[4:5]
	s_mov_b64 s[4:5], -1
	s_and_saveexec_b64 s[6:7], s[8:9]
; %bb.7:
	v_and_b32_e32 v1, 0x7fffffff, v5
	v_cmp_neq_f32_e32 vcc, 1.0, v4
	v_cmp_ne_u32_e64 s[4:5], 0, v1
	s_or_b64 s[4:5], vcc, s[4:5]
	s_orn2_b64 s[4:5], s[4:5], exec
; %bb.8:
	s_or_b64 exec, exec, s[6:7]
	s_and_saveexec_b64 s[6:7], s[4:5]
	s_cbranch_execz .LBB205_29
; %bb.9:
	s_load_dwordx2 s[14:15], s[0:1], 0x0
	v_lshrrev_b32_e32 v1, 5, v0
	v_lshl_or_b32 v6, s2, 2, v1
	s_waitcnt lgkmcnt(0)
	v_cmp_gt_i32_e32 vcc, s14, v6
	s_and_b64 exec, exec, vcc
	s_cbranch_execz .LBB205_29
; %bb.10:
	s_load_dwordx8 s[4:11], s[0:1], 0x10
	v_ashrrev_i32_e32 v7, 31, v6
	s_cmp_lg_u32 s15, 0
	s_waitcnt lgkmcnt(0)
	v_lshl_add_u64 v[8:9], v[6:7], 2, s[4:5]
	global_load_dwordx2 v[8:9], v[8:9], off
	v_and_b32_e32 v7, 31, v0
	s_waitcnt vmcnt(0)
	v_subrev_u32_e32 v0, s12, v8
	v_subrev_u32_e32 v18, s12, v9
	v_add_u32_e32 v0, v0, v7
	v_cmp_lt_i32_e64 s[2:3], v0, v18
	s_cbranch_scc0 .LBB205_18
; %bb.11:
	v_mov_b32_e32 v11, 0
	v_mov_b32_e32 v10, v11
	;; [unrolled: 1-line block ×4, first 2 shown]
	s_and_saveexec_b64 s[4:5], s[2:3]
	s_cbranch_execz .LBB205_15
; %bb.12:
	v_mov_b32_e32 v13, 0
	v_mul_lo_u32 v12, v0, 24
	s_mov_b64 s[14:15], 0
	v_mov_b32_e32 v14, v0
	v_mov_b32_e32 v8, v13
	;; [unrolled: 1-line block ×5, first 2 shown]
.LBB205_13:                             ; =>This Inner Loop Header: Depth=1
	v_ashrrev_i32_e32 v15, 31, v14
	v_lshl_add_u64 v[16:17], v[12:13], 3, s[8:9]
	v_add_u32_e32 v36, 8, v12
	v_mov_b32_e32 v37, v13
	v_add_u32_e32 v38, 16, v12
	v_mov_b32_e32 v39, v13
	v_lshl_add_u64 v[66:67], v[14:15], 2, s[6:7]
	global_load_dwordx4 v[20:23], v[16:17], off offset:16
	global_load_dwordx4 v[24:27], v[16:17], off
	global_load_dwordx4 v[28:31], v[16:17], off offset:48
	global_load_dwordx4 v[32:35], v[16:17], off offset:32
	v_lshl_add_u64 v[16:17], v[36:37], 3, s[8:9]
	v_lshl_add_u64 v[76:77], v[38:39], 3, s[8:9]
	global_load_dword v1, v[66:67], off
	global_load_dwordx4 v[36:39], v[16:17], off offset:48
	global_load_dwordx4 v[40:43], v[16:17], off offset:32
	;; [unrolled: 1-line block ×3, first 2 shown]
	global_load_dwordx4 v[48:51], v[16:17], off
	global_load_dwordx4 v[52:55], v[76:77], off offset:32
	global_load_dwordx4 v[56:59], v[76:77], off offset:16
	global_load_dwordx4 v[60:63], v[76:77], off
	v_mov_b32_e32 v65, v13
	v_mov_b32_e32 v73, v13
	;; [unrolled: 1-line block ×3, first 2 shown]
	v_add_u32_e32 v14, 32, v14
	v_cmp_ge_i32_e32 vcc, v14, v18
	v_add_u32_e32 v12, 0x300, v12
	s_or_b64 s[14:15], vcc, s[14:15]
	s_waitcnt vmcnt(7)
	v_subrev_u32_e32 v1, s12, v1
	v_mul_lo_u32 v64, v1, 12
	v_lshl_add_u64 v[80:81], v[64:65], 3, s[10:11]
	v_add_u32_e32 v72, 4, v64
	v_add_u32_e32 v74, 8, v64
	global_load_dwordx4 v[64:67], v[80:81], off
	global_load_dwordx4 v[68:71], v[80:81], off offset:16
	v_lshl_add_u64 v[80:81], v[72:73], 3, s[10:11]
	v_lshl_add_u64 v[82:83], v[74:75], 3, s[10:11]
	global_load_dwordx4 v[72:75], v[80:81], off
	v_xor_b32_e32 v16, 0x80000000, v27
	v_mov_b32_e32 v17, v26
	v_xor_b32_e32 v78, 0x80000000, v23
	v_mov_b32_e32 v79, v22
	s_waitcnt vmcnt(2)
	v_pk_fma_f32 v[10:11], v[24:25], v[64:65], v[10:11] op_sel_hi:[1,0,1]
	v_pk_fma_f32 v[26:27], v[26:27], v[64:65], v[8:9] op_sel_hi:[1,0,1]
	v_pk_fma_f32 v[84:85], v[24:25], v[64:65], v[10:11] op_sel:[1,1,0] op_sel_hi:[0,1,1] neg_lo:[1,0,0]
	global_load_dwordx4 v[8:11], v[80:81], off offset:16
	v_pk_fma_f32 v[16:17], v[16:17], v[64:65], v[26:27] op_sel:[0,1,0]
	global_load_dwordx4 v[24:27], v[82:83], off offset:16
	v_pk_fma_f32 v[80:81], v[20:21], v[66:67], v[84:85] op_sel_hi:[1,0,1]
	v_pk_fma_f32 v[16:17], v[22:23], v[66:67], v[16:17] op_sel_hi:[1,0,1]
	v_mov_b32_e32 v84, v67
	global_load_dwordx4 v[64:67], v[82:83], off
	v_pk_fma_f32 v[80:81], v[20:21], v[84:85], v[80:81] op_sel:[1,0,0] op_sel_hi:[0,0,1] neg_lo:[1,0,0]
	global_load_dwordx4 v[20:23], v[76:77], off offset:48
	v_pk_fma_f32 v[16:17], v[78:79], v[84:85], v[16:17] op_sel_hi:[1,0,1]
	v_xor_b32_e32 v76, 0x80000000, v35
	v_mov_b32_e32 v77, v34
	s_waitcnt vmcnt(5)
	v_pk_fma_f32 v[80:81], v[32:33], v[68:69], v[80:81] op_sel_hi:[1,0,1]
	v_pk_fma_f32 v[16:17], v[34:35], v[68:69], v[16:17] op_sel_hi:[1,0,1]
	v_pk_fma_f32 v[32:33], v[32:33], v[68:69], v[80:81] op_sel:[1,1,0] op_sel_hi:[0,1,1] neg_lo:[1,0,0]
	v_pk_fma_f32 v[16:17], v[76:77], v[68:69], v[16:17] op_sel:[0,1,0]
	v_xor_b32_e32 v78, 0x80000000, v31
	v_mov_b32_e32 v79, v30
	v_pk_fma_f32 v[32:33], v[28:29], v[70:71], v[32:33] op_sel_hi:[1,0,1]
	v_pk_fma_f32 v[16:17], v[30:31], v[70:71], v[16:17] op_sel_hi:[1,0,1]
	v_mov_b32_e32 v30, v71
	v_pk_fma_f32 v[28:29], v[28:29], v[30:31], v[32:33] op_sel:[1,0,0] op_sel_hi:[0,0,1] neg_lo:[1,0,0]
	v_pk_fma_f32 v[16:17], v[78:79], v[30:31], v[16:17] op_sel_hi:[1,0,1]
	v_xor_b32_e32 v82, 0x80000000, v51
	v_mov_b32_e32 v83, v50
	s_waitcnt vmcnt(4)
	v_pk_fma_f32 v[28:29], v[48:49], v[72:73], v[28:29] op_sel_hi:[1,0,1]
	v_pk_fma_f32 v[16:17], v[50:51], v[72:73], v[16:17] op_sel_hi:[1,0,1]
	v_pk_fma_f32 v[28:29], v[48:49], v[72:73], v[28:29] op_sel:[1,1,0] op_sel_hi:[0,1,1] neg_lo:[1,0,0]
	v_pk_fma_f32 v[16:17], v[82:83], v[72:73], v[16:17] op_sel:[0,1,0]
	v_xor_b32_e32 v34, 0x80000000, v47
	v_mov_b32_e32 v35, v46
	v_mov_b32_e32 v78, v75
	v_pk_fma_f32 v[28:29], v[44:45], v[74:75], v[28:29] op_sel_hi:[1,0,1]
	v_pk_fma_f32 v[16:17], v[46:47], v[74:75], v[16:17] op_sel_hi:[1,0,1]
	v_pk_fma_f32 v[28:29], v[44:45], v[78:79], v[28:29] op_sel:[1,0,0] op_sel_hi:[0,0,1] neg_lo:[1,0,0]
	v_pk_fma_f32 v[16:17], v[34:35], v[78:79], v[16:17] op_sel_hi:[1,0,1]
	v_xor_b32_e32 v80, 0x80000000, v43
	v_mov_b32_e32 v81, v42
	v_xor_b32_e32 v68, 0x80000000, v39
	v_mov_b32_e32 v69, v38
	;; [unrolled: 2-line block ×5, first 2 shown]
	s_waitcnt vmcnt(3)
	v_pk_fma_f32 v[28:29], v[40:41], v[8:9], v[28:29] op_sel_hi:[1,0,1]
	v_pk_fma_f32 v[16:17], v[42:43], v[8:9], v[16:17] op_sel_hi:[1,0,1]
	v_pk_fma_f32 v[28:29], v[40:41], v[8:9], v[28:29] op_sel:[1,1,0] op_sel_hi:[0,1,1] neg_lo:[1,0,0]
	v_pk_fma_f32 v[8:9], v[80:81], v[8:9], v[16:17] op_sel:[0,1,0]
	v_mov_b32_e32 v48, v11
	v_pk_fma_f32 v[16:17], v[36:37], v[10:11], v[28:29] op_sel_hi:[1,0,1]
	v_pk_fma_f32 v[8:9], v[38:39], v[10:11], v[8:9] op_sel_hi:[1,0,1]
	v_pk_fma_f32 v[10:11], v[36:37], v[48:49], v[16:17] op_sel:[1,0,0] op_sel_hi:[0,0,1] neg_lo:[1,0,0]
	v_pk_fma_f32 v[8:9], v[68:69], v[48:49], v[8:9] op_sel_hi:[1,0,1]
	s_waitcnt vmcnt(1)
	v_pk_fma_f32 v[10:11], v[60:61], v[64:65], v[10:11] op_sel_hi:[1,0,1]
	v_pk_fma_f32 v[8:9], v[62:63], v[64:65], v[8:9] op_sel_hi:[1,0,1]
	v_pk_fma_f32 v[10:11], v[60:61], v[64:65], v[10:11] op_sel:[1,1,0] op_sel_hi:[0,1,1] neg_lo:[1,0,0]
	v_pk_fma_f32 v[8:9], v[70:71], v[64:65], v[8:9] op_sel:[0,1,0]
	v_mov_b32_e32 v50, v67
	v_pk_fma_f32 v[10:11], v[56:57], v[66:67], v[10:11] op_sel_hi:[1,0,1]
	v_pk_fma_f32 v[8:9], v[58:59], v[66:67], v[8:9] op_sel_hi:[1,0,1]
	v_pk_fma_f32 v[10:11], v[56:57], v[50:51], v[10:11] op_sel:[1,0,0] op_sel_hi:[0,0,1] neg_lo:[1,0,0]
	v_pk_fma_f32 v[8:9], v[32:33], v[50:51], v[8:9] op_sel_hi:[1,0,1]
	v_pk_fma_f32 v[10:11], v[52:53], v[24:25], v[10:11] op_sel_hi:[1,0,1]
	;; [unrolled: 1-line block ×3, first 2 shown]
	v_pk_fma_f32 v[10:11], v[52:53], v[24:25], v[10:11] op_sel:[1,1,0] op_sel_hi:[0,1,1] neg_lo:[1,0,0]
	v_pk_fma_f32 v[8:9], v[76:77], v[24:25], v[8:9] op_sel:[0,1,0]
	s_waitcnt vmcnt(0)
	v_xor_b32_e32 v30, 0x80000000, v23
	v_mov_b32_e32 v31, v22
	v_mov_b32_e32 v72, v27
	v_pk_fma_f32 v[10:11], v[20:21], v[26:27], v[10:11] op_sel_hi:[1,0,1]
	v_pk_fma_f32 v[8:9], v[22:23], v[26:27], v[8:9] op_sel_hi:[1,0,1]
	v_pk_fma_f32 v[10:11], v[20:21], v[72:73], v[10:11] op_sel:[1,0,0] op_sel_hi:[0,0,1] neg_lo:[1,0,0]
	v_pk_fma_f32 v[8:9], v[30:31], v[72:73], v[8:9] op_sel_hi:[1,0,1]
	s_andn2_b64 exec, exec, s[14:15]
	s_cbranch_execnz .LBB205_13
; %bb.14:
	s_or_b64 exec, exec, s[14:15]
.LBB205_15:
	s_or_b64 exec, exec, s[4:5]
	s_cbranch_execz .LBB205_19
	s_branch .LBB205_24
.LBB205_16:
	v_mov_b64_e32 v[4:5], s[8:9]
	flat_load_dword v3, v[4:5] offset:4
	s_and_b64 vcc, exec, s[4:5]
	v_mov_b32_e32 v4, s6
	s_cbranch_vccnz .LBB205_4
.LBB205_17:
	v_mov_b64_e32 v[4:5], s[6:7]
	flat_load_dword v4, v[4:5]
	s_and_b64 vcc, exec, s[4:5]
	v_mov_b32_e32 v5, s7
	s_cbranch_vccz .LBB205_5
	s_branch .LBB205_6
.LBB205_18:
                                        ; implicit-def: $vgpr11
                                        ; implicit-def: $vgpr9
.LBB205_19:
	v_mov_b32_e32 v11, 0
	v_mov_b32_e32 v10, v11
	;; [unrolled: 1-line block ×4, first 2 shown]
	s_and_saveexec_b64 s[4:5], s[2:3]
	s_cbranch_execz .LBB205_23
; %bb.20:
	v_mad_u64_u32 v[12:13], s[2:3], v0, 24, 23
	v_mov_b32_e32 v15, 0
	s_mov_b64 s[2:3], 0
	v_mov_b32_e32 v8, v15
	v_mov_b32_e32 v9, v15
	;; [unrolled: 1-line block ×4, first 2 shown]
.LBB205_21:                             ; =>This Inner Loop Header: Depth=1
	v_ashrrev_i32_e32 v1, 31, v0
	v_subrev_u32_e32 v14, 23, v12
	v_add_u32_e32 v20, -11, v12
	v_mov_b32_e32 v21, v15
	v_lshl_add_u64 v[36:37], v[0:1], 2, s[6:7]
	v_lshl_add_u64 v[38:39], v[14:15], 3, s[8:9]
	;; [unrolled: 1-line block ×3, first 2 shown]
	global_load_dword v1, v[36:37], off
	global_load_dwordx4 v[20:23], v[38:39], off
	global_load_dwordx4 v[24:27], v[38:39], off offset:16
	global_load_dwordx4 v[28:31], v[38:39], off offset:32
	;; [unrolled: 1-line block ×3, first 2 shown]
	v_add_u32_e32 v14, -10, v12
	v_lshl_add_u64 v[36:37], v[14:15], 3, s[8:9]
	v_add_u32_e32 v14, -9, v12
	v_mov_b32_e32 v17, v15
	v_lshl_add_u64 v[38:39], v[14:15], 3, s[8:9]
	v_add_u32_e32 v14, -8, v12
	global_load_dwordx2 v[54:55], v[40:41], off
	global_load_dwordx2 v[56:57], v[36:37], off
	v_lshl_add_u64 v[36:37], v[14:15], 3, s[8:9]
	global_load_dwordx2 v[58:59], v[38:39], off
	global_load_dwordx2 v[60:61], v[36:37], off
	v_mov_b32_e32 v13, v15
	v_lshl_add_u64 v[52:53], v[12:13], 3, s[8:9]
	v_add_u32_e32 v0, 32, v0
	v_cmp_ge_i32_e32 vcc, v0, v18
	s_or_b64 s[2:3], vcc, s[2:3]
	s_waitcnt vmcnt(8)
	v_subrev_u32_e32 v1, s12, v1
	v_mul_lo_u32 v16, v1, 12
	v_lshl_add_u64 v[44:45], v[16:17], 3, s[10:11]
	global_load_dwordx4 v[36:39], v[44:45], off
	global_load_dwordx4 v[40:43], v[44:45], off offset:16
	v_add_u32_e32 v14, 4, v16
	v_lshl_add_u64 v[66:67], v[14:15], 3, s[10:11]
	v_add_u32_e32 v14, -7, v12
	v_lshl_add_u64 v[68:69], v[14:15], 3, s[8:9]
	v_add_u32_e32 v14, -6, v12
	global_load_dwordx4 v[44:47], v[66:67], off
	v_lshl_add_u64 v[70:71], v[14:15], 3, s[8:9]
	v_add_u32_e32 v14, -5, v12
	v_lshl_add_u64 v[72:73], v[14:15], 3, s[8:9]
	v_add_u32_e32 v14, -4, v12
	;; [unrolled: 2-line block ×3, first 2 shown]
	v_lshl_add_u64 v[76:77], v[14:15], 3, s[8:9]
	v_add_u32_e32 v14, 8, v16
	global_load_dwordx4 v[48:51], v[66:67], off offset:16
	global_load_dwordx2 v[16:17], v[68:69], off
	global_load_dwordx2 v[78:79], v[70:71], off
	;; [unrolled: 1-line block ×4, first 2 shown]
	s_waitcnt vmcnt(15)
	v_xor_b32_e32 v62, 0x80000000, v23
	v_mov_b32_e32 v63, v22
	v_lshl_add_u64 v[66:67], v[14:15], 3, s[10:11]
	v_add_u32_e32 v14, -3, v12
	global_load_dwordx2 v[68:69], v[76:77], off
	s_waitcnt vmcnt(15)
	v_xor_b32_e32 v64, 0x80000000, v27
	v_mov_b32_e32 v65, v26
	s_waitcnt vmcnt(8)
	v_pk_fma_f32 v[8:9], v[54:55], v[36:37], v[8:9] op_sel_hi:[1,0,1]
	s_nop 0
	v_pk_fma_f32 v[54:55], v[54:55], v[36:37], v[8:9] op_sel:[1,1,0] op_sel_hi:[0,1,1] neg_lo:[1,0,0]
	v_pk_fma_f32 v[8:9], v[20:21], v[36:37], v[10:11] op_sel_hi:[1,0,1]
	v_pk_fma_f32 v[54:55], v[56:57], v[38:39], v[54:55] op_sel_hi:[1,0,1]
	v_pk_fma_f32 v[8:9], v[20:21], v[36:37], v[8:9] op_sel:[1,1,0] op_sel_hi:[0,1,1] neg_lo:[1,0,0]
	v_pk_fma_f32 v[36:37], v[22:23], v[38:39], v[8:9] op_sel_hi:[1,0,1]
	v_mov_b32_e32 v38, v39
	v_pk_fma_f32 v[36:37], v[62:63], v[38:39], v[36:37] op_sel_hi:[1,0,1]
	v_lshl_add_u64 v[62:63], v[14:15], 3, s[8:9]
	v_add_u32_e32 v14, -14, v12
	global_load_dwordx4 v[8:11], v[66:67], off
	global_load_dwordx4 v[20:23], v[66:67], off offset:16
	v_pk_fma_f32 v[38:39], v[56:57], v[38:39], v[54:55] op_sel:[1,0,0] op_sel_hi:[0,0,1] neg_lo:[1,0,0]
	v_lshl_add_u64 v[54:55], v[14:15], 3, s[8:9]
	v_add_u32_e32 v14, -2, v12
	global_load_dwordx2 v[56:57], v[62:63], off
	s_waitcnt vmcnt(10)
	v_pk_fma_f32 v[36:37], v[24:25], v[40:41], v[36:37] op_sel_hi:[1,0,1]
	global_load_dwordx2 v[54:55], v[54:55], off
	v_lshl_add_u64 v[62:63], v[14:15], 3, s[8:9]
	v_add_u32_e32 v14, -13, v12
	v_pk_fma_f32 v[24:25], v[24:25], v[40:41], v[36:37] op_sel:[1,1,0] op_sel_hi:[0,1,1] neg_lo:[1,0,0]
	v_pk_fma_f32 v[24:25], v[26:27], v[42:43], v[24:25] op_sel_hi:[1,0,1]
	v_lshl_add_u64 v[26:27], v[14:15], 3, s[8:9]
	v_add_u32_e32 v14, -1, v12
	global_load_dwordx2 v[36:37], v[62:63], off
	global_load_dwordx2 v[66:67], v[26:27], off
	v_lshl_add_u64 v[26:27], v[14:15], 3, s[8:9]
	v_add_u32_e32 v14, -12, v12
	global_load_dwordx2 v[26:27], v[26:27], off
	v_pk_fma_f32 v[38:39], v[58:59], v[40:41], v[38:39] op_sel_hi:[1,0,1]
	v_add_u32_e32 v12, 0x300, v12
	v_pk_fma_f32 v[38:39], v[58:59], v[40:41], v[38:39] op_sel:[1,1,0] op_sel_hi:[0,1,1] neg_lo:[1,0,0]
	v_lshl_add_u64 v[40:41], v[14:15], 3, s[8:9]
	global_load_dwordx2 v[58:59], v[40:41], off
	global_load_dwordx2 v[62:63], v[52:53], off
	v_pk_fma_f32 v[38:39], v[60:61], v[42:43], v[38:39] op_sel_hi:[1,0,1]
	v_mov_b32_e32 v14, v43
	v_pk_fma_f32 v[24:25], v[64:65], v[14:15], v[24:25] op_sel_hi:[1,0,1]
	v_pk_fma_f32 v[38:39], v[60:61], v[14:15], v[38:39] op_sel:[1,0,0] op_sel_hi:[0,0,1] neg_lo:[1,0,0]
	s_waitcnt vmcnt(15)
	v_pk_fma_f32 v[24:25], v[28:29], v[44:45], v[24:25] op_sel_hi:[1,0,1]
	s_waitcnt vmcnt(13)
	v_pk_fma_f32 v[38:39], v[16:17], v[44:45], v[38:39] op_sel_hi:[1,0,1]
	v_pk_fma_f32 v[24:25], v[28:29], v[44:45], v[24:25] op_sel:[1,1,0] op_sel_hi:[0,1,1] neg_lo:[1,0,0]
	v_pk_fma_f32 v[16:17], v[16:17], v[44:45], v[38:39] op_sel:[1,1,0] op_sel_hi:[0,1,1] neg_lo:[1,0,0]
	v_xor_b32_e32 v40, 0x80000000, v31
	v_mov_b32_e32 v41, v30
	v_mov_b32_e32 v14, v47
	v_pk_fma_f32 v[24:25], v[30:31], v[46:47], v[24:25] op_sel_hi:[1,0,1]
	s_waitcnt vmcnt(12)
	v_pk_fma_f32 v[16:17], v[78:79], v[46:47], v[16:17] op_sel_hi:[1,0,1]
	v_pk_fma_f32 v[24:25], v[40:41], v[14:15], v[24:25] op_sel_hi:[1,0,1]
	v_pk_fma_f32 v[16:17], v[78:79], v[14:15], v[16:17] op_sel:[1,0,0] op_sel_hi:[0,0,1] neg_lo:[1,0,0]
	v_pk_fma_f32 v[24:25], v[32:33], v[48:49], v[24:25] op_sel_hi:[1,0,1]
	s_waitcnt vmcnt(11)
	v_pk_fma_f32 v[16:17], v[80:81], v[48:49], v[16:17] op_sel_hi:[1,0,1]
	v_pk_fma_f32 v[24:25], v[32:33], v[48:49], v[24:25] op_sel:[1,1,0] op_sel_hi:[0,1,1] neg_lo:[1,0,0]
	v_pk_fma_f32 v[16:17], v[80:81], v[48:49], v[16:17] op_sel:[1,1,0] op_sel_hi:[0,1,1] neg_lo:[1,0,0]
	v_xor_b32_e32 v42, 0x80000000, v35
	v_mov_b32_e32 v43, v34
	v_mov_b32_e32 v52, v51
	v_pk_fma_f32 v[24:25], v[34:35], v[50:51], v[24:25] op_sel_hi:[1,0,1]
	s_waitcnt vmcnt(10)
	v_pk_fma_f32 v[16:17], v[82:83], v[50:51], v[16:17] op_sel_hi:[1,0,1]
	v_pk_fma_f32 v[24:25], v[42:43], v[52:53], v[24:25] op_sel_hi:[1,0,1]
	v_pk_fma_f32 v[16:17], v[82:83], v[52:53], v[16:17] op_sel:[1,0,0] op_sel_hi:[0,0,1] neg_lo:[1,0,0]
	s_waitcnt vmcnt(8)
	v_pk_fma_f32 v[24:25], v[68:69], v[8:9], v[24:25] op_sel_hi:[1,0,1]
	s_nop 0
	v_pk_fma_f32 v[24:25], v[68:69], v[8:9], v[24:25] op_sel:[1,1,0] op_sel_hi:[0,1,1] neg_lo:[1,0,0]
	v_mov_b32_e32 v28, v11
	s_waitcnt vmcnt(7)
	v_mov_b32_e32 v30, v23
	s_waitcnt vmcnt(6)
	v_pk_fma_f32 v[16:17], v[56:57], v[8:9], v[16:17] op_sel_hi:[1,0,1]
	s_nop 0
	v_pk_fma_f32 v[8:9], v[56:57], v[8:9], v[16:17] op_sel:[1,1,0] op_sel_hi:[0,1,1] neg_lo:[1,0,0]
	s_waitcnt vmcnt(5)
	v_pk_fma_f32 v[16:17], v[54:55], v[10:11], v[24:25] op_sel_hi:[1,0,1]
	s_waitcnt vmcnt(4)
	v_pk_fma_f32 v[8:9], v[36:37], v[10:11], v[8:9] op_sel_hi:[1,0,1]
	v_pk_fma_f32 v[10:11], v[54:55], v[28:29], v[16:17] op_sel:[1,0,0] op_sel_hi:[0,0,1] neg_lo:[1,0,0]
	v_pk_fma_f32 v[8:9], v[36:37], v[28:29], v[8:9] op_sel:[1,0,0] op_sel_hi:[0,0,1] neg_lo:[1,0,0]
	s_waitcnt vmcnt(3)
	v_pk_fma_f32 v[10:11], v[66:67], v[20:21], v[10:11] op_sel_hi:[1,0,1]
	s_waitcnt vmcnt(2)
	v_pk_fma_f32 v[8:9], v[26:27], v[20:21], v[8:9] op_sel_hi:[1,0,1]
	v_pk_fma_f32 v[10:11], v[66:67], v[20:21], v[10:11] op_sel:[1,1,0] op_sel_hi:[0,1,1] neg_lo:[1,0,0]
	v_pk_fma_f32 v[8:9], v[26:27], v[20:21], v[8:9] op_sel:[1,1,0] op_sel_hi:[0,1,1] neg_lo:[1,0,0]
	s_waitcnt vmcnt(1)
	v_pk_fma_f32 v[10:11], v[58:59], v[22:23], v[10:11] op_sel_hi:[1,0,1]
	s_waitcnt vmcnt(0)
	v_pk_fma_f32 v[8:9], v[62:63], v[22:23], v[8:9] op_sel_hi:[1,0,1]
	v_pk_fma_f32 v[10:11], v[58:59], v[30:31], v[10:11] op_sel:[1,0,0] op_sel_hi:[0,0,1] neg_lo:[1,0,0]
	v_pk_fma_f32 v[8:9], v[62:63], v[30:31], v[8:9] op_sel:[1,0,0] op_sel_hi:[0,0,1] neg_lo:[1,0,0]
	s_andn2_b64 exec, exec, s[2:3]
	s_cbranch_execnz .LBB205_21
; %bb.22:
	s_or_b64 exec, exec, s[2:3]
.LBB205_23:
	s_or_b64 exec, exec, s[4:5]
.LBB205_24:
	v_mov_b32_dpp v12, v8 row_shr:1 row_mask:0xf bank_mask:0xf
	v_add_f32_e32 v8, v8, v12
	v_mov_b32_dpp v0, v10 row_shr:1 row_mask:0xf bank_mask:0xf
	v_add_f32_e32 v0, v10, v0
	;; [unrolled: 2-line block ×5, first 2 shown]
	v_mov_b32_dpp v1, v0 row_shr:2 row_mask:0xf bank_mask:0xf
	v_mov_b32_dpp v11, v10 row_shr:2 row_mask:0xf bank_mask:0xf
	;; [unrolled: 1-line block ×3, first 2 shown]
	v_add_f32_e32 v13, v8, v12
	v_mov_b32_dpp v8, v9 row_shr:1 row_mask:0xf bank_mask:0xf
	v_add_f32_e32 v8, v9, v8
	v_add_f32_e32 v0, v0, v1
	v_add_f32_e32 v10, v10, v11
	v_mov_b32_dpp v9, v8 row_shr:2 row_mask:0xf bank_mask:0xf
	v_add_f32_e32 v8, v8, v9
	v_mov_b32_dpp v1, v0 row_shr:4 row_mask:0xf bank_mask:0xe
	v_mov_b32_dpp v11, v10 row_shr:4 row_mask:0xf bank_mask:0xe
	;; [unrolled: 1-line block ×3, first 2 shown]
	v_add_f32_e32 v0, v0, v1
	v_add_f32_e32 v10, v10, v11
	;; [unrolled: 1-line block ×3, first 2 shown]
	v_mov_b32_dpp v1, v0 row_shr:8 row_mask:0xf bank_mask:0xc
	v_mov_b32_dpp v11, v10 row_shr:8 row_mask:0xf bank_mask:0xc
	;; [unrolled: 1-line block ×3, first 2 shown]
	v_add_f32_e32 v0, v0, v1
	v_add_f32_e32 v10, v10, v11
	;; [unrolled: 1-line block ×3, first 2 shown]
	v_mov_b32_dpp v1, v0 row_bcast:15 row_mask:0xa bank_mask:0xf
	v_mov_b32_dpp v11, v10 row_bcast:15 row_mask:0xa bank_mask:0xf
	;; [unrolled: 1-line block ×4, first 2 shown]
	v_cmp_eq_u32_e32 vcc, 31, v7
	s_and_b64 exec, exec, vcc
	s_cbranch_execz .LBB205_29
; %bb.25:
	s_load_dwordx2 s[2:3], s[0:1], 0x38
	v_add_f32_e32 v8, v0, v1
	v_and_b32_e32 v1, 0x7fffffff, v4
	v_cmp_eq_u32_e32 vcc, 0, v1
	v_cmp_eq_f32_e64 s[0:1], 0, v5
	v_add_f32_e32 v12, v10, v11
	v_add_f32_e32 v0, v13, v14
	;; [unrolled: 1-line block ×3, first 2 shown]
	s_and_b64 s[0:1], vcc, s[0:1]
	s_and_saveexec_b64 s[4:5], s[0:1]
	s_xor_b64 s[0:1], exec, s[4:5]
	s_cbranch_execz .LBB205_27
; %bb.26:
	v_lshlrev_b32_e32 v4, 1, v6
	v_xor_b32_e32 v14, 0x80000000, v3
	v_ashrrev_i32_e32 v5, 31, v4
	v_mov_b32_e32 v15, v2
	s_waitcnt lgkmcnt(0)
	v_lshl_add_u64 v[16:17], v[4:5], 3, s[2:3]
	v_pk_mul_f32 v[4:5], v[12:13], v[14:15] op_sel_hi:[0,1]
	v_pk_mul_f32 v[6:7], v[10:11], v[14:15] op_sel_hi:[0,1]
	v_pk_fma_f32 v[4:5], v[2:3], v[8:9], v[4:5] op_sel_hi:[1,0,1]
	v_pk_fma_f32 v[6:7], v[2:3], v[0:1], v[6:7] op_sel_hi:[1,0,1]
	global_store_dwordx4 v[16:17], v[4:7], off
                                        ; implicit-def: $vgpr3
                                        ; implicit-def: $vgpr4
                                        ; implicit-def: $vgpr6
                                        ; implicit-def: $vgpr8
                                        ; implicit-def: $vgpr12
                                        ; implicit-def: $vgpr0
                                        ; implicit-def: $vgpr10
.LBB205_27:
	s_andn2_saveexec_b64 s[0:1], s[0:1]
	s_cbranch_execz .LBB205_29
; %bb.28:
	v_lshlrev_b32_e32 v6, 1, v6
	v_ashrrev_i32_e32 v7, 31, v6
	s_waitcnt lgkmcnt(0)
	v_lshl_add_u64 v[6:7], v[6:7], 3, s[2:3]
	global_load_dwordx4 v[14:17], v[6:7], off
	v_xor_b32_e32 v18, 0x80000000, v3
	v_mov_b32_e32 v19, v2
	v_pk_mul_f32 v[12:13], v[12:13], v[18:19] op_sel_hi:[0,1]
	v_pk_mul_f32 v[10:11], v[10:11], v[18:19] op_sel_hi:[0,1]
	v_pk_fma_f32 v[8:9], v[2:3], v[8:9], v[12:13] op_sel_hi:[1,0,1]
	v_pk_fma_f32 v[0:1], v[2:3], v[0:1], v[10:11] op_sel_hi:[1,0,1]
	v_xor_b32_e32 v20, 0x80000000, v5
	v_mov_b32_e32 v21, v4
	s_waitcnt vmcnt(0)
	v_pk_fma_f32 v[2:3], v[4:5], v[14:15], v[8:9] op_sel_hi:[1,0,1]
	v_pk_fma_f32 v[4:5], v[4:5], v[16:17], v[0:1] op_sel_hi:[1,0,1]
	v_mov_b32_e32 v8, v17
	v_pk_fma_f32 v[0:1], v[20:21], v[14:15], v[2:3] op_sel:[0,1,0]
	v_pk_fma_f32 v[2:3], v[20:21], v[8:9], v[4:5] op_sel_hi:[1,0,1]
	global_store_dwordx4 v[6:7], v[0:3], off
.LBB205_29:
	s_endpgm
	.section	.rodata,"a",@progbits
	.p2align	6, 0x0
	.amdhsa_kernel _ZN9rocsparseL19gebsrmvn_2xn_kernelILj128ELj12ELj32E21rocsparse_complex_numIfEEEvi20rocsparse_direction_NS_24const_host_device_scalarIT2_EEPKiS8_PKS5_SA_S6_PS5_21rocsparse_index_base_b
		.amdhsa_group_segment_fixed_size 0
		.amdhsa_private_segment_fixed_size 0
		.amdhsa_kernarg_size 72
		.amdhsa_user_sgpr_count 2
		.amdhsa_user_sgpr_dispatch_ptr 0
		.amdhsa_user_sgpr_queue_ptr 0
		.amdhsa_user_sgpr_kernarg_segment_ptr 1
		.amdhsa_user_sgpr_dispatch_id 0
		.amdhsa_user_sgpr_kernarg_preload_length 0
		.amdhsa_user_sgpr_kernarg_preload_offset 0
		.amdhsa_user_sgpr_private_segment_size 0
		.amdhsa_uses_dynamic_stack 0
		.amdhsa_enable_private_segment 0
		.amdhsa_system_sgpr_workgroup_id_x 1
		.amdhsa_system_sgpr_workgroup_id_y 0
		.amdhsa_system_sgpr_workgroup_id_z 0
		.amdhsa_system_sgpr_workgroup_info 0
		.amdhsa_system_vgpr_workitem_id 0
		.amdhsa_next_free_vgpr 86
		.amdhsa_next_free_sgpr 16
		.amdhsa_accum_offset 88
		.amdhsa_reserve_vcc 1
		.amdhsa_float_round_mode_32 0
		.amdhsa_float_round_mode_16_64 0
		.amdhsa_float_denorm_mode_32 3
		.amdhsa_float_denorm_mode_16_64 3
		.amdhsa_dx10_clamp 1
		.amdhsa_ieee_mode 1
		.amdhsa_fp16_overflow 0
		.amdhsa_tg_split 0
		.amdhsa_exception_fp_ieee_invalid_op 0
		.amdhsa_exception_fp_denorm_src 0
		.amdhsa_exception_fp_ieee_div_zero 0
		.amdhsa_exception_fp_ieee_overflow 0
		.amdhsa_exception_fp_ieee_underflow 0
		.amdhsa_exception_fp_ieee_inexact 0
		.amdhsa_exception_int_div_zero 0
	.end_amdhsa_kernel
	.section	.text._ZN9rocsparseL19gebsrmvn_2xn_kernelILj128ELj12ELj32E21rocsparse_complex_numIfEEEvi20rocsparse_direction_NS_24const_host_device_scalarIT2_EEPKiS8_PKS5_SA_S6_PS5_21rocsparse_index_base_b,"axG",@progbits,_ZN9rocsparseL19gebsrmvn_2xn_kernelILj128ELj12ELj32E21rocsparse_complex_numIfEEEvi20rocsparse_direction_NS_24const_host_device_scalarIT2_EEPKiS8_PKS5_SA_S6_PS5_21rocsparse_index_base_b,comdat
.Lfunc_end205:
	.size	_ZN9rocsparseL19gebsrmvn_2xn_kernelILj128ELj12ELj32E21rocsparse_complex_numIfEEEvi20rocsparse_direction_NS_24const_host_device_scalarIT2_EEPKiS8_PKS5_SA_S6_PS5_21rocsparse_index_base_b, .Lfunc_end205-_ZN9rocsparseL19gebsrmvn_2xn_kernelILj128ELj12ELj32E21rocsparse_complex_numIfEEEvi20rocsparse_direction_NS_24const_host_device_scalarIT2_EEPKiS8_PKS5_SA_S6_PS5_21rocsparse_index_base_b
                                        ; -- End function
	.section	.AMDGPU.csdata,"",@progbits
; Kernel info:
; codeLenInByte = 2936
; NumSgprs: 22
; NumVgprs: 86
; NumAgprs: 0
; TotalNumVgprs: 86
; ScratchSize: 0
; MemoryBound: 0
; FloatMode: 240
; IeeeMode: 1
; LDSByteSize: 0 bytes/workgroup (compile time only)
; SGPRBlocks: 2
; VGPRBlocks: 10
; NumSGPRsForWavesPerEU: 22
; NumVGPRsForWavesPerEU: 86
; AccumOffset: 88
; Occupancy: 5
; WaveLimiterHint : 1
; COMPUTE_PGM_RSRC2:SCRATCH_EN: 0
; COMPUTE_PGM_RSRC2:USER_SGPR: 2
; COMPUTE_PGM_RSRC2:TRAP_HANDLER: 0
; COMPUTE_PGM_RSRC2:TGID_X_EN: 1
; COMPUTE_PGM_RSRC2:TGID_Y_EN: 0
; COMPUTE_PGM_RSRC2:TGID_Z_EN: 0
; COMPUTE_PGM_RSRC2:TIDIG_COMP_CNT: 0
; COMPUTE_PGM_RSRC3_GFX90A:ACCUM_OFFSET: 21
; COMPUTE_PGM_RSRC3_GFX90A:TG_SPLIT: 0
	.section	.text._ZN9rocsparseL19gebsrmvn_2xn_kernelILj128ELj12ELj64E21rocsparse_complex_numIfEEEvi20rocsparse_direction_NS_24const_host_device_scalarIT2_EEPKiS8_PKS5_SA_S6_PS5_21rocsparse_index_base_b,"axG",@progbits,_ZN9rocsparseL19gebsrmvn_2xn_kernelILj128ELj12ELj64E21rocsparse_complex_numIfEEEvi20rocsparse_direction_NS_24const_host_device_scalarIT2_EEPKiS8_PKS5_SA_S6_PS5_21rocsparse_index_base_b,comdat
	.globl	_ZN9rocsparseL19gebsrmvn_2xn_kernelILj128ELj12ELj64E21rocsparse_complex_numIfEEEvi20rocsparse_direction_NS_24const_host_device_scalarIT2_EEPKiS8_PKS5_SA_S6_PS5_21rocsparse_index_base_b ; -- Begin function _ZN9rocsparseL19gebsrmvn_2xn_kernelILj128ELj12ELj64E21rocsparse_complex_numIfEEEvi20rocsparse_direction_NS_24const_host_device_scalarIT2_EEPKiS8_PKS5_SA_S6_PS5_21rocsparse_index_base_b
	.p2align	8
	.type	_ZN9rocsparseL19gebsrmvn_2xn_kernelILj128ELj12ELj64E21rocsparse_complex_numIfEEEvi20rocsparse_direction_NS_24const_host_device_scalarIT2_EEPKiS8_PKS5_SA_S6_PS5_21rocsparse_index_base_b,@function
_ZN9rocsparseL19gebsrmvn_2xn_kernelILj128ELj12ELj64E21rocsparse_complex_numIfEEEvi20rocsparse_direction_NS_24const_host_device_scalarIT2_EEPKiS8_PKS5_SA_S6_PS5_21rocsparse_index_base_b: ; @_ZN9rocsparseL19gebsrmvn_2xn_kernelILj128ELj12ELj64E21rocsparse_complex_numIfEEEvi20rocsparse_direction_NS_24const_host_device_scalarIT2_EEPKiS8_PKS5_SA_S6_PS5_21rocsparse_index_base_b
; %bb.0:
	s_load_dwordx2 s[12:13], s[0:1], 0x40
	s_load_dwordx2 s[8:9], s[0:1], 0x8
	;; [unrolled: 1-line block ×3, first 2 shown]
	s_waitcnt lgkmcnt(0)
	s_bitcmp1_b32 s13, 0
	s_cselect_b64 s[4:5], -1, 0
	s_xor_b64 s[10:11], s[4:5], -1
	s_and_b64 vcc, exec, s[4:5]
	v_mov_b32_e32 v2, s8
	s_cbranch_vccnz .LBB206_2
; %bb.1:
	v_mov_b64_e32 v[2:3], s[8:9]
	flat_load_dword v2, v[2:3]
.LBB206_2:
	v_cndmask_b32_e64 v1, 0, 1, s[10:11]
	v_cmp_ne_u32_e64 s[4:5], 1, v1
	s_andn2_b64 vcc, exec, s[10:11]
	v_mov_b32_e32 v3, s9
	s_cbranch_vccz .LBB206_16
; %bb.3:
	s_and_b64 vcc, exec, s[4:5]
	v_mov_b32_e32 v4, s6
	s_cbranch_vccz .LBB206_17
.LBB206_4:
	s_and_b64 vcc, exec, s[4:5]
	v_mov_b32_e32 v5, s7
	s_cbranch_vccnz .LBB206_6
.LBB206_5:
	v_mov_b64_e32 v[6:7], s[6:7]
	flat_load_dword v5, v[6:7] offset:4
.LBB206_6:
	s_waitcnt vmcnt(0) lgkmcnt(0)
	v_and_b32_e32 v1, 0x7fffffff, v2
	v_cmp_eq_u32_e32 vcc, 0, v1
	v_cmp_eq_f32_e64 s[4:5], 0, v3
	s_and_b64 s[8:9], vcc, s[4:5]
	s_mov_b64 s[4:5], -1
	s_and_saveexec_b64 s[6:7], s[8:9]
; %bb.7:
	v_and_b32_e32 v1, 0x7fffffff, v5
	v_cmp_neq_f32_e32 vcc, 1.0, v4
	v_cmp_ne_u32_e64 s[4:5], 0, v1
	s_or_b64 s[4:5], vcc, s[4:5]
	s_orn2_b64 s[4:5], s[4:5], exec
; %bb.8:
	s_or_b64 exec, exec, s[6:7]
	s_and_saveexec_b64 s[6:7], s[4:5]
	s_cbranch_execz .LBB206_29
; %bb.9:
	s_load_dwordx2 s[14:15], s[0:1], 0x0
	v_lshrrev_b32_e32 v1, 6, v0
	v_lshl_or_b32 v6, s2, 1, v1
	s_waitcnt lgkmcnt(0)
	v_cmp_gt_i32_e32 vcc, s14, v6
	s_and_b64 exec, exec, vcc
	s_cbranch_execz .LBB206_29
; %bb.10:
	s_load_dwordx8 s[4:11], s[0:1], 0x10
	v_ashrrev_i32_e32 v7, 31, v6
	s_cmp_lg_u32 s15, 0
	s_waitcnt lgkmcnt(0)
	v_lshl_add_u64 v[8:9], v[6:7], 2, s[4:5]
	global_load_dwordx2 v[8:9], v[8:9], off
	v_and_b32_e32 v7, 63, v0
	s_waitcnt vmcnt(0)
	v_subrev_u32_e32 v0, s12, v8
	v_subrev_u32_e32 v18, s12, v9
	v_add_u32_e32 v0, v0, v7
	v_cmp_lt_i32_e64 s[2:3], v0, v18
	s_cbranch_scc0 .LBB206_18
; %bb.11:
	v_mov_b32_e32 v11, 0
	v_mov_b32_e32 v10, v11
	;; [unrolled: 1-line block ×4, first 2 shown]
	s_and_saveexec_b64 s[4:5], s[2:3]
	s_cbranch_execz .LBB206_15
; %bb.12:
	v_mov_b32_e32 v13, 0
	v_mul_lo_u32 v12, v0, 24
	s_mov_b64 s[14:15], 0
	v_mov_b32_e32 v14, v0
	v_mov_b32_e32 v8, v13
	;; [unrolled: 1-line block ×5, first 2 shown]
.LBB206_13:                             ; =>This Inner Loop Header: Depth=1
	v_ashrrev_i32_e32 v15, 31, v14
	v_lshl_add_u64 v[16:17], v[12:13], 3, s[8:9]
	v_add_u32_e32 v36, 8, v12
	v_mov_b32_e32 v37, v13
	v_add_u32_e32 v38, 16, v12
	v_mov_b32_e32 v39, v13
	v_lshl_add_u64 v[66:67], v[14:15], 2, s[6:7]
	global_load_dwordx4 v[20:23], v[16:17], off offset:16
	global_load_dwordx4 v[24:27], v[16:17], off
	global_load_dwordx4 v[28:31], v[16:17], off offset:48
	global_load_dwordx4 v[32:35], v[16:17], off offset:32
	v_lshl_add_u64 v[16:17], v[36:37], 3, s[8:9]
	v_lshl_add_u64 v[76:77], v[38:39], 3, s[8:9]
	global_load_dword v1, v[66:67], off
	global_load_dwordx4 v[36:39], v[16:17], off offset:48
	global_load_dwordx4 v[40:43], v[16:17], off offset:32
	;; [unrolled: 1-line block ×3, first 2 shown]
	global_load_dwordx4 v[48:51], v[16:17], off
	global_load_dwordx4 v[52:55], v[76:77], off offset:32
	global_load_dwordx4 v[56:59], v[76:77], off offset:16
	global_load_dwordx4 v[60:63], v[76:77], off
	v_mov_b32_e32 v65, v13
	v_mov_b32_e32 v73, v13
	;; [unrolled: 1-line block ×3, first 2 shown]
	v_add_u32_e32 v14, 64, v14
	v_cmp_ge_i32_e32 vcc, v14, v18
	v_add_u32_e32 v12, 0x600, v12
	s_or_b64 s[14:15], vcc, s[14:15]
	s_waitcnt vmcnt(7)
	v_subrev_u32_e32 v1, s12, v1
	v_mul_lo_u32 v64, v1, 12
	v_lshl_add_u64 v[80:81], v[64:65], 3, s[10:11]
	v_add_u32_e32 v72, 4, v64
	v_add_u32_e32 v74, 8, v64
	global_load_dwordx4 v[64:67], v[80:81], off
	global_load_dwordx4 v[68:71], v[80:81], off offset:16
	v_lshl_add_u64 v[80:81], v[72:73], 3, s[10:11]
	v_lshl_add_u64 v[82:83], v[74:75], 3, s[10:11]
	global_load_dwordx4 v[72:75], v[80:81], off
	v_xor_b32_e32 v16, 0x80000000, v27
	v_mov_b32_e32 v17, v26
	v_xor_b32_e32 v78, 0x80000000, v23
	v_mov_b32_e32 v79, v22
	s_waitcnt vmcnt(2)
	v_pk_fma_f32 v[10:11], v[24:25], v[64:65], v[10:11] op_sel_hi:[1,0,1]
	v_pk_fma_f32 v[26:27], v[26:27], v[64:65], v[8:9] op_sel_hi:[1,0,1]
	v_pk_fma_f32 v[84:85], v[24:25], v[64:65], v[10:11] op_sel:[1,1,0] op_sel_hi:[0,1,1] neg_lo:[1,0,0]
	global_load_dwordx4 v[8:11], v[80:81], off offset:16
	v_pk_fma_f32 v[16:17], v[16:17], v[64:65], v[26:27] op_sel:[0,1,0]
	global_load_dwordx4 v[24:27], v[82:83], off offset:16
	v_pk_fma_f32 v[80:81], v[20:21], v[66:67], v[84:85] op_sel_hi:[1,0,1]
	v_pk_fma_f32 v[16:17], v[22:23], v[66:67], v[16:17] op_sel_hi:[1,0,1]
	v_mov_b32_e32 v84, v67
	global_load_dwordx4 v[64:67], v[82:83], off
	v_pk_fma_f32 v[80:81], v[20:21], v[84:85], v[80:81] op_sel:[1,0,0] op_sel_hi:[0,0,1] neg_lo:[1,0,0]
	global_load_dwordx4 v[20:23], v[76:77], off offset:48
	v_pk_fma_f32 v[16:17], v[78:79], v[84:85], v[16:17] op_sel_hi:[1,0,1]
	v_xor_b32_e32 v76, 0x80000000, v35
	v_mov_b32_e32 v77, v34
	s_waitcnt vmcnt(5)
	v_pk_fma_f32 v[80:81], v[32:33], v[68:69], v[80:81] op_sel_hi:[1,0,1]
	v_pk_fma_f32 v[16:17], v[34:35], v[68:69], v[16:17] op_sel_hi:[1,0,1]
	v_pk_fma_f32 v[32:33], v[32:33], v[68:69], v[80:81] op_sel:[1,1,0] op_sel_hi:[0,1,1] neg_lo:[1,0,0]
	v_pk_fma_f32 v[16:17], v[76:77], v[68:69], v[16:17] op_sel:[0,1,0]
	v_xor_b32_e32 v78, 0x80000000, v31
	v_mov_b32_e32 v79, v30
	v_pk_fma_f32 v[32:33], v[28:29], v[70:71], v[32:33] op_sel_hi:[1,0,1]
	v_pk_fma_f32 v[16:17], v[30:31], v[70:71], v[16:17] op_sel_hi:[1,0,1]
	v_mov_b32_e32 v30, v71
	v_pk_fma_f32 v[28:29], v[28:29], v[30:31], v[32:33] op_sel:[1,0,0] op_sel_hi:[0,0,1] neg_lo:[1,0,0]
	v_pk_fma_f32 v[16:17], v[78:79], v[30:31], v[16:17] op_sel_hi:[1,0,1]
	v_xor_b32_e32 v82, 0x80000000, v51
	v_mov_b32_e32 v83, v50
	s_waitcnt vmcnt(4)
	v_pk_fma_f32 v[28:29], v[48:49], v[72:73], v[28:29] op_sel_hi:[1,0,1]
	v_pk_fma_f32 v[16:17], v[50:51], v[72:73], v[16:17] op_sel_hi:[1,0,1]
	v_pk_fma_f32 v[28:29], v[48:49], v[72:73], v[28:29] op_sel:[1,1,0] op_sel_hi:[0,1,1] neg_lo:[1,0,0]
	v_pk_fma_f32 v[16:17], v[82:83], v[72:73], v[16:17] op_sel:[0,1,0]
	v_xor_b32_e32 v34, 0x80000000, v47
	v_mov_b32_e32 v35, v46
	v_mov_b32_e32 v78, v75
	v_pk_fma_f32 v[28:29], v[44:45], v[74:75], v[28:29] op_sel_hi:[1,0,1]
	v_pk_fma_f32 v[16:17], v[46:47], v[74:75], v[16:17] op_sel_hi:[1,0,1]
	v_pk_fma_f32 v[28:29], v[44:45], v[78:79], v[28:29] op_sel:[1,0,0] op_sel_hi:[0,0,1] neg_lo:[1,0,0]
	v_pk_fma_f32 v[16:17], v[34:35], v[78:79], v[16:17] op_sel_hi:[1,0,1]
	v_xor_b32_e32 v80, 0x80000000, v43
	v_mov_b32_e32 v81, v42
	v_xor_b32_e32 v68, 0x80000000, v39
	v_mov_b32_e32 v69, v38
	;; [unrolled: 2-line block ×5, first 2 shown]
	s_waitcnt vmcnt(3)
	v_pk_fma_f32 v[28:29], v[40:41], v[8:9], v[28:29] op_sel_hi:[1,0,1]
	v_pk_fma_f32 v[16:17], v[42:43], v[8:9], v[16:17] op_sel_hi:[1,0,1]
	v_pk_fma_f32 v[28:29], v[40:41], v[8:9], v[28:29] op_sel:[1,1,0] op_sel_hi:[0,1,1] neg_lo:[1,0,0]
	v_pk_fma_f32 v[8:9], v[80:81], v[8:9], v[16:17] op_sel:[0,1,0]
	v_mov_b32_e32 v48, v11
	v_pk_fma_f32 v[16:17], v[36:37], v[10:11], v[28:29] op_sel_hi:[1,0,1]
	v_pk_fma_f32 v[8:9], v[38:39], v[10:11], v[8:9] op_sel_hi:[1,0,1]
	v_pk_fma_f32 v[10:11], v[36:37], v[48:49], v[16:17] op_sel:[1,0,0] op_sel_hi:[0,0,1] neg_lo:[1,0,0]
	v_pk_fma_f32 v[8:9], v[68:69], v[48:49], v[8:9] op_sel_hi:[1,0,1]
	s_waitcnt vmcnt(1)
	v_pk_fma_f32 v[10:11], v[60:61], v[64:65], v[10:11] op_sel_hi:[1,0,1]
	v_pk_fma_f32 v[8:9], v[62:63], v[64:65], v[8:9] op_sel_hi:[1,0,1]
	v_pk_fma_f32 v[10:11], v[60:61], v[64:65], v[10:11] op_sel:[1,1,0] op_sel_hi:[0,1,1] neg_lo:[1,0,0]
	v_pk_fma_f32 v[8:9], v[70:71], v[64:65], v[8:9] op_sel:[0,1,0]
	v_mov_b32_e32 v50, v67
	v_pk_fma_f32 v[10:11], v[56:57], v[66:67], v[10:11] op_sel_hi:[1,0,1]
	v_pk_fma_f32 v[8:9], v[58:59], v[66:67], v[8:9] op_sel_hi:[1,0,1]
	v_pk_fma_f32 v[10:11], v[56:57], v[50:51], v[10:11] op_sel:[1,0,0] op_sel_hi:[0,0,1] neg_lo:[1,0,0]
	v_pk_fma_f32 v[8:9], v[32:33], v[50:51], v[8:9] op_sel_hi:[1,0,1]
	v_pk_fma_f32 v[10:11], v[52:53], v[24:25], v[10:11] op_sel_hi:[1,0,1]
	;; [unrolled: 1-line block ×3, first 2 shown]
	v_pk_fma_f32 v[10:11], v[52:53], v[24:25], v[10:11] op_sel:[1,1,0] op_sel_hi:[0,1,1] neg_lo:[1,0,0]
	v_pk_fma_f32 v[8:9], v[76:77], v[24:25], v[8:9] op_sel:[0,1,0]
	s_waitcnt vmcnt(0)
	v_xor_b32_e32 v30, 0x80000000, v23
	v_mov_b32_e32 v31, v22
	v_mov_b32_e32 v72, v27
	v_pk_fma_f32 v[10:11], v[20:21], v[26:27], v[10:11] op_sel_hi:[1,0,1]
	v_pk_fma_f32 v[8:9], v[22:23], v[26:27], v[8:9] op_sel_hi:[1,0,1]
	v_pk_fma_f32 v[10:11], v[20:21], v[72:73], v[10:11] op_sel:[1,0,0] op_sel_hi:[0,0,1] neg_lo:[1,0,0]
	v_pk_fma_f32 v[8:9], v[30:31], v[72:73], v[8:9] op_sel_hi:[1,0,1]
	s_andn2_b64 exec, exec, s[14:15]
	s_cbranch_execnz .LBB206_13
; %bb.14:
	s_or_b64 exec, exec, s[14:15]
.LBB206_15:
	s_or_b64 exec, exec, s[4:5]
	s_cbranch_execz .LBB206_19
	s_branch .LBB206_24
.LBB206_16:
	v_mov_b64_e32 v[4:5], s[8:9]
	flat_load_dword v3, v[4:5] offset:4
	s_and_b64 vcc, exec, s[4:5]
	v_mov_b32_e32 v4, s6
	s_cbranch_vccnz .LBB206_4
.LBB206_17:
	v_mov_b64_e32 v[4:5], s[6:7]
	flat_load_dword v4, v[4:5]
	s_and_b64 vcc, exec, s[4:5]
	v_mov_b32_e32 v5, s7
	s_cbranch_vccz .LBB206_5
	s_branch .LBB206_6
.LBB206_18:
                                        ; implicit-def: $vgpr11
                                        ; implicit-def: $vgpr9
.LBB206_19:
	v_mov_b32_e32 v11, 0
	v_mov_b32_e32 v10, v11
	;; [unrolled: 1-line block ×4, first 2 shown]
	s_and_saveexec_b64 s[4:5], s[2:3]
	s_cbranch_execz .LBB206_23
; %bb.20:
	v_mad_u64_u32 v[12:13], s[2:3], v0, 24, 23
	v_mov_b32_e32 v15, 0
	s_mov_b64 s[2:3], 0
	v_mov_b32_e32 v8, v15
	v_mov_b32_e32 v9, v15
	;; [unrolled: 1-line block ×4, first 2 shown]
.LBB206_21:                             ; =>This Inner Loop Header: Depth=1
	v_ashrrev_i32_e32 v1, 31, v0
	v_subrev_u32_e32 v14, 23, v12
	v_add_u32_e32 v20, -11, v12
	v_mov_b32_e32 v21, v15
	v_lshl_add_u64 v[36:37], v[0:1], 2, s[6:7]
	v_lshl_add_u64 v[38:39], v[14:15], 3, s[8:9]
	v_lshl_add_u64 v[40:41], v[20:21], 3, s[8:9]
	global_load_dword v1, v[36:37], off
	global_load_dwordx4 v[20:23], v[38:39], off
	global_load_dwordx4 v[24:27], v[38:39], off offset:16
	global_load_dwordx4 v[28:31], v[38:39], off offset:32
	;; [unrolled: 1-line block ×3, first 2 shown]
	v_add_u32_e32 v14, -10, v12
	v_lshl_add_u64 v[36:37], v[14:15], 3, s[8:9]
	v_add_u32_e32 v14, -9, v12
	v_mov_b32_e32 v17, v15
	v_lshl_add_u64 v[38:39], v[14:15], 3, s[8:9]
	v_add_u32_e32 v14, -8, v12
	global_load_dwordx2 v[54:55], v[40:41], off
	global_load_dwordx2 v[56:57], v[36:37], off
	v_lshl_add_u64 v[36:37], v[14:15], 3, s[8:9]
	global_load_dwordx2 v[58:59], v[38:39], off
	global_load_dwordx2 v[60:61], v[36:37], off
	v_mov_b32_e32 v13, v15
	v_lshl_add_u64 v[52:53], v[12:13], 3, s[8:9]
	v_add_u32_e32 v0, 64, v0
	v_cmp_ge_i32_e32 vcc, v0, v18
	s_or_b64 s[2:3], vcc, s[2:3]
	s_waitcnt vmcnt(8)
	v_subrev_u32_e32 v1, s12, v1
	v_mul_lo_u32 v16, v1, 12
	v_lshl_add_u64 v[44:45], v[16:17], 3, s[10:11]
	global_load_dwordx4 v[36:39], v[44:45], off
	global_load_dwordx4 v[40:43], v[44:45], off offset:16
	v_add_u32_e32 v14, 4, v16
	v_lshl_add_u64 v[66:67], v[14:15], 3, s[10:11]
	v_add_u32_e32 v14, -7, v12
	v_lshl_add_u64 v[68:69], v[14:15], 3, s[8:9]
	v_add_u32_e32 v14, -6, v12
	global_load_dwordx4 v[44:47], v[66:67], off
	v_lshl_add_u64 v[70:71], v[14:15], 3, s[8:9]
	v_add_u32_e32 v14, -5, v12
	v_lshl_add_u64 v[72:73], v[14:15], 3, s[8:9]
	v_add_u32_e32 v14, -4, v12
	;; [unrolled: 2-line block ×3, first 2 shown]
	v_lshl_add_u64 v[76:77], v[14:15], 3, s[8:9]
	v_add_u32_e32 v14, 8, v16
	global_load_dwordx4 v[48:51], v[66:67], off offset:16
	global_load_dwordx2 v[16:17], v[68:69], off
	global_load_dwordx2 v[78:79], v[70:71], off
	;; [unrolled: 1-line block ×4, first 2 shown]
	s_waitcnt vmcnt(15)
	v_xor_b32_e32 v62, 0x80000000, v23
	v_mov_b32_e32 v63, v22
	v_lshl_add_u64 v[66:67], v[14:15], 3, s[10:11]
	v_add_u32_e32 v14, -3, v12
	global_load_dwordx2 v[68:69], v[76:77], off
	s_waitcnt vmcnt(15)
	v_xor_b32_e32 v64, 0x80000000, v27
	v_mov_b32_e32 v65, v26
	s_waitcnt vmcnt(8)
	v_pk_fma_f32 v[8:9], v[54:55], v[36:37], v[8:9] op_sel_hi:[1,0,1]
	s_nop 0
	v_pk_fma_f32 v[54:55], v[54:55], v[36:37], v[8:9] op_sel:[1,1,0] op_sel_hi:[0,1,1] neg_lo:[1,0,0]
	v_pk_fma_f32 v[8:9], v[20:21], v[36:37], v[10:11] op_sel_hi:[1,0,1]
	v_pk_fma_f32 v[54:55], v[56:57], v[38:39], v[54:55] op_sel_hi:[1,0,1]
	v_pk_fma_f32 v[8:9], v[20:21], v[36:37], v[8:9] op_sel:[1,1,0] op_sel_hi:[0,1,1] neg_lo:[1,0,0]
	v_pk_fma_f32 v[36:37], v[22:23], v[38:39], v[8:9] op_sel_hi:[1,0,1]
	v_mov_b32_e32 v38, v39
	v_pk_fma_f32 v[36:37], v[62:63], v[38:39], v[36:37] op_sel_hi:[1,0,1]
	v_lshl_add_u64 v[62:63], v[14:15], 3, s[8:9]
	v_add_u32_e32 v14, -14, v12
	global_load_dwordx4 v[8:11], v[66:67], off
	global_load_dwordx4 v[20:23], v[66:67], off offset:16
	v_pk_fma_f32 v[38:39], v[56:57], v[38:39], v[54:55] op_sel:[1,0,0] op_sel_hi:[0,0,1] neg_lo:[1,0,0]
	v_lshl_add_u64 v[54:55], v[14:15], 3, s[8:9]
	v_add_u32_e32 v14, -2, v12
	global_load_dwordx2 v[56:57], v[62:63], off
	s_waitcnt vmcnt(10)
	v_pk_fma_f32 v[36:37], v[24:25], v[40:41], v[36:37] op_sel_hi:[1,0,1]
	global_load_dwordx2 v[54:55], v[54:55], off
	v_lshl_add_u64 v[62:63], v[14:15], 3, s[8:9]
	v_add_u32_e32 v14, -13, v12
	v_pk_fma_f32 v[24:25], v[24:25], v[40:41], v[36:37] op_sel:[1,1,0] op_sel_hi:[0,1,1] neg_lo:[1,0,0]
	v_pk_fma_f32 v[24:25], v[26:27], v[42:43], v[24:25] op_sel_hi:[1,0,1]
	v_lshl_add_u64 v[26:27], v[14:15], 3, s[8:9]
	v_add_u32_e32 v14, -1, v12
	global_load_dwordx2 v[36:37], v[62:63], off
	global_load_dwordx2 v[66:67], v[26:27], off
	v_lshl_add_u64 v[26:27], v[14:15], 3, s[8:9]
	v_add_u32_e32 v14, -12, v12
	global_load_dwordx2 v[26:27], v[26:27], off
	v_pk_fma_f32 v[38:39], v[58:59], v[40:41], v[38:39] op_sel_hi:[1,0,1]
	v_add_u32_e32 v12, 0x600, v12
	v_pk_fma_f32 v[38:39], v[58:59], v[40:41], v[38:39] op_sel:[1,1,0] op_sel_hi:[0,1,1] neg_lo:[1,0,0]
	v_lshl_add_u64 v[40:41], v[14:15], 3, s[8:9]
	global_load_dwordx2 v[58:59], v[40:41], off
	global_load_dwordx2 v[62:63], v[52:53], off
	v_pk_fma_f32 v[38:39], v[60:61], v[42:43], v[38:39] op_sel_hi:[1,0,1]
	v_mov_b32_e32 v14, v43
	v_pk_fma_f32 v[24:25], v[64:65], v[14:15], v[24:25] op_sel_hi:[1,0,1]
	v_pk_fma_f32 v[38:39], v[60:61], v[14:15], v[38:39] op_sel:[1,0,0] op_sel_hi:[0,0,1] neg_lo:[1,0,0]
	s_waitcnt vmcnt(15)
	v_pk_fma_f32 v[24:25], v[28:29], v[44:45], v[24:25] op_sel_hi:[1,0,1]
	s_waitcnt vmcnt(13)
	v_pk_fma_f32 v[38:39], v[16:17], v[44:45], v[38:39] op_sel_hi:[1,0,1]
	v_pk_fma_f32 v[24:25], v[28:29], v[44:45], v[24:25] op_sel:[1,1,0] op_sel_hi:[0,1,1] neg_lo:[1,0,0]
	v_pk_fma_f32 v[16:17], v[16:17], v[44:45], v[38:39] op_sel:[1,1,0] op_sel_hi:[0,1,1] neg_lo:[1,0,0]
	v_xor_b32_e32 v40, 0x80000000, v31
	v_mov_b32_e32 v41, v30
	v_mov_b32_e32 v14, v47
	v_pk_fma_f32 v[24:25], v[30:31], v[46:47], v[24:25] op_sel_hi:[1,0,1]
	s_waitcnt vmcnt(12)
	v_pk_fma_f32 v[16:17], v[78:79], v[46:47], v[16:17] op_sel_hi:[1,0,1]
	v_pk_fma_f32 v[24:25], v[40:41], v[14:15], v[24:25] op_sel_hi:[1,0,1]
	v_pk_fma_f32 v[16:17], v[78:79], v[14:15], v[16:17] op_sel:[1,0,0] op_sel_hi:[0,0,1] neg_lo:[1,0,0]
	v_pk_fma_f32 v[24:25], v[32:33], v[48:49], v[24:25] op_sel_hi:[1,0,1]
	s_waitcnt vmcnt(11)
	v_pk_fma_f32 v[16:17], v[80:81], v[48:49], v[16:17] op_sel_hi:[1,0,1]
	v_pk_fma_f32 v[24:25], v[32:33], v[48:49], v[24:25] op_sel:[1,1,0] op_sel_hi:[0,1,1] neg_lo:[1,0,0]
	v_pk_fma_f32 v[16:17], v[80:81], v[48:49], v[16:17] op_sel:[1,1,0] op_sel_hi:[0,1,1] neg_lo:[1,0,0]
	v_xor_b32_e32 v42, 0x80000000, v35
	v_mov_b32_e32 v43, v34
	v_mov_b32_e32 v52, v51
	v_pk_fma_f32 v[24:25], v[34:35], v[50:51], v[24:25] op_sel_hi:[1,0,1]
	s_waitcnt vmcnt(10)
	v_pk_fma_f32 v[16:17], v[82:83], v[50:51], v[16:17] op_sel_hi:[1,0,1]
	v_pk_fma_f32 v[24:25], v[42:43], v[52:53], v[24:25] op_sel_hi:[1,0,1]
	v_pk_fma_f32 v[16:17], v[82:83], v[52:53], v[16:17] op_sel:[1,0,0] op_sel_hi:[0,0,1] neg_lo:[1,0,0]
	s_waitcnt vmcnt(8)
	v_pk_fma_f32 v[24:25], v[68:69], v[8:9], v[24:25] op_sel_hi:[1,0,1]
	s_nop 0
	v_pk_fma_f32 v[24:25], v[68:69], v[8:9], v[24:25] op_sel:[1,1,0] op_sel_hi:[0,1,1] neg_lo:[1,0,0]
	v_mov_b32_e32 v28, v11
	s_waitcnt vmcnt(7)
	v_mov_b32_e32 v30, v23
	s_waitcnt vmcnt(6)
	v_pk_fma_f32 v[16:17], v[56:57], v[8:9], v[16:17] op_sel_hi:[1,0,1]
	s_nop 0
	v_pk_fma_f32 v[8:9], v[56:57], v[8:9], v[16:17] op_sel:[1,1,0] op_sel_hi:[0,1,1] neg_lo:[1,0,0]
	s_waitcnt vmcnt(5)
	v_pk_fma_f32 v[16:17], v[54:55], v[10:11], v[24:25] op_sel_hi:[1,0,1]
	s_waitcnt vmcnt(4)
	v_pk_fma_f32 v[8:9], v[36:37], v[10:11], v[8:9] op_sel_hi:[1,0,1]
	v_pk_fma_f32 v[10:11], v[54:55], v[28:29], v[16:17] op_sel:[1,0,0] op_sel_hi:[0,0,1] neg_lo:[1,0,0]
	v_pk_fma_f32 v[8:9], v[36:37], v[28:29], v[8:9] op_sel:[1,0,0] op_sel_hi:[0,0,1] neg_lo:[1,0,0]
	s_waitcnt vmcnt(3)
	v_pk_fma_f32 v[10:11], v[66:67], v[20:21], v[10:11] op_sel_hi:[1,0,1]
	s_waitcnt vmcnt(2)
	v_pk_fma_f32 v[8:9], v[26:27], v[20:21], v[8:9] op_sel_hi:[1,0,1]
	v_pk_fma_f32 v[10:11], v[66:67], v[20:21], v[10:11] op_sel:[1,1,0] op_sel_hi:[0,1,1] neg_lo:[1,0,0]
	;; [unrolled: 6-line block ×3, first 2 shown]
	v_pk_fma_f32 v[8:9], v[62:63], v[30:31], v[8:9] op_sel:[1,0,0] op_sel_hi:[0,0,1] neg_lo:[1,0,0]
	s_andn2_b64 exec, exec, s[2:3]
	s_cbranch_execnz .LBB206_21
; %bb.22:
	s_or_b64 exec, exec, s[2:3]
.LBB206_23:
	s_or_b64 exec, exec, s[4:5]
.LBB206_24:
	v_mov_b32_dpp v12, v8 row_shr:1 row_mask:0xf bank_mask:0xf
	v_add_f32_e32 v8, v8, v12
	v_mov_b32_dpp v0, v10 row_shr:1 row_mask:0xf bank_mask:0xf
	v_add_f32_e32 v0, v10, v0
	;; [unrolled: 2-line block ×5, first 2 shown]
	v_mov_b32_dpp v1, v0 row_shr:2 row_mask:0xf bank_mask:0xf
	v_mov_b32_dpp v11, v10 row_shr:2 row_mask:0xf bank_mask:0xf
	;; [unrolled: 1-line block ×3, first 2 shown]
	v_add_f32_e32 v8, v8, v12
	v_add_f32_e32 v0, v0, v1
	;; [unrolled: 1-line block ×3, first 2 shown]
	v_mov_b32_dpp v12, v8 row_bcast:15 row_mask:0xa bank_mask:0xf
	v_add_f32_e32 v13, v8, v12
	v_mov_b32_dpp v8, v9 row_shr:1 row_mask:0xf bank_mask:0xf
	v_add_f32_e32 v8, v9, v8
	v_mov_b32_dpp v1, v0 row_shr:4 row_mask:0xf bank_mask:0xe
	v_mov_b32_dpp v11, v10 row_shr:4 row_mask:0xf bank_mask:0xe
	;; [unrolled: 1-line block ×3, first 2 shown]
	v_add_f32_e32 v8, v8, v9
	v_add_f32_e32 v0, v0, v1
	;; [unrolled: 1-line block ×3, first 2 shown]
	v_mov_b32_dpp v9, v8 row_shr:4 row_mask:0xf bank_mask:0xe
	v_add_f32_e32 v8, v8, v9
	v_mov_b32_dpp v1, v0 row_shr:8 row_mask:0xf bank_mask:0xc
	v_mov_b32_dpp v11, v10 row_shr:8 row_mask:0xf bank_mask:0xc
	;; [unrolled: 1-line block ×3, first 2 shown]
	v_add_f32_e32 v0, v0, v1
	v_add_f32_e32 v10, v10, v11
	;; [unrolled: 1-line block ×3, first 2 shown]
	v_mov_b32_dpp v1, v0 row_bcast:15 row_mask:0xa bank_mask:0xf
	v_mov_b32_dpp v11, v10 row_bcast:15 row_mask:0xa bank_mask:0xf
	;; [unrolled: 1-line block ×3, first 2 shown]
	v_add_f32_e32 v0, v0, v1
	v_add_f32_e32 v10, v10, v11
	;; [unrolled: 1-line block ×3, first 2 shown]
	v_mov_b32_dpp v1, v0 row_bcast:31 row_mask:0xc bank_mask:0xf
	v_mov_b32_dpp v11, v10 row_bcast:31 row_mask:0xc bank_mask:0xf
	;; [unrolled: 1-line block ×4, first 2 shown]
	v_cmp_eq_u32_e32 vcc, 63, v7
	s_and_b64 exec, exec, vcc
	s_cbranch_execz .LBB206_29
; %bb.25:
	s_load_dwordx2 s[2:3], s[0:1], 0x38
	v_add_f32_e32 v8, v0, v1
	v_and_b32_e32 v1, 0x7fffffff, v4
	v_cmp_eq_u32_e32 vcc, 0, v1
	v_cmp_eq_f32_e64 s[0:1], 0, v5
	v_add_f32_e32 v12, v10, v11
	v_add_f32_e32 v0, v13, v14
	;; [unrolled: 1-line block ×3, first 2 shown]
	s_and_b64 s[0:1], vcc, s[0:1]
	s_and_saveexec_b64 s[4:5], s[0:1]
	s_xor_b64 s[0:1], exec, s[4:5]
	s_cbranch_execz .LBB206_27
; %bb.26:
	v_lshlrev_b32_e32 v4, 1, v6
	v_xor_b32_e32 v14, 0x80000000, v3
	v_ashrrev_i32_e32 v5, 31, v4
	v_mov_b32_e32 v15, v2
	s_waitcnt lgkmcnt(0)
	v_lshl_add_u64 v[16:17], v[4:5], 3, s[2:3]
	v_pk_mul_f32 v[4:5], v[12:13], v[14:15] op_sel_hi:[0,1]
	v_pk_mul_f32 v[6:7], v[10:11], v[14:15] op_sel_hi:[0,1]
	v_pk_fma_f32 v[4:5], v[2:3], v[8:9], v[4:5] op_sel_hi:[1,0,1]
	v_pk_fma_f32 v[6:7], v[2:3], v[0:1], v[6:7] op_sel_hi:[1,0,1]
	global_store_dwordx4 v[16:17], v[4:7], off
                                        ; implicit-def: $vgpr3
                                        ; implicit-def: $vgpr4
                                        ; implicit-def: $vgpr6
                                        ; implicit-def: $vgpr8
                                        ; implicit-def: $vgpr12
                                        ; implicit-def: $vgpr0
                                        ; implicit-def: $vgpr10
.LBB206_27:
	s_andn2_saveexec_b64 s[0:1], s[0:1]
	s_cbranch_execz .LBB206_29
; %bb.28:
	v_lshlrev_b32_e32 v6, 1, v6
	v_ashrrev_i32_e32 v7, 31, v6
	s_waitcnt lgkmcnt(0)
	v_lshl_add_u64 v[6:7], v[6:7], 3, s[2:3]
	global_load_dwordx4 v[14:17], v[6:7], off
	v_xor_b32_e32 v18, 0x80000000, v3
	v_mov_b32_e32 v19, v2
	v_pk_mul_f32 v[12:13], v[12:13], v[18:19] op_sel_hi:[0,1]
	v_pk_mul_f32 v[10:11], v[10:11], v[18:19] op_sel_hi:[0,1]
	v_pk_fma_f32 v[8:9], v[2:3], v[8:9], v[12:13] op_sel_hi:[1,0,1]
	v_pk_fma_f32 v[0:1], v[2:3], v[0:1], v[10:11] op_sel_hi:[1,0,1]
	v_xor_b32_e32 v20, 0x80000000, v5
	v_mov_b32_e32 v21, v4
	s_waitcnt vmcnt(0)
	v_pk_fma_f32 v[2:3], v[4:5], v[14:15], v[8:9] op_sel_hi:[1,0,1]
	v_pk_fma_f32 v[4:5], v[4:5], v[16:17], v[0:1] op_sel_hi:[1,0,1]
	v_mov_b32_e32 v8, v17
	v_pk_fma_f32 v[0:1], v[20:21], v[14:15], v[2:3] op_sel:[0,1,0]
	v_pk_fma_f32 v[2:3], v[20:21], v[8:9], v[4:5] op_sel_hi:[1,0,1]
	global_store_dwordx4 v[6:7], v[0:3], off
.LBB206_29:
	s_endpgm
	.section	.rodata,"a",@progbits
	.p2align	6, 0x0
	.amdhsa_kernel _ZN9rocsparseL19gebsrmvn_2xn_kernelILj128ELj12ELj64E21rocsparse_complex_numIfEEEvi20rocsparse_direction_NS_24const_host_device_scalarIT2_EEPKiS8_PKS5_SA_S6_PS5_21rocsparse_index_base_b
		.amdhsa_group_segment_fixed_size 0
		.amdhsa_private_segment_fixed_size 0
		.amdhsa_kernarg_size 72
		.amdhsa_user_sgpr_count 2
		.amdhsa_user_sgpr_dispatch_ptr 0
		.amdhsa_user_sgpr_queue_ptr 0
		.amdhsa_user_sgpr_kernarg_segment_ptr 1
		.amdhsa_user_sgpr_dispatch_id 0
		.amdhsa_user_sgpr_kernarg_preload_length 0
		.amdhsa_user_sgpr_kernarg_preload_offset 0
		.amdhsa_user_sgpr_private_segment_size 0
		.amdhsa_uses_dynamic_stack 0
		.amdhsa_enable_private_segment 0
		.amdhsa_system_sgpr_workgroup_id_x 1
		.amdhsa_system_sgpr_workgroup_id_y 0
		.amdhsa_system_sgpr_workgroup_id_z 0
		.amdhsa_system_sgpr_workgroup_info 0
		.amdhsa_system_vgpr_workitem_id 0
		.amdhsa_next_free_vgpr 86
		.amdhsa_next_free_sgpr 16
		.amdhsa_accum_offset 88
		.amdhsa_reserve_vcc 1
		.amdhsa_float_round_mode_32 0
		.amdhsa_float_round_mode_16_64 0
		.amdhsa_float_denorm_mode_32 3
		.amdhsa_float_denorm_mode_16_64 3
		.amdhsa_dx10_clamp 1
		.amdhsa_ieee_mode 1
		.amdhsa_fp16_overflow 0
		.amdhsa_tg_split 0
		.amdhsa_exception_fp_ieee_invalid_op 0
		.amdhsa_exception_fp_denorm_src 0
		.amdhsa_exception_fp_ieee_div_zero 0
		.amdhsa_exception_fp_ieee_overflow 0
		.amdhsa_exception_fp_ieee_underflow 0
		.amdhsa_exception_fp_ieee_inexact 0
		.amdhsa_exception_int_div_zero 0
	.end_amdhsa_kernel
	.section	.text._ZN9rocsparseL19gebsrmvn_2xn_kernelILj128ELj12ELj64E21rocsparse_complex_numIfEEEvi20rocsparse_direction_NS_24const_host_device_scalarIT2_EEPKiS8_PKS5_SA_S6_PS5_21rocsparse_index_base_b,"axG",@progbits,_ZN9rocsparseL19gebsrmvn_2xn_kernelILj128ELj12ELj64E21rocsparse_complex_numIfEEEvi20rocsparse_direction_NS_24const_host_device_scalarIT2_EEPKiS8_PKS5_SA_S6_PS5_21rocsparse_index_base_b,comdat
.Lfunc_end206:
	.size	_ZN9rocsparseL19gebsrmvn_2xn_kernelILj128ELj12ELj64E21rocsparse_complex_numIfEEEvi20rocsparse_direction_NS_24const_host_device_scalarIT2_EEPKiS8_PKS5_SA_S6_PS5_21rocsparse_index_base_b, .Lfunc_end206-_ZN9rocsparseL19gebsrmvn_2xn_kernelILj128ELj12ELj64E21rocsparse_complex_numIfEEEvi20rocsparse_direction_NS_24const_host_device_scalarIT2_EEPKiS8_PKS5_SA_S6_PS5_21rocsparse_index_base_b
                                        ; -- End function
	.section	.AMDGPU.csdata,"",@progbits
; Kernel info:
; codeLenInByte = 2984
; NumSgprs: 22
; NumVgprs: 86
; NumAgprs: 0
; TotalNumVgprs: 86
; ScratchSize: 0
; MemoryBound: 0
; FloatMode: 240
; IeeeMode: 1
; LDSByteSize: 0 bytes/workgroup (compile time only)
; SGPRBlocks: 2
; VGPRBlocks: 10
; NumSGPRsForWavesPerEU: 22
; NumVGPRsForWavesPerEU: 86
; AccumOffset: 88
; Occupancy: 5
; WaveLimiterHint : 1
; COMPUTE_PGM_RSRC2:SCRATCH_EN: 0
; COMPUTE_PGM_RSRC2:USER_SGPR: 2
; COMPUTE_PGM_RSRC2:TRAP_HANDLER: 0
; COMPUTE_PGM_RSRC2:TGID_X_EN: 1
; COMPUTE_PGM_RSRC2:TGID_Y_EN: 0
; COMPUTE_PGM_RSRC2:TGID_Z_EN: 0
; COMPUTE_PGM_RSRC2:TIDIG_COMP_CNT: 0
; COMPUTE_PGM_RSRC3_GFX90A:ACCUM_OFFSET: 21
; COMPUTE_PGM_RSRC3_GFX90A:TG_SPLIT: 0
	.section	.text._ZN9rocsparseL19gebsrmvn_2xn_kernelILj128ELj13ELj4E21rocsparse_complex_numIfEEEvi20rocsparse_direction_NS_24const_host_device_scalarIT2_EEPKiS8_PKS5_SA_S6_PS5_21rocsparse_index_base_b,"axG",@progbits,_ZN9rocsparseL19gebsrmvn_2xn_kernelILj128ELj13ELj4E21rocsparse_complex_numIfEEEvi20rocsparse_direction_NS_24const_host_device_scalarIT2_EEPKiS8_PKS5_SA_S6_PS5_21rocsparse_index_base_b,comdat
	.globl	_ZN9rocsparseL19gebsrmvn_2xn_kernelILj128ELj13ELj4E21rocsparse_complex_numIfEEEvi20rocsparse_direction_NS_24const_host_device_scalarIT2_EEPKiS8_PKS5_SA_S6_PS5_21rocsparse_index_base_b ; -- Begin function _ZN9rocsparseL19gebsrmvn_2xn_kernelILj128ELj13ELj4E21rocsparse_complex_numIfEEEvi20rocsparse_direction_NS_24const_host_device_scalarIT2_EEPKiS8_PKS5_SA_S6_PS5_21rocsparse_index_base_b
	.p2align	8
	.type	_ZN9rocsparseL19gebsrmvn_2xn_kernelILj128ELj13ELj4E21rocsparse_complex_numIfEEEvi20rocsparse_direction_NS_24const_host_device_scalarIT2_EEPKiS8_PKS5_SA_S6_PS5_21rocsparse_index_base_b,@function
_ZN9rocsparseL19gebsrmvn_2xn_kernelILj128ELj13ELj4E21rocsparse_complex_numIfEEEvi20rocsparse_direction_NS_24const_host_device_scalarIT2_EEPKiS8_PKS5_SA_S6_PS5_21rocsparse_index_base_b: ; @_ZN9rocsparseL19gebsrmvn_2xn_kernelILj128ELj13ELj4E21rocsparse_complex_numIfEEEvi20rocsparse_direction_NS_24const_host_device_scalarIT2_EEPKiS8_PKS5_SA_S6_PS5_21rocsparse_index_base_b
; %bb.0:
	s_load_dwordx2 s[12:13], s[0:1], 0x40
	s_load_dwordx2 s[8:9], s[0:1], 0x8
	;; [unrolled: 1-line block ×3, first 2 shown]
	s_waitcnt lgkmcnt(0)
	s_bitcmp1_b32 s13, 0
	s_cselect_b64 s[4:5], -1, 0
	s_xor_b64 s[10:11], s[4:5], -1
	s_and_b64 vcc, exec, s[4:5]
	v_mov_b32_e32 v2, s8
	s_cbranch_vccnz .LBB207_2
; %bb.1:
	v_mov_b64_e32 v[2:3], s[8:9]
	flat_load_dword v2, v[2:3]
.LBB207_2:
	v_cndmask_b32_e64 v1, 0, 1, s[10:11]
	v_cmp_ne_u32_e64 s[4:5], 1, v1
	s_andn2_b64 vcc, exec, s[10:11]
	v_mov_b32_e32 v3, s9
	s_cbranch_vccz .LBB207_16
; %bb.3:
	s_and_b64 vcc, exec, s[4:5]
	v_mov_b32_e32 v4, s6
	s_cbranch_vccz .LBB207_17
.LBB207_4:
	s_and_b64 vcc, exec, s[4:5]
	v_mov_b32_e32 v5, s7
	s_cbranch_vccnz .LBB207_6
.LBB207_5:
	v_mov_b64_e32 v[6:7], s[6:7]
	flat_load_dword v5, v[6:7] offset:4
.LBB207_6:
	s_waitcnt vmcnt(0) lgkmcnt(0)
	v_and_b32_e32 v1, 0x7fffffff, v2
	v_cmp_eq_u32_e32 vcc, 0, v1
	v_cmp_eq_f32_e64 s[4:5], 0, v3
	s_and_b64 s[8:9], vcc, s[4:5]
	s_mov_b64 s[4:5], -1
	s_and_saveexec_b64 s[6:7], s[8:9]
; %bb.7:
	v_and_b32_e32 v1, 0x7fffffff, v5
	v_cmp_neq_f32_e32 vcc, 1.0, v4
	v_cmp_ne_u32_e64 s[4:5], 0, v1
	s_or_b64 s[4:5], vcc, s[4:5]
	s_orn2_b64 s[4:5], s[4:5], exec
; %bb.8:
	s_or_b64 exec, exec, s[6:7]
	s_and_saveexec_b64 s[6:7], s[4:5]
	s_cbranch_execz .LBB207_29
; %bb.9:
	s_load_dwordx2 s[14:15], s[0:1], 0x0
	v_lshrrev_b32_e32 v1, 2, v0
	v_lshl_or_b32 v6, s2, 5, v1
	s_waitcnt lgkmcnt(0)
	v_cmp_gt_i32_e32 vcc, s14, v6
	s_and_b64 exec, exec, vcc
	s_cbranch_execz .LBB207_29
; %bb.10:
	s_load_dwordx8 s[4:11], s[0:1], 0x10
	v_ashrrev_i32_e32 v7, 31, v6
	s_cmp_lg_u32 s15, 0
	s_waitcnt lgkmcnt(0)
	v_lshl_add_u64 v[8:9], v[6:7], 2, s[4:5]
	global_load_dwordx2 v[8:9], v[8:9], off
	v_and_b32_e32 v7, 3, v0
	s_waitcnt vmcnt(0)
	v_subrev_u32_e32 v0, s12, v8
	v_subrev_u32_e32 v26, s12, v9
	v_add_u32_e32 v0, v0, v7
	v_cmp_lt_i32_e64 s[2:3], v0, v26
	s_cbranch_scc0 .LBB207_18
; %bb.11:
	v_mov_b32_e32 v9, 0
	v_mov_b32_e32 v8, v9
	;; [unrolled: 1-line block ×4, first 2 shown]
	s_and_saveexec_b64 s[4:5], s[2:3]
	s_cbranch_execz .LBB207_15
; %bb.12:
	v_mov_b32_e32 v13, 0
	v_mul_lo_u32 v12, v0, 26
	s_mov_b64 s[14:15], 0
	v_mov_b32_e32 v14, v0
	v_mov_b32_e32 v10, v13
	;; [unrolled: 1-line block ×5, first 2 shown]
.LBB207_13:                             ; =>This Inner Loop Header: Depth=1
	v_ashrrev_i32_e32 v15, 31, v14
	v_lshl_add_u64 v[58:59], v[14:15], 2, s[6:7]
	global_load_dword v1, v[58:59], off
	v_mov_b32_e32 v17, v13
	v_lshl_add_u64 v[28:29], v[12:13], 3, s[8:9]
	global_load_dwordx4 v[28:31], v[28:29], off
	v_mov_b32_e32 v35, v13
	v_mov_b32_e32 v39, v13
	v_add_u32_e32 v32, 2, v12
	v_mov_b32_e32 v33, v13
	v_add_u32_e32 v36, 4, v12
	;; [unrolled: 2-line block ×3, first 2 shown]
	v_mov_b32_e32 v41, v13
	v_mov_b32_e32 v43, v13
	v_add_u32_e32 v44, 8, v12
	v_mov_b32_e32 v45, v13
	v_mov_b32_e32 v47, v13
	v_add_u32_e32 v48, 10, v12
	v_mov_b32_e32 v49, v13
	v_add_u32_e32 v52, 14, v12
	;; [unrolled: 2-line block ×3, first 2 shown]
	v_mov_b32_e32 v57, v13
	v_mov_b32_e32 v21, v13
	v_add_u32_e32 v50, 12, v12
	v_mov_b32_e32 v51, v13
	v_add_u32_e32 v54, 16, v12
	v_mov_b32_e32 v55, v13
	v_mov_b32_e32 v19, v13
	;; [unrolled: 1-line block ×5, first 2 shown]
	v_add_u32_e32 v14, 4, v14
	v_cmp_ge_i32_e32 vcc, v14, v26
	s_or_b64 s[14:15], vcc, s[14:15]
	s_waitcnt vmcnt(1)
	v_subrev_u32_e32 v1, s12, v1
	v_mul_lo_u32 v16, v1, 13
	v_lshl_add_u64 v[60:61], v[16:17], 3, s[10:11]
	global_load_dwordx2 v[60:61], v[60:61], off
	v_add_u32_e32 v34, 1, v16
	v_add_u32_e32 v38, 2, v16
	v_lshl_add_u64 v[34:35], v[34:35], 3, s[10:11]
	v_lshl_add_u64 v[38:39], v[38:39], 3, s[10:11]
	global_load_dwordx2 v[38:39], v[38:39], off
	s_waitcnt vmcnt(2)
	v_xor_b32_e32 v58, 0x80000000, v31
	global_load_dwordx2 v[34:35], v[34:35], off
	v_mov_b32_e32 v59, v30
	v_add_u32_e32 v42, 3, v16
	v_add_u32_e32 v46, 4, v16
	;; [unrolled: 1-line block ×3, first 2 shown]
	v_lshl_add_u64 v[20:21], v[20:21], 3, s[10:11]
	v_add_u32_e32 v18, 6, v16
	v_add_u32_e32 v22, 7, v16
	;; [unrolled: 1-line block ×4, first 2 shown]
	v_lshl_add_u64 v[18:19], v[18:19], 3, s[10:11]
	v_lshl_add_u64 v[22:23], v[22:23], 3, s[10:11]
	;; [unrolled: 1-line block ×3, first 2 shown]
	s_waitcnt vmcnt(2)
	v_pk_fma_f32 v[8:9], v[28:29], v[60:61], v[8:9] op_sel_hi:[1,0,1]
	v_pk_fma_f32 v[10:11], v[30:31], v[60:61], v[10:11] op_sel_hi:[1,0,1]
	v_pk_fma_f32 v[28:29], v[28:29], v[60:61], v[8:9] op_sel:[1,1,0] op_sel_hi:[0,1,1] neg_lo:[1,0,0]
	v_lshl_add_u64 v[8:9], v[32:33], 3, s[8:9]
	v_pk_fma_f32 v[32:33], v[58:59], v[60:61], v[10:11] op_sel:[0,1,0]
	global_load_dwordx4 v[8:11], v[8:9], off
	v_add_u32_e32 v30, 20, v12
	v_mov_b32_e32 v31, v13
	v_mov_b32_e32 v61, v13
	v_add_u32_e32 v60, 10, v16
	s_waitcnt vmcnt(0)
	v_pk_fma_f32 v[28:29], v[8:9], v[34:35], v[28:29] op_sel_hi:[1,0,1]
	v_xor_b32_e32 v58, 0x80000000, v11
	v_mov_b32_e32 v59, v10
	v_pk_fma_f32 v[10:11], v[10:11], v[34:35], v[32:33] op_sel_hi:[1,0,1]
	v_pk_fma_f32 v[28:29], v[8:9], v[34:35], v[28:29] op_sel:[1,1,0] op_sel_hi:[0,1,1] neg_lo:[1,0,0]
	v_lshl_add_u64 v[8:9], v[36:37], 3, s[8:9]
	v_pk_fma_f32 v[34:35], v[58:59], v[34:35], v[10:11] op_sel:[0,1,0]
	global_load_dwordx4 v[8:11], v[8:9], off
	v_add_u32_e32 v32, 22, v12
	v_mov_b32_e32 v33, v13
	v_mov_b32_e32 v59, v13
	v_add_u32_e32 v58, 11, v16
	v_add_u32_e32 v16, 12, v16
	v_lshl_add_u64 v[16:17], v[16:17], 3, s[10:11]
	s_waitcnt vmcnt(0)
	v_pk_fma_f32 v[28:29], v[8:9], v[38:39], v[28:29] op_sel_hi:[1,0,1]
	v_xor_b32_e32 v36, 0x80000000, v11
	v_mov_b32_e32 v37, v10
	v_pk_fma_f32 v[10:11], v[10:11], v[38:39], v[34:35] op_sel_hi:[1,0,1]
	v_pk_fma_f32 v[28:29], v[8:9], v[38:39], v[28:29] op_sel:[1,1,0] op_sel_hi:[0,1,1] neg_lo:[1,0,0]
	v_lshl_add_u64 v[8:9], v[40:41], 3, s[8:9]
	v_lshl_add_u64 v[40:41], v[42:43], 3, s[10:11]
	v_pk_fma_f32 v[36:37], v[36:37], v[38:39], v[10:11] op_sel:[0,1,0]
	global_load_dwordx4 v[8:11], v[8:9], off
	v_add_u32_e32 v34, 24, v12
	global_load_dwordx2 v[40:41], v[40:41], off
	v_mov_b32_e32 v35, v13
	v_lshl_add_u64 v[64:65], v[34:35], 3, s[8:9]
	v_lshl_add_u64 v[34:35], v[46:47], 3, s[10:11]
	v_add_u32_e32 v12, 0x68, v12
	s_waitcnt vmcnt(1)
	v_xor_b32_e32 v38, 0x80000000, v11
	v_mov_b32_e32 v39, v10
	s_waitcnt vmcnt(0)
	v_pk_fma_f32 v[28:29], v[8:9], v[40:41], v[28:29] op_sel_hi:[1,0,1]
	v_pk_fma_f32 v[36:37], v[10:11], v[40:41], v[36:37] op_sel_hi:[1,0,1]
	v_pk_fma_f32 v[42:43], v[8:9], v[40:41], v[28:29] op_sel:[1,1,0] op_sel_hi:[0,1,1] neg_lo:[1,0,0]
	v_lshl_add_u64 v[8:9], v[44:45], 3, s[8:9]
	v_lshl_add_u64 v[28:29], v[48:49], 3, s[8:9]
	;; [unrolled: 1-line block ×5, first 2 shown]
	global_load_dwordx4 v[8:11], v[8:9], off
	v_pk_fma_f32 v[32:33], v[38:39], v[40:41], v[36:37] op_sel:[0,1,0]
	global_load_dwordx2 v[38:39], v[34:35], off
	v_lshl_add_u64 v[44:45], v[50:51], 3, s[8:9]
	v_lshl_add_u64 v[50:51], v[54:55], 3, s[8:9]
	v_lshl_add_u64 v[54:55], v[30:31], 3, s[8:9]
	global_load_dwordx4 v[28:31], v[28:29], off
	s_waitcnt vmcnt(2)
	v_xor_b32_e32 v36, 0x80000000, v11
	v_mov_b32_e32 v37, v10
	s_waitcnt vmcnt(1)
	v_pk_fma_f32 v[34:35], v[8:9], v[38:39], v[42:43] op_sel_hi:[1,0,1]
	v_pk_fma_f32 v[40:41], v[10:11], v[38:39], v[32:33] op_sel_hi:[1,0,1]
	v_pk_fma_f32 v[42:43], v[8:9], v[38:39], v[34:35] op_sel:[1,1,0] op_sel_hi:[0,1,1] neg_lo:[1,0,0]
	global_load_dwordx4 v[8:11], v[44:45], off
	global_load_dwordx4 v[32:35], v[48:49], off
	v_pk_fma_f32 v[40:41], v[36:37], v[38:39], v[40:41] op_sel:[0,1,0]
	global_load_dwordx2 v[20:21], v[20:21], off
	s_waitcnt vmcnt(3)
	v_xor_b32_e32 v44, 0x80000000, v31
	global_load_dwordx4 v[36:39], v[50:51], off
	v_mov_b32_e32 v45, v30
	s_waitcnt vmcnt(1)
	v_pk_fma_f32 v[42:43], v[28:29], v[20:21], v[42:43] op_sel_hi:[1,0,1]
	v_pk_fma_f32 v[46:47], v[30:31], v[20:21], v[40:41] op_sel_hi:[1,0,1]
	v_pk_fma_f32 v[66:67], v[28:29], v[20:21], v[42:43] op_sel:[1,1,0] op_sel_hi:[0,1,1] neg_lo:[1,0,0]
	global_load_dwordx4 v[28:31], v[52:53], off
	global_load_dwordx4 v[40:43], v[54:55], off
	v_pk_fma_f32 v[20:21], v[44:45], v[20:21], v[46:47] op_sel:[0,1,0]
	global_load_dwordx4 v[44:47], v[56:57], off
	global_load_dwordx4 v[48:51], v[64:65], off
	v_lshl_add_u64 v[52:53], v[62:63], 3, s[10:11]
	v_lshl_add_u64 v[54:55], v[60:61], 3, s[10:11]
	;; [unrolled: 1-line block ×3, first 2 shown]
	global_load_dwordx2 v[58:59], v[18:19], off
	global_load_dwordx2 v[60:61], v[22:23], off
	;; [unrolled: 1-line block ×7, first 2 shown]
	v_xor_b32_e32 v16, 0x80000000, v11
	v_mov_b32_e32 v17, v10
	s_waitcnt vmcnt(6)
	v_pk_fma_f32 v[18:19], v[8:9], v[58:59], v[66:67] op_sel_hi:[1,0,1]
	v_pk_fma_f32 v[10:11], v[10:11], v[58:59], v[20:21] op_sel_hi:[1,0,1]
	v_pk_fma_f32 v[8:9], v[8:9], v[58:59], v[18:19] op_sel:[1,1,0] op_sel_hi:[0,1,1] neg_lo:[1,0,0]
	v_pk_fma_f32 v[10:11], v[16:17], v[58:59], v[10:11] op_sel:[0,1,0]
	v_xor_b32_e32 v18, 0x80000000, v35
	v_mov_b32_e32 v19, v34
	s_waitcnt vmcnt(5)
	v_pk_fma_f32 v[8:9], v[32:33], v[60:61], v[8:9] op_sel_hi:[1,0,1]
	v_pk_fma_f32 v[10:11], v[34:35], v[60:61], v[10:11] op_sel_hi:[1,0,1]
	v_pk_fma_f32 v[8:9], v[32:33], v[60:61], v[8:9] op_sel:[1,1,0] op_sel_hi:[0,1,1] neg_lo:[1,0,0]
	v_pk_fma_f32 v[10:11], v[18:19], v[60:61], v[10:11] op_sel:[0,1,0]
	;; [unrolled: 7-line block ×7, first 2 shown]
	s_andn2_b64 exec, exec, s[14:15]
	s_cbranch_execnz .LBB207_13
; %bb.14:
	s_or_b64 exec, exec, s[14:15]
.LBB207_15:
	s_or_b64 exec, exec, s[4:5]
	s_cbranch_execz .LBB207_19
	s_branch .LBB207_24
.LBB207_16:
	v_mov_b64_e32 v[4:5], s[8:9]
	flat_load_dword v3, v[4:5] offset:4
	s_and_b64 vcc, exec, s[4:5]
	v_mov_b32_e32 v4, s6
	s_cbranch_vccnz .LBB207_4
.LBB207_17:
	v_mov_b64_e32 v[4:5], s[6:7]
	flat_load_dword v4, v[4:5]
	s_and_b64 vcc, exec, s[4:5]
	v_mov_b32_e32 v5, s7
	s_cbranch_vccz .LBB207_5
	s_branch .LBB207_6
.LBB207_18:
                                        ; implicit-def: $vgpr9
                                        ; implicit-def: $vgpr11
.LBB207_19:
	v_mov_b32_e32 v9, 0
	v_mov_b32_e32 v8, v9
	;; [unrolled: 1-line block ×4, first 2 shown]
	s_and_saveexec_b64 s[4:5], s[2:3]
	s_cbranch_execz .LBB207_23
; %bb.20:
	v_mad_u64_u32 v[12:13], s[2:3], v0, 26, 25
	v_mov_b32_e32 v15, 0
	s_mov_b64 s[2:3], 0
	v_mov_b32_e32 v10, v15
	v_mov_b32_e32 v11, v15
	;; [unrolled: 1-line block ×4, first 2 shown]
.LBB207_21:                             ; =>This Inner Loop Header: Depth=1
	v_ashrrev_i32_e32 v1, 31, v0
	v_subrev_u32_e32 v14, 25, v12
	v_add_u32_e32 v18, -12, v12
	v_mov_b32_e32 v19, v15
	v_mov_b32_e32 v13, v15
	v_lshl_add_u64 v[22:23], v[0:1], 2, s[6:7]
	v_lshl_add_u64 v[24:25], v[14:15], 3, s[8:9]
	;; [unrolled: 1-line block ×4, first 2 shown]
	global_load_dword v1, v[22:23], off
	global_load_dwordx4 v[18:21], v[24:25], off
	global_load_dwordx2 v[32:33], v[28:29], off
	global_load_dwordx2 v[34:35], v[30:31], off
	v_mov_b32_e32 v17, v15
	v_add_u32_e32 v0, 4, v0
	v_cmp_ge_i32_e32 vcc, v0, v26
	s_or_b64 s[2:3], vcc, s[2:3]
	s_waitcnt vmcnt(3)
	v_subrev_u32_e32 v1, s12, v1
	v_mul_lo_u32 v16, v1, 13
	v_lshl_add_u64 v[24:25], v[16:17], 3, s[10:11]
	global_load_dwordx2 v[24:25], v[24:25], off
	v_add_u32_e32 v14, 1, v16
	v_lshl_add_u64 v[28:29], v[14:15], 3, s[10:11]
	global_load_dwordx2 v[28:29], v[28:29], off
	v_add_u32_e32 v14, -11, v12
	v_lshl_add_u64 v[30:31], v[14:15], 3, s[8:9]
	v_subrev_u32_e32 v14, 23, v12
	global_load_dwordx2 v[30:31], v[30:31], off
	v_lshl_add_u64 v[36:37], v[14:15], 3, s[8:9]
	v_add_u32_e32 v14, 2, v16
	v_lshl_add_u64 v[38:39], v[14:15], 3, s[10:11]
	v_add_u32_e32 v14, -10, v12
	global_load_dwordx2 v[36:37], v[36:37], off
	v_lshl_add_u64 v[40:41], v[14:15], 3, s[8:9]
	global_load_dwordx2 v[38:39], v[38:39], off
	v_subrev_u32_e32 v14, 22, v12
	global_load_dwordx2 v[40:41], v[40:41], off
	v_lshl_add_u64 v[42:43], v[14:15], 3, s[8:9]
	global_load_dwordx2 v[42:43], v[42:43], off
	v_add_u32_e32 v14, 3, v16
	v_lshl_add_u64 v[44:45], v[14:15], 3, s[10:11]
	v_add_u32_e32 v14, -9, v12
	global_load_dwordx2 v[44:45], v[44:45], off
	v_lshl_add_u64 v[46:47], v[14:15], 3, s[8:9]
	v_subrev_u32_e32 v14, 21, v12
	global_load_dwordx2 v[46:47], v[46:47], off
	v_lshl_add_u64 v[48:49], v[14:15], 3, s[8:9]
	global_load_dwordx2 v[48:49], v[48:49], off
	v_add_u32_e32 v14, 4, v16
	v_lshl_add_u64 v[50:51], v[14:15], 3, s[10:11]
	v_add_u32_e32 v14, -8, v12
	global_load_dwordx2 v[50:51], v[50:51], off
	v_lshl_add_u64 v[52:53], v[14:15], 3, s[8:9]
	global_load_dwordx2 v[52:53], v[52:53], off
	v_subrev_u32_e32 v14, 20, v12
	v_lshl_add_u64 v[54:55], v[14:15], 3, s[8:9]
	v_add_u32_e32 v14, 5, v16
	v_lshl_add_u64 v[56:57], v[14:15], 3, s[10:11]
	v_add_u32_e32 v14, -7, v12
	v_lshl_add_u64 v[58:59], v[14:15], 3, s[8:9]
	v_subrev_u32_e32 v14, 19, v12
	v_lshl_add_u64 v[60:61], v[14:15], 3, s[8:9]
	v_add_u32_e32 v14, 6, v16
	v_lshl_add_u64 v[62:63], v[14:15], 3, s[10:11]
	v_add_u32_e32 v14, -6, v12
	v_lshl_add_u64 v[64:65], v[14:15], 3, s[8:9]
	v_subrev_u32_e32 v14, 18, v12
	s_waitcnt vmcnt(14)
	v_xor_b32_e32 v22, 0x80000000, v21
	v_mov_b32_e32 v23, v20
	global_load_dwordx2 v[54:55], v[54:55], off
	s_waitcnt vmcnt(12)
	v_pk_fma_f32 v[10:11], v[32:33], v[24:25], v[10:11] op_sel_hi:[1,0,1]
	s_nop 0
	v_pk_fma_f32 v[10:11], v[32:33], v[24:25], v[10:11] op_sel:[1,1,0] op_sel_hi:[0,1,1] neg_lo:[1,0,0]
	v_lshl_add_u64 v[32:33], v[14:15], 3, s[8:9]
	v_add_u32_e32 v14, 7, v16
	v_pk_fma_f32 v[8:9], v[18:19], v[24:25], v[8:9] op_sel_hi:[1,0,1]
	global_load_dwordx2 v[56:57], v[56:57], off
	v_pk_fma_f32 v[8:9], v[18:19], v[24:25], v[8:9] op_sel:[1,1,0] op_sel_hi:[0,1,1] neg_lo:[1,0,0]
	v_lshl_add_u64 v[18:19], v[14:15], 3, s[10:11]
	v_add_u32_e32 v14, -5, v12
	s_waitcnt vmcnt(12)
	v_pk_fma_f32 v[8:9], v[20:21], v[28:29], v[8:9] op_sel_hi:[1,0,1]
	v_lshl_add_u64 v[20:21], v[14:15], 3, s[8:9]
	v_subrev_u32_e32 v14, 17, v12
	global_load_dwordx2 v[58:59], v[58:59], off
	v_pk_fma_f32 v[8:9], v[22:23], v[28:29], v[8:9] op_sel:[0,1,0]
	global_load_dwordx2 v[60:61], v[60:61], off
	s_nop 0
	global_load_dwordx2 v[24:25], v[32:33], off
	v_lshl_add_u64 v[32:33], v[14:15], 3, s[8:9]
	v_add_u32_e32 v14, 8, v16
	v_lshl_add_u64 v[22:23], v[14:15], 3, s[10:11]
	v_add_u32_e32 v14, -4, v12
	s_waitcnt vmcnt(14)
	v_pk_fma_f32 v[10:11], v[30:31], v[28:29], v[10:11] op_sel_hi:[1,0,1]
	global_load_dwordx2 v[62:63], v[62:63], off
	v_pk_fma_f32 v[10:11], v[30:31], v[28:29], v[10:11] op_sel:[1,1,0] op_sel_hi:[0,1,1] neg_lo:[1,0,0]
	global_load_dwordx2 v[64:65], v[64:65], off
	v_lshl_add_u64 v[28:29], v[14:15], 3, s[8:9]
	v_add_u32_e32 v14, -16, v12
	v_lshl_add_u64 v[30:31], v[14:15], 3, s[8:9]
	v_add_u32_e32 v14, 9, v16
	s_waitcnt vmcnt(14)
	v_pk_fma_f32 v[8:9], v[36:37], v[38:39], v[8:9] op_sel_hi:[1,0,1]
	global_load_dwordx2 v[18:19], v[18:19], off
	v_pk_fma_f32 v[8:9], v[36:37], v[38:39], v[8:9] op_sel:[1,1,0] op_sel_hi:[0,1,1] neg_lo:[1,0,0]
	global_load_dwordx2 v[20:21], v[20:21], off
	v_lshl_add_u64 v[36:37], v[14:15], 3, s[10:11]
	v_add_u32_e32 v14, -3, v12
	s_waitcnt vmcnt(15)
	v_pk_fma_f32 v[10:11], v[40:41], v[38:39], v[10:11] op_sel_hi:[1,0,1]
	global_load_dwordx2 v[32:33], v[32:33], off
	v_pk_fma_f32 v[10:11], v[40:41], v[38:39], v[10:11] op_sel:[1,1,0] op_sel_hi:[0,1,1] neg_lo:[1,0,0]
	global_load_dwordx2 v[30:31], v[30:31], off
	v_lshl_add_u64 v[38:39], v[14:15], 3, s[8:9]
	v_add_u32_e32 v14, -15, v12
	global_load_dwordx2 v[22:23], v[22:23], off
	v_lshl_add_u64 v[40:41], v[14:15], 3, s[8:9]
	global_load_dwordx2 v[28:29], v[28:29], off
	v_add_u32_e32 v14, 10, v16
	s_waitcnt vmcnt(17)
	v_pk_fma_f32 v[8:9], v[42:43], v[44:45], v[8:9] op_sel_hi:[1,0,1]
	s_waitcnt vmcnt(16)
	v_pk_fma_f32 v[10:11], v[46:47], v[44:45], v[10:11] op_sel_hi:[1,0,1]
	v_pk_fma_f32 v[8:9], v[42:43], v[44:45], v[8:9] op_sel:[1,1,0] op_sel_hi:[0,1,1] neg_lo:[1,0,0]
	v_lshl_add_u64 v[42:43], v[14:15], 3, s[10:11]
	v_add_u32_e32 v14, -2, v12
	global_load_dwordx2 v[36:37], v[36:37], off
	v_pk_fma_f32 v[10:11], v[46:47], v[44:45], v[10:11] op_sel:[1,1,0] op_sel_hi:[0,1,1] neg_lo:[1,0,0]
	global_load_dwordx2 v[38:39], v[38:39], off
	v_lshl_add_u64 v[44:45], v[14:15], 3, s[8:9]
	global_load_dwordx2 v[40:41], v[40:41], off
	v_add_u32_e32 v14, -14, v12
	v_lshl_add_u64 v[46:47], v[14:15], 3, s[8:9]
	v_add_u32_e32 v14, 11, v16
	s_waitcnt vmcnt(17)
	v_pk_fma_f32 v[8:9], v[48:49], v[50:51], v[8:9] op_sel_hi:[1,0,1]
	global_load_dwordx2 v[42:43], v[42:43], off
	v_pk_fma_f32 v[8:9], v[48:49], v[50:51], v[8:9] op_sel:[1,1,0] op_sel_hi:[0,1,1] neg_lo:[1,0,0]
	global_load_dwordx2 v[44:45], v[44:45], off
	v_lshl_add_u64 v[48:49], v[14:15], 3, s[10:11]
	global_load_dwordx2 v[46:47], v[46:47], off
	v_add_u32_e32 v14, -1, v12
	s_waitcnt vmcnt(19)
	v_pk_fma_f32 v[10:11], v[52:53], v[50:51], v[10:11] op_sel_hi:[1,0,1]
	global_load_dwordx2 v[48:49], v[48:49], off
	v_pk_fma_f32 v[10:11], v[52:53], v[50:51], v[10:11] op_sel:[1,1,0] op_sel_hi:[0,1,1] neg_lo:[1,0,0]
	v_lshl_add_u64 v[50:51], v[14:15], 3, s[8:9]
	v_add_u32_e32 v14, -13, v12
	v_lshl_add_u64 v[52:53], v[14:15], 3, s[8:9]
	v_add_u32_e32 v14, 12, v16
	global_load_dwordx2 v[16:17], v[50:51], off
	v_lshl_add_u64 v[50:51], v[14:15], 3, s[10:11]
	global_load_dwordx2 v[66:67], v[52:53], off
	global_load_dwordx2 v[68:69], v[50:51], off
	v_add_u32_e32 v12, 0x68, v12
	s_waitcnt vmcnt(21)
	v_pk_fma_f32 v[8:9], v[54:55], v[56:57], v[8:9] op_sel_hi:[1,0,1]
	s_nop 0
	v_pk_fma_f32 v[8:9], v[54:55], v[56:57], v[8:9] op_sel:[1,1,0] op_sel_hi:[0,1,1] neg_lo:[1,0,0]
	s_waitcnt vmcnt(20)
	v_pk_fma_f32 v[10:11], v[58:59], v[56:57], v[10:11] op_sel_hi:[1,0,1]
	s_nop 0
	v_pk_fma_f32 v[10:11], v[58:59], v[56:57], v[10:11] op_sel:[1,1,0] op_sel_hi:[0,1,1] neg_lo:[1,0,0]
	;; [unrolled: 4-line block ×3, first 2 shown]
	s_waitcnt vmcnt(16)
	v_pk_fma_f32 v[10:11], v[64:65], v[62:63], v[10:11] op_sel_hi:[1,0,1]
	s_waitcnt vmcnt(15)
	v_pk_fma_f32 v[8:9], v[24:25], v[18:19], v[8:9] op_sel_hi:[1,0,1]
	v_pk_fma_f32 v[10:11], v[64:65], v[62:63], v[10:11] op_sel:[1,1,0] op_sel_hi:[0,1,1] neg_lo:[1,0,0]
	s_waitcnt vmcnt(14)
	v_pk_fma_f32 v[10:11], v[20:21], v[18:19], v[10:11] op_sel_hi:[1,0,1]
	v_pk_fma_f32 v[8:9], v[24:25], v[18:19], v[8:9] op_sel:[1,1,0] op_sel_hi:[0,1,1] neg_lo:[1,0,0]
	v_pk_fma_f32 v[10:11], v[20:21], v[18:19], v[10:11] op_sel:[1,1,0] op_sel_hi:[0,1,1] neg_lo:[1,0,0]
	s_waitcnt vmcnt(11)
	v_pk_fma_f32 v[8:9], v[32:33], v[22:23], v[8:9] op_sel_hi:[1,0,1]
	s_nop 0
	v_pk_fma_f32 v[8:9], v[32:33], v[22:23], v[8:9] op_sel:[1,1,0] op_sel_hi:[0,1,1] neg_lo:[1,0,0]
	s_waitcnt vmcnt(10)
	v_pk_fma_f32 v[10:11], v[28:29], v[22:23], v[10:11] op_sel_hi:[1,0,1]
	s_waitcnt vmcnt(9)
	v_pk_fma_f32 v[8:9], v[30:31], v[36:37], v[8:9] op_sel_hi:[1,0,1]
	v_pk_fma_f32 v[10:11], v[28:29], v[22:23], v[10:11] op_sel:[1,1,0] op_sel_hi:[0,1,1] neg_lo:[1,0,0]
	s_waitcnt vmcnt(8)
	v_pk_fma_f32 v[10:11], v[38:39], v[36:37], v[10:11] op_sel_hi:[1,0,1]
	v_pk_fma_f32 v[8:9], v[30:31], v[36:37], v[8:9] op_sel:[1,1,0] op_sel_hi:[0,1,1] neg_lo:[1,0,0]
	v_pk_fma_f32 v[10:11], v[38:39], v[36:37], v[10:11] op_sel:[1,1,0] op_sel_hi:[0,1,1] neg_lo:[1,0,0]
	s_waitcnt vmcnt(6)
	v_pk_fma_f32 v[8:9], v[40:41], v[42:43], v[8:9] op_sel_hi:[1,0,1]
	s_nop 0
	v_pk_fma_f32 v[8:9], v[40:41], v[42:43], v[8:9] op_sel:[1,1,0] op_sel_hi:[0,1,1] neg_lo:[1,0,0]
	s_waitcnt vmcnt(5)
	v_pk_fma_f32 v[10:11], v[44:45], v[42:43], v[10:11] op_sel_hi:[1,0,1]
	s_waitcnt vmcnt(3)
	v_pk_fma_f32 v[8:9], v[46:47], v[48:49], v[8:9] op_sel_hi:[1,0,1]
	v_pk_fma_f32 v[10:11], v[44:45], v[42:43], v[10:11] op_sel:[1,1,0] op_sel_hi:[0,1,1] neg_lo:[1,0,0]
	v_pk_fma_f32 v[8:9], v[46:47], v[48:49], v[8:9] op_sel:[1,1,0] op_sel_hi:[0,1,1] neg_lo:[1,0,0]
	s_waitcnt vmcnt(2)
	v_pk_fma_f32 v[10:11], v[16:17], v[48:49], v[10:11] op_sel_hi:[1,0,1]
	s_nop 0
	v_pk_fma_f32 v[10:11], v[16:17], v[48:49], v[10:11] op_sel:[1,1,0] op_sel_hi:[0,1,1] neg_lo:[1,0,0]
	s_waitcnt vmcnt(0)
	v_pk_fma_f32 v[8:9], v[66:67], v[68:69], v[8:9] op_sel_hi:[1,0,1]
	v_pk_fma_f32 v[10:11], v[34:35], v[68:69], v[10:11] op_sel_hi:[1,0,1]
	v_pk_fma_f32 v[8:9], v[66:67], v[68:69], v[8:9] op_sel:[1,1,0] op_sel_hi:[0,1,1] neg_lo:[1,0,0]
	v_pk_fma_f32 v[10:11], v[34:35], v[68:69], v[10:11] op_sel:[1,1,0] op_sel_hi:[0,1,1] neg_lo:[1,0,0]
	s_andn2_b64 exec, exec, s[2:3]
	s_cbranch_execnz .LBB207_21
; %bb.22:
	s_or_b64 exec, exec, s[2:3]
.LBB207_23:
	s_or_b64 exec, exec, s[4:5]
.LBB207_24:
	v_mov_b32_dpp v0, v8 row_shr:1 row_mask:0xf bank_mask:0xf
	v_add_f32_e32 v0, v8, v0
	v_mov_b32_dpp v8, v9 row_shr:1 row_mask:0xf bank_mask:0xf
	v_add_f32_e32 v9, v9, v8
	v_mov_b32_dpp v1, v0 row_shr:2 row_mask:0xf bank_mask:0xf
	v_mov_b32_dpp v8, v10 row_shr:1 row_mask:0xf bank_mask:0xf
	v_add_f32_e32 v10, v10, v8
	v_mov_b32_dpp v12, v9 row_shr:2 row_mask:0xf bank_mask:0xf
	;; [unrolled: 3-line block ×3, first 2 shown]
	v_cmp_eq_u32_e32 vcc, 3, v7
	v_mov_b32_dpp v14, v11 row_shr:2 row_mask:0xf bank_mask:0xf
	s_and_b64 exec, exec, vcc
	s_cbranch_execz .LBB207_29
; %bb.25:
	s_load_dwordx2 s[2:3], s[0:1], 0x38
	v_add_f32_e32 v8, v0, v1
	v_and_b32_e32 v1, 0x7fffffff, v4
	v_cmp_eq_u32_e32 vcc, 0, v1
	v_cmp_eq_f32_e64 s[0:1], 0, v5
	v_add_f32_e32 v12, v9, v12
	v_add_f32_e32 v0, v10, v13
	;; [unrolled: 1-line block ×3, first 2 shown]
	s_and_b64 s[0:1], vcc, s[0:1]
	s_and_saveexec_b64 s[4:5], s[0:1]
	s_xor_b64 s[0:1], exec, s[4:5]
	s_cbranch_execz .LBB207_27
; %bb.26:
	v_lshlrev_b32_e32 v4, 1, v6
	v_xor_b32_e32 v14, 0x80000000, v3
	v_ashrrev_i32_e32 v5, 31, v4
	v_mov_b32_e32 v15, v2
	s_waitcnt lgkmcnt(0)
	v_lshl_add_u64 v[16:17], v[4:5], 3, s[2:3]
	v_pk_mul_f32 v[4:5], v[12:13], v[14:15] op_sel_hi:[0,1]
	v_pk_mul_f32 v[6:7], v[10:11], v[14:15] op_sel_hi:[0,1]
	v_pk_fma_f32 v[4:5], v[2:3], v[8:9], v[4:5] op_sel_hi:[1,0,1]
	v_pk_fma_f32 v[6:7], v[2:3], v[0:1], v[6:7] op_sel_hi:[1,0,1]
	global_store_dwordx4 v[16:17], v[4:7], off
                                        ; implicit-def: $vgpr3
                                        ; implicit-def: $vgpr4
                                        ; implicit-def: $vgpr6
                                        ; implicit-def: $vgpr8
                                        ; implicit-def: $vgpr12
                                        ; implicit-def: $vgpr0
                                        ; implicit-def: $vgpr10
.LBB207_27:
	s_andn2_saveexec_b64 s[0:1], s[0:1]
	s_cbranch_execz .LBB207_29
; %bb.28:
	v_lshlrev_b32_e32 v6, 1, v6
	v_ashrrev_i32_e32 v7, 31, v6
	s_waitcnt lgkmcnt(0)
	v_lshl_add_u64 v[6:7], v[6:7], 3, s[2:3]
	global_load_dwordx4 v[14:17], v[6:7], off
	v_xor_b32_e32 v18, 0x80000000, v3
	v_mov_b32_e32 v19, v2
	v_pk_mul_f32 v[12:13], v[12:13], v[18:19] op_sel_hi:[0,1]
	v_pk_mul_f32 v[10:11], v[10:11], v[18:19] op_sel_hi:[0,1]
	v_pk_fma_f32 v[8:9], v[2:3], v[8:9], v[12:13] op_sel_hi:[1,0,1]
	v_pk_fma_f32 v[0:1], v[2:3], v[0:1], v[10:11] op_sel_hi:[1,0,1]
	v_xor_b32_e32 v20, 0x80000000, v5
	v_mov_b32_e32 v21, v4
	s_waitcnt vmcnt(0)
	v_pk_fma_f32 v[2:3], v[4:5], v[14:15], v[8:9] op_sel_hi:[1,0,1]
	v_pk_fma_f32 v[4:5], v[4:5], v[16:17], v[0:1] op_sel_hi:[1,0,1]
	v_mov_b32_e32 v8, v17
	v_pk_fma_f32 v[0:1], v[20:21], v[14:15], v[2:3] op_sel:[0,1,0]
	v_pk_fma_f32 v[2:3], v[20:21], v[8:9], v[4:5] op_sel_hi:[1,0,1]
	global_store_dwordx4 v[6:7], v[0:3], off
.LBB207_29:
	s_endpgm
	.section	.rodata,"a",@progbits
	.p2align	6, 0x0
	.amdhsa_kernel _ZN9rocsparseL19gebsrmvn_2xn_kernelILj128ELj13ELj4E21rocsparse_complex_numIfEEEvi20rocsparse_direction_NS_24const_host_device_scalarIT2_EEPKiS8_PKS5_SA_S6_PS5_21rocsparse_index_base_b
		.amdhsa_group_segment_fixed_size 0
		.amdhsa_private_segment_fixed_size 0
		.amdhsa_kernarg_size 72
		.amdhsa_user_sgpr_count 2
		.amdhsa_user_sgpr_dispatch_ptr 0
		.amdhsa_user_sgpr_queue_ptr 0
		.amdhsa_user_sgpr_kernarg_segment_ptr 1
		.amdhsa_user_sgpr_dispatch_id 0
		.amdhsa_user_sgpr_kernarg_preload_length 0
		.amdhsa_user_sgpr_kernarg_preload_offset 0
		.amdhsa_user_sgpr_private_segment_size 0
		.amdhsa_uses_dynamic_stack 0
		.amdhsa_enable_private_segment 0
		.amdhsa_system_sgpr_workgroup_id_x 1
		.amdhsa_system_sgpr_workgroup_id_y 0
		.amdhsa_system_sgpr_workgroup_id_z 0
		.amdhsa_system_sgpr_workgroup_info 0
		.amdhsa_system_vgpr_workitem_id 0
		.amdhsa_next_free_vgpr 74
		.amdhsa_next_free_sgpr 16
		.amdhsa_accum_offset 76
		.amdhsa_reserve_vcc 1
		.amdhsa_float_round_mode_32 0
		.amdhsa_float_round_mode_16_64 0
		.amdhsa_float_denorm_mode_32 3
		.amdhsa_float_denorm_mode_16_64 3
		.amdhsa_dx10_clamp 1
		.amdhsa_ieee_mode 1
		.amdhsa_fp16_overflow 0
		.amdhsa_tg_split 0
		.amdhsa_exception_fp_ieee_invalid_op 0
		.amdhsa_exception_fp_denorm_src 0
		.amdhsa_exception_fp_ieee_div_zero 0
		.amdhsa_exception_fp_ieee_overflow 0
		.amdhsa_exception_fp_ieee_underflow 0
		.amdhsa_exception_fp_ieee_inexact 0
		.amdhsa_exception_int_div_zero 0
	.end_amdhsa_kernel
	.section	.text._ZN9rocsparseL19gebsrmvn_2xn_kernelILj128ELj13ELj4E21rocsparse_complex_numIfEEEvi20rocsparse_direction_NS_24const_host_device_scalarIT2_EEPKiS8_PKS5_SA_S6_PS5_21rocsparse_index_base_b,"axG",@progbits,_ZN9rocsparseL19gebsrmvn_2xn_kernelILj128ELj13ELj4E21rocsparse_complex_numIfEEEvi20rocsparse_direction_NS_24const_host_device_scalarIT2_EEPKiS8_PKS5_SA_S6_PS5_21rocsparse_index_base_b,comdat
.Lfunc_end207:
	.size	_ZN9rocsparseL19gebsrmvn_2xn_kernelILj128ELj13ELj4E21rocsparse_complex_numIfEEEvi20rocsparse_direction_NS_24const_host_device_scalarIT2_EEPKiS8_PKS5_SA_S6_PS5_21rocsparse_index_base_b, .Lfunc_end207-_ZN9rocsparseL19gebsrmvn_2xn_kernelILj128ELj13ELj4E21rocsparse_complex_numIfEEEvi20rocsparse_direction_NS_24const_host_device_scalarIT2_EEPKiS8_PKS5_SA_S6_PS5_21rocsparse_index_base_b
                                        ; -- End function
	.section	.AMDGPU.csdata,"",@progbits
; Kernel info:
; codeLenInByte = 3568
; NumSgprs: 22
; NumVgprs: 74
; NumAgprs: 0
; TotalNumVgprs: 74
; ScratchSize: 0
; MemoryBound: 0
; FloatMode: 240
; IeeeMode: 1
; LDSByteSize: 0 bytes/workgroup (compile time only)
; SGPRBlocks: 2
; VGPRBlocks: 9
; NumSGPRsForWavesPerEU: 22
; NumVGPRsForWavesPerEU: 74
; AccumOffset: 76
; Occupancy: 6
; WaveLimiterHint : 1
; COMPUTE_PGM_RSRC2:SCRATCH_EN: 0
; COMPUTE_PGM_RSRC2:USER_SGPR: 2
; COMPUTE_PGM_RSRC2:TRAP_HANDLER: 0
; COMPUTE_PGM_RSRC2:TGID_X_EN: 1
; COMPUTE_PGM_RSRC2:TGID_Y_EN: 0
; COMPUTE_PGM_RSRC2:TGID_Z_EN: 0
; COMPUTE_PGM_RSRC2:TIDIG_COMP_CNT: 0
; COMPUTE_PGM_RSRC3_GFX90A:ACCUM_OFFSET: 18
; COMPUTE_PGM_RSRC3_GFX90A:TG_SPLIT: 0
	.section	.text._ZN9rocsparseL19gebsrmvn_2xn_kernelILj128ELj13ELj8E21rocsparse_complex_numIfEEEvi20rocsparse_direction_NS_24const_host_device_scalarIT2_EEPKiS8_PKS5_SA_S6_PS5_21rocsparse_index_base_b,"axG",@progbits,_ZN9rocsparseL19gebsrmvn_2xn_kernelILj128ELj13ELj8E21rocsparse_complex_numIfEEEvi20rocsparse_direction_NS_24const_host_device_scalarIT2_EEPKiS8_PKS5_SA_S6_PS5_21rocsparse_index_base_b,comdat
	.globl	_ZN9rocsparseL19gebsrmvn_2xn_kernelILj128ELj13ELj8E21rocsparse_complex_numIfEEEvi20rocsparse_direction_NS_24const_host_device_scalarIT2_EEPKiS8_PKS5_SA_S6_PS5_21rocsparse_index_base_b ; -- Begin function _ZN9rocsparseL19gebsrmvn_2xn_kernelILj128ELj13ELj8E21rocsparse_complex_numIfEEEvi20rocsparse_direction_NS_24const_host_device_scalarIT2_EEPKiS8_PKS5_SA_S6_PS5_21rocsparse_index_base_b
	.p2align	8
	.type	_ZN9rocsparseL19gebsrmvn_2xn_kernelILj128ELj13ELj8E21rocsparse_complex_numIfEEEvi20rocsparse_direction_NS_24const_host_device_scalarIT2_EEPKiS8_PKS5_SA_S6_PS5_21rocsparse_index_base_b,@function
_ZN9rocsparseL19gebsrmvn_2xn_kernelILj128ELj13ELj8E21rocsparse_complex_numIfEEEvi20rocsparse_direction_NS_24const_host_device_scalarIT2_EEPKiS8_PKS5_SA_S6_PS5_21rocsparse_index_base_b: ; @_ZN9rocsparseL19gebsrmvn_2xn_kernelILj128ELj13ELj8E21rocsparse_complex_numIfEEEvi20rocsparse_direction_NS_24const_host_device_scalarIT2_EEPKiS8_PKS5_SA_S6_PS5_21rocsparse_index_base_b
; %bb.0:
	s_load_dwordx2 s[12:13], s[0:1], 0x40
	s_load_dwordx2 s[8:9], s[0:1], 0x8
	;; [unrolled: 1-line block ×3, first 2 shown]
	s_waitcnt lgkmcnt(0)
	s_bitcmp1_b32 s13, 0
	s_cselect_b64 s[4:5], -1, 0
	s_xor_b64 s[10:11], s[4:5], -1
	s_and_b64 vcc, exec, s[4:5]
	v_mov_b32_e32 v2, s8
	s_cbranch_vccnz .LBB208_2
; %bb.1:
	v_mov_b64_e32 v[2:3], s[8:9]
	flat_load_dword v2, v[2:3]
.LBB208_2:
	v_cndmask_b32_e64 v1, 0, 1, s[10:11]
	v_cmp_ne_u32_e64 s[4:5], 1, v1
	s_andn2_b64 vcc, exec, s[10:11]
	v_mov_b32_e32 v3, s9
	s_cbranch_vccz .LBB208_16
; %bb.3:
	s_and_b64 vcc, exec, s[4:5]
	v_mov_b32_e32 v4, s6
	s_cbranch_vccz .LBB208_17
.LBB208_4:
	s_and_b64 vcc, exec, s[4:5]
	v_mov_b32_e32 v5, s7
	s_cbranch_vccnz .LBB208_6
.LBB208_5:
	v_mov_b64_e32 v[6:7], s[6:7]
	flat_load_dword v5, v[6:7] offset:4
.LBB208_6:
	s_waitcnt vmcnt(0) lgkmcnt(0)
	v_and_b32_e32 v1, 0x7fffffff, v2
	v_cmp_eq_u32_e32 vcc, 0, v1
	v_cmp_eq_f32_e64 s[4:5], 0, v3
	s_and_b64 s[8:9], vcc, s[4:5]
	s_mov_b64 s[4:5], -1
	s_and_saveexec_b64 s[6:7], s[8:9]
; %bb.7:
	v_and_b32_e32 v1, 0x7fffffff, v5
	v_cmp_neq_f32_e32 vcc, 1.0, v4
	v_cmp_ne_u32_e64 s[4:5], 0, v1
	s_or_b64 s[4:5], vcc, s[4:5]
	s_orn2_b64 s[4:5], s[4:5], exec
; %bb.8:
	s_or_b64 exec, exec, s[6:7]
	s_and_saveexec_b64 s[6:7], s[4:5]
	s_cbranch_execz .LBB208_29
; %bb.9:
	s_load_dwordx2 s[14:15], s[0:1], 0x0
	v_lshrrev_b32_e32 v1, 3, v0
	v_lshl_or_b32 v6, s2, 4, v1
	s_waitcnt lgkmcnt(0)
	v_cmp_gt_i32_e32 vcc, s14, v6
	s_and_b64 exec, exec, vcc
	s_cbranch_execz .LBB208_29
; %bb.10:
	s_load_dwordx8 s[4:11], s[0:1], 0x10
	v_ashrrev_i32_e32 v7, 31, v6
	s_cmp_lg_u32 s15, 0
	s_waitcnt lgkmcnt(0)
	v_lshl_add_u64 v[8:9], v[6:7], 2, s[4:5]
	global_load_dwordx2 v[8:9], v[8:9], off
	v_and_b32_e32 v7, 7, v0
	s_waitcnt vmcnt(0)
	v_subrev_u32_e32 v0, s12, v8
	v_subrev_u32_e32 v26, s12, v9
	v_add_u32_e32 v0, v0, v7
	v_cmp_lt_i32_e64 s[2:3], v0, v26
	s_cbranch_scc0 .LBB208_18
; %bb.11:
	v_mov_b32_e32 v11, 0
	v_mov_b32_e32 v10, v11
	v_mov_b32_e32 v9, v11
	v_mov_b32_e32 v8, v11
	s_and_saveexec_b64 s[4:5], s[2:3]
	s_cbranch_execz .LBB208_15
; %bb.12:
	v_mov_b32_e32 v13, 0
	v_mul_lo_u32 v12, v0, 26
	s_mov_b64 s[14:15], 0
	v_mov_b32_e32 v14, v0
	v_mov_b32_e32 v8, v13
	;; [unrolled: 1-line block ×5, first 2 shown]
.LBB208_13:                             ; =>This Inner Loop Header: Depth=1
	v_ashrrev_i32_e32 v15, 31, v14
	v_lshl_add_u64 v[58:59], v[14:15], 2, s[6:7]
	global_load_dword v1, v[58:59], off
	v_mov_b32_e32 v17, v13
	v_lshl_add_u64 v[28:29], v[12:13], 3, s[8:9]
	global_load_dwordx4 v[28:31], v[28:29], off
	v_mov_b32_e32 v35, v13
	v_mov_b32_e32 v39, v13
	v_add_u32_e32 v32, 2, v12
	v_mov_b32_e32 v33, v13
	v_add_u32_e32 v36, 4, v12
	;; [unrolled: 2-line block ×3, first 2 shown]
	v_mov_b32_e32 v41, v13
	v_mov_b32_e32 v43, v13
	v_add_u32_e32 v44, 8, v12
	v_mov_b32_e32 v45, v13
	v_mov_b32_e32 v47, v13
	v_add_u32_e32 v48, 10, v12
	v_mov_b32_e32 v49, v13
	v_add_u32_e32 v52, 14, v12
	;; [unrolled: 2-line block ×3, first 2 shown]
	v_mov_b32_e32 v57, v13
	v_mov_b32_e32 v21, v13
	v_add_u32_e32 v50, 12, v12
	v_mov_b32_e32 v51, v13
	v_add_u32_e32 v54, 16, v12
	v_mov_b32_e32 v55, v13
	v_mov_b32_e32 v19, v13
	;; [unrolled: 1-line block ×5, first 2 shown]
	v_add_u32_e32 v14, 8, v14
	v_cmp_ge_i32_e32 vcc, v14, v26
	s_or_b64 s[14:15], vcc, s[14:15]
	s_waitcnt vmcnt(1)
	v_subrev_u32_e32 v1, s12, v1
	v_mul_lo_u32 v16, v1, 13
	v_lshl_add_u64 v[60:61], v[16:17], 3, s[10:11]
	global_load_dwordx2 v[60:61], v[60:61], off
	v_add_u32_e32 v34, 1, v16
	v_add_u32_e32 v38, 2, v16
	v_lshl_add_u64 v[34:35], v[34:35], 3, s[10:11]
	v_lshl_add_u64 v[38:39], v[38:39], 3, s[10:11]
	global_load_dwordx2 v[38:39], v[38:39], off
	s_waitcnt vmcnt(2)
	v_xor_b32_e32 v58, 0x80000000, v31
	global_load_dwordx2 v[34:35], v[34:35], off
	v_mov_b32_e32 v59, v30
	v_add_u32_e32 v42, 3, v16
	v_add_u32_e32 v46, 4, v16
	;; [unrolled: 1-line block ×3, first 2 shown]
	v_lshl_add_u64 v[20:21], v[20:21], 3, s[10:11]
	v_add_u32_e32 v18, 6, v16
	v_add_u32_e32 v22, 7, v16
	;; [unrolled: 1-line block ×4, first 2 shown]
	v_lshl_add_u64 v[18:19], v[18:19], 3, s[10:11]
	v_lshl_add_u64 v[22:23], v[22:23], 3, s[10:11]
	;; [unrolled: 1-line block ×3, first 2 shown]
	s_waitcnt vmcnt(2)
	v_pk_fma_f32 v[10:11], v[28:29], v[60:61], v[10:11] op_sel_hi:[1,0,1]
	v_pk_fma_f32 v[8:9], v[30:31], v[60:61], v[8:9] op_sel_hi:[1,0,1]
	v_pk_fma_f32 v[28:29], v[28:29], v[60:61], v[10:11] op_sel:[1,1,0] op_sel_hi:[0,1,1] neg_lo:[1,0,0]
	v_lshl_add_u64 v[10:11], v[32:33], 3, s[8:9]
	v_pk_fma_f32 v[32:33], v[58:59], v[60:61], v[8:9] op_sel:[0,1,0]
	global_load_dwordx4 v[8:11], v[10:11], off
	v_add_u32_e32 v30, 20, v12
	v_mov_b32_e32 v31, v13
	v_mov_b32_e32 v61, v13
	v_add_u32_e32 v60, 10, v16
	s_waitcnt vmcnt(0)
	v_pk_fma_f32 v[28:29], v[8:9], v[34:35], v[28:29] op_sel_hi:[1,0,1]
	v_xor_b32_e32 v58, 0x80000000, v11
	v_mov_b32_e32 v59, v10
	v_pk_fma_f32 v[10:11], v[10:11], v[34:35], v[32:33] op_sel_hi:[1,0,1]
	v_pk_fma_f32 v[28:29], v[8:9], v[34:35], v[28:29] op_sel:[1,1,0] op_sel_hi:[0,1,1] neg_lo:[1,0,0]
	v_lshl_add_u64 v[8:9], v[36:37], 3, s[8:9]
	v_pk_fma_f32 v[34:35], v[58:59], v[34:35], v[10:11] op_sel:[0,1,0]
	global_load_dwordx4 v[8:11], v[8:9], off
	v_add_u32_e32 v32, 22, v12
	v_mov_b32_e32 v33, v13
	v_mov_b32_e32 v59, v13
	v_add_u32_e32 v58, 11, v16
	v_add_u32_e32 v16, 12, v16
	v_lshl_add_u64 v[16:17], v[16:17], 3, s[10:11]
	s_waitcnt vmcnt(0)
	v_pk_fma_f32 v[28:29], v[8:9], v[38:39], v[28:29] op_sel_hi:[1,0,1]
	v_xor_b32_e32 v36, 0x80000000, v11
	v_mov_b32_e32 v37, v10
	v_pk_fma_f32 v[10:11], v[10:11], v[38:39], v[34:35] op_sel_hi:[1,0,1]
	v_pk_fma_f32 v[28:29], v[8:9], v[38:39], v[28:29] op_sel:[1,1,0] op_sel_hi:[0,1,1] neg_lo:[1,0,0]
	v_lshl_add_u64 v[8:9], v[40:41], 3, s[8:9]
	v_lshl_add_u64 v[40:41], v[42:43], 3, s[10:11]
	v_pk_fma_f32 v[36:37], v[36:37], v[38:39], v[10:11] op_sel:[0,1,0]
	global_load_dwordx4 v[8:11], v[8:9], off
	v_add_u32_e32 v34, 24, v12
	global_load_dwordx2 v[40:41], v[40:41], off
	v_mov_b32_e32 v35, v13
	v_lshl_add_u64 v[64:65], v[34:35], 3, s[8:9]
	v_lshl_add_u64 v[34:35], v[46:47], 3, s[10:11]
	v_add_u32_e32 v12, 0xd0, v12
	s_waitcnt vmcnt(1)
	v_xor_b32_e32 v38, 0x80000000, v11
	v_mov_b32_e32 v39, v10
	s_waitcnt vmcnt(0)
	v_pk_fma_f32 v[28:29], v[8:9], v[40:41], v[28:29] op_sel_hi:[1,0,1]
	v_pk_fma_f32 v[36:37], v[10:11], v[40:41], v[36:37] op_sel_hi:[1,0,1]
	v_pk_fma_f32 v[42:43], v[8:9], v[40:41], v[28:29] op_sel:[1,1,0] op_sel_hi:[0,1,1] neg_lo:[1,0,0]
	v_lshl_add_u64 v[8:9], v[44:45], 3, s[8:9]
	v_lshl_add_u64 v[28:29], v[48:49], 3, s[8:9]
	;; [unrolled: 1-line block ×5, first 2 shown]
	global_load_dwordx4 v[8:11], v[8:9], off
	v_pk_fma_f32 v[32:33], v[38:39], v[40:41], v[36:37] op_sel:[0,1,0]
	global_load_dwordx2 v[38:39], v[34:35], off
	v_lshl_add_u64 v[44:45], v[50:51], 3, s[8:9]
	v_lshl_add_u64 v[50:51], v[54:55], 3, s[8:9]
	;; [unrolled: 1-line block ×3, first 2 shown]
	global_load_dwordx4 v[28:31], v[28:29], off
	s_waitcnt vmcnt(2)
	v_xor_b32_e32 v36, 0x80000000, v11
	v_mov_b32_e32 v37, v10
	s_waitcnt vmcnt(1)
	v_pk_fma_f32 v[34:35], v[8:9], v[38:39], v[42:43] op_sel_hi:[1,0,1]
	v_pk_fma_f32 v[40:41], v[10:11], v[38:39], v[32:33] op_sel_hi:[1,0,1]
	v_pk_fma_f32 v[42:43], v[8:9], v[38:39], v[34:35] op_sel:[1,1,0] op_sel_hi:[0,1,1] neg_lo:[1,0,0]
	global_load_dwordx4 v[8:11], v[44:45], off
	global_load_dwordx4 v[32:35], v[48:49], off
	v_pk_fma_f32 v[40:41], v[36:37], v[38:39], v[40:41] op_sel:[0,1,0]
	global_load_dwordx2 v[20:21], v[20:21], off
	s_waitcnt vmcnt(3)
	v_xor_b32_e32 v44, 0x80000000, v31
	global_load_dwordx4 v[36:39], v[50:51], off
	v_mov_b32_e32 v45, v30
	s_waitcnt vmcnt(1)
	v_pk_fma_f32 v[42:43], v[28:29], v[20:21], v[42:43] op_sel_hi:[1,0,1]
	v_pk_fma_f32 v[46:47], v[30:31], v[20:21], v[40:41] op_sel_hi:[1,0,1]
	v_pk_fma_f32 v[66:67], v[28:29], v[20:21], v[42:43] op_sel:[1,1,0] op_sel_hi:[0,1,1] neg_lo:[1,0,0]
	global_load_dwordx4 v[28:31], v[52:53], off
	global_load_dwordx4 v[40:43], v[54:55], off
	v_pk_fma_f32 v[20:21], v[44:45], v[20:21], v[46:47] op_sel:[0,1,0]
	global_load_dwordx4 v[44:47], v[56:57], off
	global_load_dwordx4 v[48:51], v[64:65], off
	v_lshl_add_u64 v[52:53], v[62:63], 3, s[10:11]
	v_lshl_add_u64 v[54:55], v[60:61], 3, s[10:11]
	;; [unrolled: 1-line block ×3, first 2 shown]
	global_load_dwordx2 v[58:59], v[18:19], off
	global_load_dwordx2 v[60:61], v[22:23], off
	;; [unrolled: 1-line block ×7, first 2 shown]
	v_xor_b32_e32 v16, 0x80000000, v11
	v_mov_b32_e32 v17, v10
	s_waitcnt vmcnt(6)
	v_pk_fma_f32 v[18:19], v[8:9], v[58:59], v[66:67] op_sel_hi:[1,0,1]
	v_pk_fma_f32 v[10:11], v[10:11], v[58:59], v[20:21] op_sel_hi:[1,0,1]
	v_pk_fma_f32 v[8:9], v[8:9], v[58:59], v[18:19] op_sel:[1,1,0] op_sel_hi:[0,1,1] neg_lo:[1,0,0]
	v_pk_fma_f32 v[10:11], v[16:17], v[58:59], v[10:11] op_sel:[0,1,0]
	v_xor_b32_e32 v18, 0x80000000, v35
	v_mov_b32_e32 v19, v34
	s_waitcnt vmcnt(5)
	v_pk_fma_f32 v[8:9], v[32:33], v[60:61], v[8:9] op_sel_hi:[1,0,1]
	v_pk_fma_f32 v[10:11], v[34:35], v[60:61], v[10:11] op_sel_hi:[1,0,1]
	v_pk_fma_f32 v[8:9], v[32:33], v[60:61], v[8:9] op_sel:[1,1,0] op_sel_hi:[0,1,1] neg_lo:[1,0,0]
	v_pk_fma_f32 v[10:11], v[18:19], v[60:61], v[10:11] op_sel:[0,1,0]
	;; [unrolled: 7-line block ×7, first 2 shown]
	s_andn2_b64 exec, exec, s[14:15]
	s_cbranch_execnz .LBB208_13
; %bb.14:
	s_or_b64 exec, exec, s[14:15]
.LBB208_15:
	s_or_b64 exec, exec, s[4:5]
	s_cbranch_execz .LBB208_19
	s_branch .LBB208_24
.LBB208_16:
	v_mov_b64_e32 v[4:5], s[8:9]
	flat_load_dword v3, v[4:5] offset:4
	s_and_b64 vcc, exec, s[4:5]
	v_mov_b32_e32 v4, s6
	s_cbranch_vccnz .LBB208_4
.LBB208_17:
	v_mov_b64_e32 v[4:5], s[6:7]
	flat_load_dword v4, v[4:5]
	s_and_b64 vcc, exec, s[4:5]
	v_mov_b32_e32 v5, s7
	s_cbranch_vccz .LBB208_5
	s_branch .LBB208_6
.LBB208_18:
                                        ; implicit-def: $vgpr11
                                        ; implicit-def: $vgpr9
.LBB208_19:
	v_mov_b32_e32 v11, 0
	v_mov_b32_e32 v10, v11
	;; [unrolled: 1-line block ×4, first 2 shown]
	s_and_saveexec_b64 s[4:5], s[2:3]
	s_cbranch_execz .LBB208_23
; %bb.20:
	v_mad_u64_u32 v[12:13], s[2:3], v0, 26, 25
	v_mov_b32_e32 v15, 0
	s_mov_b64 s[2:3], 0
	v_mov_b32_e32 v8, v15
	v_mov_b32_e32 v9, v15
	;; [unrolled: 1-line block ×4, first 2 shown]
.LBB208_21:                             ; =>This Inner Loop Header: Depth=1
	v_ashrrev_i32_e32 v1, 31, v0
	v_subrev_u32_e32 v14, 25, v12
	v_add_u32_e32 v18, -12, v12
	v_mov_b32_e32 v19, v15
	v_mov_b32_e32 v13, v15
	v_lshl_add_u64 v[22:23], v[0:1], 2, s[6:7]
	v_lshl_add_u64 v[24:25], v[14:15], 3, s[8:9]
	;; [unrolled: 1-line block ×4, first 2 shown]
	global_load_dword v1, v[22:23], off
	global_load_dwordx4 v[18:21], v[24:25], off
	global_load_dwordx2 v[32:33], v[28:29], off
	global_load_dwordx2 v[34:35], v[30:31], off
	v_mov_b32_e32 v17, v15
	v_add_u32_e32 v0, 8, v0
	v_cmp_ge_i32_e32 vcc, v0, v26
	s_or_b64 s[2:3], vcc, s[2:3]
	s_waitcnt vmcnt(3)
	v_subrev_u32_e32 v1, s12, v1
	v_mul_lo_u32 v16, v1, 13
	v_lshl_add_u64 v[24:25], v[16:17], 3, s[10:11]
	global_load_dwordx2 v[24:25], v[24:25], off
	v_add_u32_e32 v14, 1, v16
	v_lshl_add_u64 v[28:29], v[14:15], 3, s[10:11]
	global_load_dwordx2 v[28:29], v[28:29], off
	v_add_u32_e32 v14, -11, v12
	v_lshl_add_u64 v[30:31], v[14:15], 3, s[8:9]
	v_subrev_u32_e32 v14, 23, v12
	global_load_dwordx2 v[30:31], v[30:31], off
	v_lshl_add_u64 v[36:37], v[14:15], 3, s[8:9]
	v_add_u32_e32 v14, 2, v16
	v_lshl_add_u64 v[38:39], v[14:15], 3, s[10:11]
	v_add_u32_e32 v14, -10, v12
	global_load_dwordx2 v[36:37], v[36:37], off
	v_lshl_add_u64 v[40:41], v[14:15], 3, s[8:9]
	global_load_dwordx2 v[38:39], v[38:39], off
	v_subrev_u32_e32 v14, 22, v12
	global_load_dwordx2 v[40:41], v[40:41], off
	v_lshl_add_u64 v[42:43], v[14:15], 3, s[8:9]
	global_load_dwordx2 v[42:43], v[42:43], off
	v_add_u32_e32 v14, 3, v16
	v_lshl_add_u64 v[44:45], v[14:15], 3, s[10:11]
	v_add_u32_e32 v14, -9, v12
	global_load_dwordx2 v[44:45], v[44:45], off
	v_lshl_add_u64 v[46:47], v[14:15], 3, s[8:9]
	v_subrev_u32_e32 v14, 21, v12
	global_load_dwordx2 v[46:47], v[46:47], off
	v_lshl_add_u64 v[48:49], v[14:15], 3, s[8:9]
	global_load_dwordx2 v[48:49], v[48:49], off
	v_add_u32_e32 v14, 4, v16
	v_lshl_add_u64 v[50:51], v[14:15], 3, s[10:11]
	v_add_u32_e32 v14, -8, v12
	global_load_dwordx2 v[50:51], v[50:51], off
	v_lshl_add_u64 v[52:53], v[14:15], 3, s[8:9]
	global_load_dwordx2 v[52:53], v[52:53], off
	v_subrev_u32_e32 v14, 20, v12
	v_lshl_add_u64 v[54:55], v[14:15], 3, s[8:9]
	v_add_u32_e32 v14, 5, v16
	v_lshl_add_u64 v[56:57], v[14:15], 3, s[10:11]
	v_add_u32_e32 v14, -7, v12
	v_lshl_add_u64 v[58:59], v[14:15], 3, s[8:9]
	v_subrev_u32_e32 v14, 19, v12
	v_lshl_add_u64 v[60:61], v[14:15], 3, s[8:9]
	v_add_u32_e32 v14, 6, v16
	v_lshl_add_u64 v[62:63], v[14:15], 3, s[10:11]
	v_add_u32_e32 v14, -6, v12
	v_lshl_add_u64 v[64:65], v[14:15], 3, s[8:9]
	v_subrev_u32_e32 v14, 18, v12
	s_waitcnt vmcnt(14)
	v_xor_b32_e32 v22, 0x80000000, v21
	v_mov_b32_e32 v23, v20
	global_load_dwordx2 v[54:55], v[54:55], off
	s_waitcnt vmcnt(12)
	v_pk_fma_f32 v[8:9], v[32:33], v[24:25], v[8:9] op_sel_hi:[1,0,1]
	s_nop 0
	v_pk_fma_f32 v[8:9], v[32:33], v[24:25], v[8:9] op_sel:[1,1,0] op_sel_hi:[0,1,1] neg_lo:[1,0,0]
	v_lshl_add_u64 v[32:33], v[14:15], 3, s[8:9]
	v_add_u32_e32 v14, 7, v16
	v_pk_fma_f32 v[10:11], v[18:19], v[24:25], v[10:11] op_sel_hi:[1,0,1]
	global_load_dwordx2 v[56:57], v[56:57], off
	v_pk_fma_f32 v[10:11], v[18:19], v[24:25], v[10:11] op_sel:[1,1,0] op_sel_hi:[0,1,1] neg_lo:[1,0,0]
	v_lshl_add_u64 v[18:19], v[14:15], 3, s[10:11]
	v_add_u32_e32 v14, -5, v12
	s_waitcnt vmcnt(12)
	v_pk_fma_f32 v[10:11], v[20:21], v[28:29], v[10:11] op_sel_hi:[1,0,1]
	v_lshl_add_u64 v[20:21], v[14:15], 3, s[8:9]
	v_subrev_u32_e32 v14, 17, v12
	global_load_dwordx2 v[58:59], v[58:59], off
	v_pk_fma_f32 v[10:11], v[22:23], v[28:29], v[10:11] op_sel:[0,1,0]
	global_load_dwordx2 v[60:61], v[60:61], off
	s_nop 0
	global_load_dwordx2 v[24:25], v[32:33], off
	v_lshl_add_u64 v[32:33], v[14:15], 3, s[8:9]
	v_add_u32_e32 v14, 8, v16
	v_lshl_add_u64 v[22:23], v[14:15], 3, s[10:11]
	v_add_u32_e32 v14, -4, v12
	s_waitcnt vmcnt(14)
	v_pk_fma_f32 v[8:9], v[30:31], v[28:29], v[8:9] op_sel_hi:[1,0,1]
	global_load_dwordx2 v[62:63], v[62:63], off
	v_pk_fma_f32 v[8:9], v[30:31], v[28:29], v[8:9] op_sel:[1,1,0] op_sel_hi:[0,1,1] neg_lo:[1,0,0]
	global_load_dwordx2 v[64:65], v[64:65], off
	v_lshl_add_u64 v[28:29], v[14:15], 3, s[8:9]
	v_add_u32_e32 v14, -16, v12
	v_lshl_add_u64 v[30:31], v[14:15], 3, s[8:9]
	v_add_u32_e32 v14, 9, v16
	s_waitcnt vmcnt(14)
	v_pk_fma_f32 v[10:11], v[36:37], v[38:39], v[10:11] op_sel_hi:[1,0,1]
	global_load_dwordx2 v[18:19], v[18:19], off
	v_pk_fma_f32 v[10:11], v[36:37], v[38:39], v[10:11] op_sel:[1,1,0] op_sel_hi:[0,1,1] neg_lo:[1,0,0]
	global_load_dwordx2 v[20:21], v[20:21], off
	v_lshl_add_u64 v[36:37], v[14:15], 3, s[10:11]
	v_add_u32_e32 v14, -3, v12
	s_waitcnt vmcnt(15)
	v_pk_fma_f32 v[8:9], v[40:41], v[38:39], v[8:9] op_sel_hi:[1,0,1]
	global_load_dwordx2 v[32:33], v[32:33], off
	v_pk_fma_f32 v[8:9], v[40:41], v[38:39], v[8:9] op_sel:[1,1,0] op_sel_hi:[0,1,1] neg_lo:[1,0,0]
	global_load_dwordx2 v[30:31], v[30:31], off
	v_lshl_add_u64 v[38:39], v[14:15], 3, s[8:9]
	v_add_u32_e32 v14, -15, v12
	global_load_dwordx2 v[22:23], v[22:23], off
	v_lshl_add_u64 v[40:41], v[14:15], 3, s[8:9]
	global_load_dwordx2 v[28:29], v[28:29], off
	v_add_u32_e32 v14, 10, v16
	s_waitcnt vmcnt(17)
	v_pk_fma_f32 v[10:11], v[42:43], v[44:45], v[10:11] op_sel_hi:[1,0,1]
	s_waitcnt vmcnt(16)
	v_pk_fma_f32 v[8:9], v[46:47], v[44:45], v[8:9] op_sel_hi:[1,0,1]
	v_pk_fma_f32 v[10:11], v[42:43], v[44:45], v[10:11] op_sel:[1,1,0] op_sel_hi:[0,1,1] neg_lo:[1,0,0]
	v_lshl_add_u64 v[42:43], v[14:15], 3, s[10:11]
	v_add_u32_e32 v14, -2, v12
	global_load_dwordx2 v[36:37], v[36:37], off
	v_pk_fma_f32 v[8:9], v[46:47], v[44:45], v[8:9] op_sel:[1,1,0] op_sel_hi:[0,1,1] neg_lo:[1,0,0]
	global_load_dwordx2 v[38:39], v[38:39], off
	v_lshl_add_u64 v[44:45], v[14:15], 3, s[8:9]
	global_load_dwordx2 v[40:41], v[40:41], off
	v_add_u32_e32 v14, -14, v12
	v_lshl_add_u64 v[46:47], v[14:15], 3, s[8:9]
	v_add_u32_e32 v14, 11, v16
	s_waitcnt vmcnt(17)
	v_pk_fma_f32 v[10:11], v[48:49], v[50:51], v[10:11] op_sel_hi:[1,0,1]
	global_load_dwordx2 v[42:43], v[42:43], off
	v_pk_fma_f32 v[10:11], v[48:49], v[50:51], v[10:11] op_sel:[1,1,0] op_sel_hi:[0,1,1] neg_lo:[1,0,0]
	global_load_dwordx2 v[44:45], v[44:45], off
	v_lshl_add_u64 v[48:49], v[14:15], 3, s[10:11]
	global_load_dwordx2 v[46:47], v[46:47], off
	v_add_u32_e32 v14, -1, v12
	s_waitcnt vmcnt(19)
	v_pk_fma_f32 v[8:9], v[52:53], v[50:51], v[8:9] op_sel_hi:[1,0,1]
	global_load_dwordx2 v[48:49], v[48:49], off
	v_pk_fma_f32 v[8:9], v[52:53], v[50:51], v[8:9] op_sel:[1,1,0] op_sel_hi:[0,1,1] neg_lo:[1,0,0]
	v_lshl_add_u64 v[50:51], v[14:15], 3, s[8:9]
	v_add_u32_e32 v14, -13, v12
	v_lshl_add_u64 v[52:53], v[14:15], 3, s[8:9]
	v_add_u32_e32 v14, 12, v16
	global_load_dwordx2 v[16:17], v[50:51], off
	v_lshl_add_u64 v[50:51], v[14:15], 3, s[10:11]
	global_load_dwordx2 v[66:67], v[52:53], off
	global_load_dwordx2 v[68:69], v[50:51], off
	v_add_u32_e32 v12, 0xd0, v12
	s_waitcnt vmcnt(21)
	v_pk_fma_f32 v[10:11], v[54:55], v[56:57], v[10:11] op_sel_hi:[1,0,1]
	s_nop 0
	v_pk_fma_f32 v[10:11], v[54:55], v[56:57], v[10:11] op_sel:[1,1,0] op_sel_hi:[0,1,1] neg_lo:[1,0,0]
	s_waitcnt vmcnt(20)
	v_pk_fma_f32 v[8:9], v[58:59], v[56:57], v[8:9] op_sel_hi:[1,0,1]
	s_nop 0
	v_pk_fma_f32 v[8:9], v[58:59], v[56:57], v[8:9] op_sel:[1,1,0] op_sel_hi:[0,1,1] neg_lo:[1,0,0]
	;; [unrolled: 4-line block ×3, first 2 shown]
	s_waitcnt vmcnt(16)
	v_pk_fma_f32 v[8:9], v[64:65], v[62:63], v[8:9] op_sel_hi:[1,0,1]
	s_waitcnt vmcnt(15)
	v_pk_fma_f32 v[10:11], v[24:25], v[18:19], v[10:11] op_sel_hi:[1,0,1]
	v_pk_fma_f32 v[8:9], v[64:65], v[62:63], v[8:9] op_sel:[1,1,0] op_sel_hi:[0,1,1] neg_lo:[1,0,0]
	s_waitcnt vmcnt(14)
	v_pk_fma_f32 v[8:9], v[20:21], v[18:19], v[8:9] op_sel_hi:[1,0,1]
	v_pk_fma_f32 v[10:11], v[24:25], v[18:19], v[10:11] op_sel:[1,1,0] op_sel_hi:[0,1,1] neg_lo:[1,0,0]
	v_pk_fma_f32 v[8:9], v[20:21], v[18:19], v[8:9] op_sel:[1,1,0] op_sel_hi:[0,1,1] neg_lo:[1,0,0]
	s_waitcnt vmcnt(11)
	v_pk_fma_f32 v[10:11], v[32:33], v[22:23], v[10:11] op_sel_hi:[1,0,1]
	s_nop 0
	v_pk_fma_f32 v[10:11], v[32:33], v[22:23], v[10:11] op_sel:[1,1,0] op_sel_hi:[0,1,1] neg_lo:[1,0,0]
	s_waitcnt vmcnt(10)
	v_pk_fma_f32 v[8:9], v[28:29], v[22:23], v[8:9] op_sel_hi:[1,0,1]
	s_waitcnt vmcnt(9)
	v_pk_fma_f32 v[10:11], v[30:31], v[36:37], v[10:11] op_sel_hi:[1,0,1]
	v_pk_fma_f32 v[8:9], v[28:29], v[22:23], v[8:9] op_sel:[1,1,0] op_sel_hi:[0,1,1] neg_lo:[1,0,0]
	s_waitcnt vmcnt(8)
	v_pk_fma_f32 v[8:9], v[38:39], v[36:37], v[8:9] op_sel_hi:[1,0,1]
	v_pk_fma_f32 v[10:11], v[30:31], v[36:37], v[10:11] op_sel:[1,1,0] op_sel_hi:[0,1,1] neg_lo:[1,0,0]
	v_pk_fma_f32 v[8:9], v[38:39], v[36:37], v[8:9] op_sel:[1,1,0] op_sel_hi:[0,1,1] neg_lo:[1,0,0]
	s_waitcnt vmcnt(6)
	v_pk_fma_f32 v[10:11], v[40:41], v[42:43], v[10:11] op_sel_hi:[1,0,1]
	s_nop 0
	v_pk_fma_f32 v[10:11], v[40:41], v[42:43], v[10:11] op_sel:[1,1,0] op_sel_hi:[0,1,1] neg_lo:[1,0,0]
	s_waitcnt vmcnt(5)
	v_pk_fma_f32 v[8:9], v[44:45], v[42:43], v[8:9] op_sel_hi:[1,0,1]
	s_waitcnt vmcnt(3)
	v_pk_fma_f32 v[10:11], v[46:47], v[48:49], v[10:11] op_sel_hi:[1,0,1]
	v_pk_fma_f32 v[8:9], v[44:45], v[42:43], v[8:9] op_sel:[1,1,0] op_sel_hi:[0,1,1] neg_lo:[1,0,0]
	v_pk_fma_f32 v[10:11], v[46:47], v[48:49], v[10:11] op_sel:[1,1,0] op_sel_hi:[0,1,1] neg_lo:[1,0,0]
	s_waitcnt vmcnt(2)
	v_pk_fma_f32 v[8:9], v[16:17], v[48:49], v[8:9] op_sel_hi:[1,0,1]
	s_nop 0
	v_pk_fma_f32 v[8:9], v[16:17], v[48:49], v[8:9] op_sel:[1,1,0] op_sel_hi:[0,1,1] neg_lo:[1,0,0]
	s_waitcnt vmcnt(0)
	v_pk_fma_f32 v[10:11], v[66:67], v[68:69], v[10:11] op_sel_hi:[1,0,1]
	v_pk_fma_f32 v[8:9], v[34:35], v[68:69], v[8:9] op_sel_hi:[1,0,1]
	v_pk_fma_f32 v[10:11], v[66:67], v[68:69], v[10:11] op_sel:[1,1,0] op_sel_hi:[0,1,1] neg_lo:[1,0,0]
	v_pk_fma_f32 v[8:9], v[34:35], v[68:69], v[8:9] op_sel:[1,1,0] op_sel_hi:[0,1,1] neg_lo:[1,0,0]
	s_andn2_b64 exec, exec, s[2:3]
	s_cbranch_execnz .LBB208_21
; %bb.22:
	s_or_b64 exec, exec, s[2:3]
.LBB208_23:
	s_or_b64 exec, exec, s[4:5]
.LBB208_24:
	v_mov_b32_dpp v12, v8 row_shr:1 row_mask:0xf bank_mask:0xf
	v_add_f32_e32 v8, v8, v12
	v_mov_b32_dpp v0, v10 row_shr:1 row_mask:0xf bank_mask:0xf
	v_add_f32_e32 v0, v10, v0
	v_mov_b32_dpp v12, v8 row_shr:2 row_mask:0xf bank_mask:0xf
	v_mov_b32_dpp v10, v11 row_shr:1 row_mask:0xf bank_mask:0xf
	v_add_f32_e32 v13, v8, v12
	v_mov_b32_dpp v8, v9 row_shr:1 row_mask:0xf bank_mask:0xf
	v_add_f32_e32 v10, v11, v10
	v_add_f32_e32 v8, v9, v8
	v_mov_b32_dpp v1, v0 row_shr:2 row_mask:0xf bank_mask:0xf
	v_mov_b32_dpp v11, v10 row_shr:2 row_mask:0xf bank_mask:0xf
	;; [unrolled: 1-line block ×3, first 2 shown]
	v_add_f32_e32 v0, v0, v1
	v_add_f32_e32 v10, v10, v11
	;; [unrolled: 1-line block ×3, first 2 shown]
	v_mov_b32_dpp v1, v0 row_shr:4 row_mask:0xf bank_mask:0xe
	v_mov_b32_dpp v11, v10 row_shr:4 row_mask:0xf bank_mask:0xe
	;; [unrolled: 1-line block ×4, first 2 shown]
	v_cmp_eq_u32_e32 vcc, 7, v7
	s_and_b64 exec, exec, vcc
	s_cbranch_execz .LBB208_29
; %bb.25:
	s_load_dwordx2 s[2:3], s[0:1], 0x38
	v_add_f32_e32 v8, v0, v1
	v_and_b32_e32 v1, 0x7fffffff, v4
	v_cmp_eq_u32_e32 vcc, 0, v1
	v_cmp_eq_f32_e64 s[0:1], 0, v5
	v_add_f32_e32 v12, v10, v11
	v_add_f32_e32 v0, v13, v14
	;; [unrolled: 1-line block ×3, first 2 shown]
	s_and_b64 s[0:1], vcc, s[0:1]
	s_and_saveexec_b64 s[4:5], s[0:1]
	s_xor_b64 s[0:1], exec, s[4:5]
	s_cbranch_execz .LBB208_27
; %bb.26:
	v_lshlrev_b32_e32 v4, 1, v6
	v_xor_b32_e32 v14, 0x80000000, v3
	v_ashrrev_i32_e32 v5, 31, v4
	v_mov_b32_e32 v15, v2
	s_waitcnt lgkmcnt(0)
	v_lshl_add_u64 v[16:17], v[4:5], 3, s[2:3]
	v_pk_mul_f32 v[4:5], v[12:13], v[14:15] op_sel_hi:[0,1]
	v_pk_mul_f32 v[6:7], v[10:11], v[14:15] op_sel_hi:[0,1]
	v_pk_fma_f32 v[4:5], v[2:3], v[8:9], v[4:5] op_sel_hi:[1,0,1]
	v_pk_fma_f32 v[6:7], v[2:3], v[0:1], v[6:7] op_sel_hi:[1,0,1]
	global_store_dwordx4 v[16:17], v[4:7], off
                                        ; implicit-def: $vgpr3
                                        ; implicit-def: $vgpr4
                                        ; implicit-def: $vgpr6
                                        ; implicit-def: $vgpr8
                                        ; implicit-def: $vgpr12
                                        ; implicit-def: $vgpr0
                                        ; implicit-def: $vgpr10
.LBB208_27:
	s_andn2_saveexec_b64 s[0:1], s[0:1]
	s_cbranch_execz .LBB208_29
; %bb.28:
	v_lshlrev_b32_e32 v6, 1, v6
	v_ashrrev_i32_e32 v7, 31, v6
	s_waitcnt lgkmcnt(0)
	v_lshl_add_u64 v[6:7], v[6:7], 3, s[2:3]
	global_load_dwordx4 v[14:17], v[6:7], off
	v_xor_b32_e32 v18, 0x80000000, v3
	v_mov_b32_e32 v19, v2
	v_pk_mul_f32 v[12:13], v[12:13], v[18:19] op_sel_hi:[0,1]
	v_pk_mul_f32 v[10:11], v[10:11], v[18:19] op_sel_hi:[0,1]
	v_pk_fma_f32 v[8:9], v[2:3], v[8:9], v[12:13] op_sel_hi:[1,0,1]
	v_pk_fma_f32 v[0:1], v[2:3], v[0:1], v[10:11] op_sel_hi:[1,0,1]
	v_xor_b32_e32 v20, 0x80000000, v5
	v_mov_b32_e32 v21, v4
	s_waitcnt vmcnt(0)
	v_pk_fma_f32 v[2:3], v[4:5], v[14:15], v[8:9] op_sel_hi:[1,0,1]
	v_pk_fma_f32 v[4:5], v[4:5], v[16:17], v[0:1] op_sel_hi:[1,0,1]
	v_mov_b32_e32 v8, v17
	v_pk_fma_f32 v[0:1], v[20:21], v[14:15], v[2:3] op_sel:[0,1,0]
	v_pk_fma_f32 v[2:3], v[20:21], v[8:9], v[4:5] op_sel_hi:[1,0,1]
	global_store_dwordx4 v[6:7], v[0:3], off
.LBB208_29:
	s_endpgm
	.section	.rodata,"a",@progbits
	.p2align	6, 0x0
	.amdhsa_kernel _ZN9rocsparseL19gebsrmvn_2xn_kernelILj128ELj13ELj8E21rocsparse_complex_numIfEEEvi20rocsparse_direction_NS_24const_host_device_scalarIT2_EEPKiS8_PKS5_SA_S6_PS5_21rocsparse_index_base_b
		.amdhsa_group_segment_fixed_size 0
		.amdhsa_private_segment_fixed_size 0
		.amdhsa_kernarg_size 72
		.amdhsa_user_sgpr_count 2
		.amdhsa_user_sgpr_dispatch_ptr 0
		.amdhsa_user_sgpr_queue_ptr 0
		.amdhsa_user_sgpr_kernarg_segment_ptr 1
		.amdhsa_user_sgpr_dispatch_id 0
		.amdhsa_user_sgpr_kernarg_preload_length 0
		.amdhsa_user_sgpr_kernarg_preload_offset 0
		.amdhsa_user_sgpr_private_segment_size 0
		.amdhsa_uses_dynamic_stack 0
		.amdhsa_enable_private_segment 0
		.amdhsa_system_sgpr_workgroup_id_x 1
		.amdhsa_system_sgpr_workgroup_id_y 0
		.amdhsa_system_sgpr_workgroup_id_z 0
		.amdhsa_system_sgpr_workgroup_info 0
		.amdhsa_system_vgpr_workitem_id 0
		.amdhsa_next_free_vgpr 74
		.amdhsa_next_free_sgpr 16
		.amdhsa_accum_offset 76
		.amdhsa_reserve_vcc 1
		.amdhsa_float_round_mode_32 0
		.amdhsa_float_round_mode_16_64 0
		.amdhsa_float_denorm_mode_32 3
		.amdhsa_float_denorm_mode_16_64 3
		.amdhsa_dx10_clamp 1
		.amdhsa_ieee_mode 1
		.amdhsa_fp16_overflow 0
		.amdhsa_tg_split 0
		.amdhsa_exception_fp_ieee_invalid_op 0
		.amdhsa_exception_fp_denorm_src 0
		.amdhsa_exception_fp_ieee_div_zero 0
		.amdhsa_exception_fp_ieee_overflow 0
		.amdhsa_exception_fp_ieee_underflow 0
		.amdhsa_exception_fp_ieee_inexact 0
		.amdhsa_exception_int_div_zero 0
	.end_amdhsa_kernel
	.section	.text._ZN9rocsparseL19gebsrmvn_2xn_kernelILj128ELj13ELj8E21rocsparse_complex_numIfEEEvi20rocsparse_direction_NS_24const_host_device_scalarIT2_EEPKiS8_PKS5_SA_S6_PS5_21rocsparse_index_base_b,"axG",@progbits,_ZN9rocsparseL19gebsrmvn_2xn_kernelILj128ELj13ELj8E21rocsparse_complex_numIfEEEvi20rocsparse_direction_NS_24const_host_device_scalarIT2_EEPKiS8_PKS5_SA_S6_PS5_21rocsparse_index_base_b,comdat
.Lfunc_end208:
	.size	_ZN9rocsparseL19gebsrmvn_2xn_kernelILj128ELj13ELj8E21rocsparse_complex_numIfEEEvi20rocsparse_direction_NS_24const_host_device_scalarIT2_EEPKiS8_PKS5_SA_S6_PS5_21rocsparse_index_base_b, .Lfunc_end208-_ZN9rocsparseL19gebsrmvn_2xn_kernelILj128ELj13ELj8E21rocsparse_complex_numIfEEEvi20rocsparse_direction_NS_24const_host_device_scalarIT2_EEPKiS8_PKS5_SA_S6_PS5_21rocsparse_index_base_b
                                        ; -- End function
	.section	.AMDGPU.csdata,"",@progbits
; Kernel info:
; codeLenInByte = 3616
; NumSgprs: 22
; NumVgprs: 74
; NumAgprs: 0
; TotalNumVgprs: 74
; ScratchSize: 0
; MemoryBound: 0
; FloatMode: 240
; IeeeMode: 1
; LDSByteSize: 0 bytes/workgroup (compile time only)
; SGPRBlocks: 2
; VGPRBlocks: 9
; NumSGPRsForWavesPerEU: 22
; NumVGPRsForWavesPerEU: 74
; AccumOffset: 76
; Occupancy: 6
; WaveLimiterHint : 1
; COMPUTE_PGM_RSRC2:SCRATCH_EN: 0
; COMPUTE_PGM_RSRC2:USER_SGPR: 2
; COMPUTE_PGM_RSRC2:TRAP_HANDLER: 0
; COMPUTE_PGM_RSRC2:TGID_X_EN: 1
; COMPUTE_PGM_RSRC2:TGID_Y_EN: 0
; COMPUTE_PGM_RSRC2:TGID_Z_EN: 0
; COMPUTE_PGM_RSRC2:TIDIG_COMP_CNT: 0
; COMPUTE_PGM_RSRC3_GFX90A:ACCUM_OFFSET: 18
; COMPUTE_PGM_RSRC3_GFX90A:TG_SPLIT: 0
	.section	.text._ZN9rocsparseL19gebsrmvn_2xn_kernelILj128ELj13ELj16E21rocsparse_complex_numIfEEEvi20rocsparse_direction_NS_24const_host_device_scalarIT2_EEPKiS8_PKS5_SA_S6_PS5_21rocsparse_index_base_b,"axG",@progbits,_ZN9rocsparseL19gebsrmvn_2xn_kernelILj128ELj13ELj16E21rocsparse_complex_numIfEEEvi20rocsparse_direction_NS_24const_host_device_scalarIT2_EEPKiS8_PKS5_SA_S6_PS5_21rocsparse_index_base_b,comdat
	.globl	_ZN9rocsparseL19gebsrmvn_2xn_kernelILj128ELj13ELj16E21rocsparse_complex_numIfEEEvi20rocsparse_direction_NS_24const_host_device_scalarIT2_EEPKiS8_PKS5_SA_S6_PS5_21rocsparse_index_base_b ; -- Begin function _ZN9rocsparseL19gebsrmvn_2xn_kernelILj128ELj13ELj16E21rocsparse_complex_numIfEEEvi20rocsparse_direction_NS_24const_host_device_scalarIT2_EEPKiS8_PKS5_SA_S6_PS5_21rocsparse_index_base_b
	.p2align	8
	.type	_ZN9rocsparseL19gebsrmvn_2xn_kernelILj128ELj13ELj16E21rocsparse_complex_numIfEEEvi20rocsparse_direction_NS_24const_host_device_scalarIT2_EEPKiS8_PKS5_SA_S6_PS5_21rocsparse_index_base_b,@function
_ZN9rocsparseL19gebsrmvn_2xn_kernelILj128ELj13ELj16E21rocsparse_complex_numIfEEEvi20rocsparse_direction_NS_24const_host_device_scalarIT2_EEPKiS8_PKS5_SA_S6_PS5_21rocsparse_index_base_b: ; @_ZN9rocsparseL19gebsrmvn_2xn_kernelILj128ELj13ELj16E21rocsparse_complex_numIfEEEvi20rocsparse_direction_NS_24const_host_device_scalarIT2_EEPKiS8_PKS5_SA_S6_PS5_21rocsparse_index_base_b
; %bb.0:
	s_load_dwordx2 s[12:13], s[0:1], 0x40
	s_load_dwordx2 s[8:9], s[0:1], 0x8
	;; [unrolled: 1-line block ×3, first 2 shown]
	s_waitcnt lgkmcnt(0)
	s_bitcmp1_b32 s13, 0
	s_cselect_b64 s[4:5], -1, 0
	s_xor_b64 s[10:11], s[4:5], -1
	s_and_b64 vcc, exec, s[4:5]
	v_mov_b32_e32 v2, s8
	s_cbranch_vccnz .LBB209_2
; %bb.1:
	v_mov_b64_e32 v[2:3], s[8:9]
	flat_load_dword v2, v[2:3]
.LBB209_2:
	v_cndmask_b32_e64 v1, 0, 1, s[10:11]
	v_cmp_ne_u32_e64 s[4:5], 1, v1
	s_andn2_b64 vcc, exec, s[10:11]
	v_mov_b32_e32 v3, s9
	s_cbranch_vccz .LBB209_16
; %bb.3:
	s_and_b64 vcc, exec, s[4:5]
	v_mov_b32_e32 v4, s6
	s_cbranch_vccz .LBB209_17
.LBB209_4:
	s_and_b64 vcc, exec, s[4:5]
	v_mov_b32_e32 v5, s7
	s_cbranch_vccnz .LBB209_6
.LBB209_5:
	v_mov_b64_e32 v[6:7], s[6:7]
	flat_load_dword v5, v[6:7] offset:4
.LBB209_6:
	s_waitcnt vmcnt(0) lgkmcnt(0)
	v_and_b32_e32 v1, 0x7fffffff, v2
	v_cmp_eq_u32_e32 vcc, 0, v1
	v_cmp_eq_f32_e64 s[4:5], 0, v3
	s_and_b64 s[8:9], vcc, s[4:5]
	s_mov_b64 s[4:5], -1
	s_and_saveexec_b64 s[6:7], s[8:9]
; %bb.7:
	v_and_b32_e32 v1, 0x7fffffff, v5
	v_cmp_neq_f32_e32 vcc, 1.0, v4
	v_cmp_ne_u32_e64 s[4:5], 0, v1
	s_or_b64 s[4:5], vcc, s[4:5]
	s_orn2_b64 s[4:5], s[4:5], exec
; %bb.8:
	s_or_b64 exec, exec, s[6:7]
	s_and_saveexec_b64 s[6:7], s[4:5]
	s_cbranch_execz .LBB209_29
; %bb.9:
	s_load_dwordx2 s[14:15], s[0:1], 0x0
	v_lshrrev_b32_e32 v1, 4, v0
	v_lshl_or_b32 v6, s2, 3, v1
	s_waitcnt lgkmcnt(0)
	v_cmp_gt_i32_e32 vcc, s14, v6
	s_and_b64 exec, exec, vcc
	s_cbranch_execz .LBB209_29
; %bb.10:
	s_load_dwordx8 s[4:11], s[0:1], 0x10
	v_ashrrev_i32_e32 v7, 31, v6
	s_cmp_lg_u32 s15, 0
	s_waitcnt lgkmcnt(0)
	v_lshl_add_u64 v[8:9], v[6:7], 2, s[4:5]
	global_load_dwordx2 v[8:9], v[8:9], off
	v_and_b32_e32 v7, 15, v0
	s_waitcnt vmcnt(0)
	v_subrev_u32_e32 v0, s12, v8
	v_subrev_u32_e32 v26, s12, v9
	v_add_u32_e32 v0, v0, v7
	v_cmp_lt_i32_e64 s[2:3], v0, v26
	s_cbranch_scc0 .LBB209_18
; %bb.11:
	v_mov_b32_e32 v11, 0
	v_mov_b32_e32 v10, v11
	;; [unrolled: 1-line block ×4, first 2 shown]
	s_and_saveexec_b64 s[4:5], s[2:3]
	s_cbranch_execz .LBB209_15
; %bb.12:
	v_mov_b32_e32 v13, 0
	v_mul_lo_u32 v12, v0, 26
	s_mov_b64 s[14:15], 0
	v_mov_b32_e32 v14, v0
	v_mov_b32_e32 v8, v13
	;; [unrolled: 1-line block ×5, first 2 shown]
.LBB209_13:                             ; =>This Inner Loop Header: Depth=1
	v_ashrrev_i32_e32 v15, 31, v14
	v_lshl_add_u64 v[58:59], v[14:15], 2, s[6:7]
	global_load_dword v1, v[58:59], off
	v_mov_b32_e32 v17, v13
	v_lshl_add_u64 v[28:29], v[12:13], 3, s[8:9]
	global_load_dwordx4 v[28:31], v[28:29], off
	v_mov_b32_e32 v35, v13
	v_mov_b32_e32 v39, v13
	v_add_u32_e32 v32, 2, v12
	v_mov_b32_e32 v33, v13
	v_add_u32_e32 v36, 4, v12
	;; [unrolled: 2-line block ×3, first 2 shown]
	v_mov_b32_e32 v41, v13
	v_mov_b32_e32 v43, v13
	v_add_u32_e32 v44, 8, v12
	v_mov_b32_e32 v45, v13
	v_mov_b32_e32 v47, v13
	v_add_u32_e32 v48, 10, v12
	v_mov_b32_e32 v49, v13
	v_add_u32_e32 v52, 14, v12
	;; [unrolled: 2-line block ×3, first 2 shown]
	v_mov_b32_e32 v57, v13
	v_mov_b32_e32 v21, v13
	v_add_u32_e32 v50, 12, v12
	v_mov_b32_e32 v51, v13
	v_add_u32_e32 v54, 16, v12
	v_mov_b32_e32 v55, v13
	v_mov_b32_e32 v19, v13
	;; [unrolled: 1-line block ×5, first 2 shown]
	v_add_u32_e32 v14, 16, v14
	v_cmp_ge_i32_e32 vcc, v14, v26
	s_or_b64 s[14:15], vcc, s[14:15]
	s_waitcnt vmcnt(1)
	v_subrev_u32_e32 v1, s12, v1
	v_mul_lo_u32 v16, v1, 13
	v_lshl_add_u64 v[60:61], v[16:17], 3, s[10:11]
	global_load_dwordx2 v[60:61], v[60:61], off
	v_add_u32_e32 v34, 1, v16
	v_add_u32_e32 v38, 2, v16
	v_lshl_add_u64 v[34:35], v[34:35], 3, s[10:11]
	v_lshl_add_u64 v[38:39], v[38:39], 3, s[10:11]
	global_load_dwordx2 v[38:39], v[38:39], off
	s_waitcnt vmcnt(2)
	v_xor_b32_e32 v58, 0x80000000, v31
	global_load_dwordx2 v[34:35], v[34:35], off
	v_mov_b32_e32 v59, v30
	v_add_u32_e32 v42, 3, v16
	v_add_u32_e32 v46, 4, v16
	;; [unrolled: 1-line block ×3, first 2 shown]
	v_lshl_add_u64 v[20:21], v[20:21], 3, s[10:11]
	v_add_u32_e32 v18, 6, v16
	v_add_u32_e32 v22, 7, v16
	;; [unrolled: 1-line block ×4, first 2 shown]
	v_lshl_add_u64 v[18:19], v[18:19], 3, s[10:11]
	v_lshl_add_u64 v[22:23], v[22:23], 3, s[10:11]
	;; [unrolled: 1-line block ×3, first 2 shown]
	s_waitcnt vmcnt(2)
	v_pk_fma_f32 v[10:11], v[28:29], v[60:61], v[10:11] op_sel_hi:[1,0,1]
	v_pk_fma_f32 v[8:9], v[30:31], v[60:61], v[8:9] op_sel_hi:[1,0,1]
	v_pk_fma_f32 v[28:29], v[28:29], v[60:61], v[10:11] op_sel:[1,1,0] op_sel_hi:[0,1,1] neg_lo:[1,0,0]
	v_lshl_add_u64 v[10:11], v[32:33], 3, s[8:9]
	v_pk_fma_f32 v[32:33], v[58:59], v[60:61], v[8:9] op_sel:[0,1,0]
	global_load_dwordx4 v[8:11], v[10:11], off
	v_add_u32_e32 v30, 20, v12
	v_mov_b32_e32 v31, v13
	v_mov_b32_e32 v61, v13
	v_add_u32_e32 v60, 10, v16
	s_waitcnt vmcnt(0)
	v_pk_fma_f32 v[28:29], v[8:9], v[34:35], v[28:29] op_sel_hi:[1,0,1]
	v_xor_b32_e32 v58, 0x80000000, v11
	v_mov_b32_e32 v59, v10
	v_pk_fma_f32 v[10:11], v[10:11], v[34:35], v[32:33] op_sel_hi:[1,0,1]
	v_pk_fma_f32 v[28:29], v[8:9], v[34:35], v[28:29] op_sel:[1,1,0] op_sel_hi:[0,1,1] neg_lo:[1,0,0]
	v_lshl_add_u64 v[8:9], v[36:37], 3, s[8:9]
	v_pk_fma_f32 v[34:35], v[58:59], v[34:35], v[10:11] op_sel:[0,1,0]
	global_load_dwordx4 v[8:11], v[8:9], off
	v_add_u32_e32 v32, 22, v12
	v_mov_b32_e32 v33, v13
	v_mov_b32_e32 v59, v13
	v_add_u32_e32 v58, 11, v16
	v_add_u32_e32 v16, 12, v16
	v_lshl_add_u64 v[16:17], v[16:17], 3, s[10:11]
	s_waitcnt vmcnt(0)
	v_pk_fma_f32 v[28:29], v[8:9], v[38:39], v[28:29] op_sel_hi:[1,0,1]
	v_xor_b32_e32 v36, 0x80000000, v11
	v_mov_b32_e32 v37, v10
	v_pk_fma_f32 v[10:11], v[10:11], v[38:39], v[34:35] op_sel_hi:[1,0,1]
	v_pk_fma_f32 v[28:29], v[8:9], v[38:39], v[28:29] op_sel:[1,1,0] op_sel_hi:[0,1,1] neg_lo:[1,0,0]
	v_lshl_add_u64 v[8:9], v[40:41], 3, s[8:9]
	v_lshl_add_u64 v[40:41], v[42:43], 3, s[10:11]
	v_pk_fma_f32 v[36:37], v[36:37], v[38:39], v[10:11] op_sel:[0,1,0]
	global_load_dwordx4 v[8:11], v[8:9], off
	v_add_u32_e32 v34, 24, v12
	global_load_dwordx2 v[40:41], v[40:41], off
	v_mov_b32_e32 v35, v13
	v_lshl_add_u64 v[64:65], v[34:35], 3, s[8:9]
	v_lshl_add_u64 v[34:35], v[46:47], 3, s[10:11]
	v_add_u32_e32 v12, 0x1a0, v12
	s_waitcnt vmcnt(1)
	v_xor_b32_e32 v38, 0x80000000, v11
	v_mov_b32_e32 v39, v10
	s_waitcnt vmcnt(0)
	v_pk_fma_f32 v[28:29], v[8:9], v[40:41], v[28:29] op_sel_hi:[1,0,1]
	v_pk_fma_f32 v[36:37], v[10:11], v[40:41], v[36:37] op_sel_hi:[1,0,1]
	v_pk_fma_f32 v[42:43], v[8:9], v[40:41], v[28:29] op_sel:[1,1,0] op_sel_hi:[0,1,1] neg_lo:[1,0,0]
	v_lshl_add_u64 v[8:9], v[44:45], 3, s[8:9]
	v_lshl_add_u64 v[28:29], v[48:49], 3, s[8:9]
	;; [unrolled: 1-line block ×5, first 2 shown]
	global_load_dwordx4 v[8:11], v[8:9], off
	v_pk_fma_f32 v[32:33], v[38:39], v[40:41], v[36:37] op_sel:[0,1,0]
	global_load_dwordx2 v[38:39], v[34:35], off
	v_lshl_add_u64 v[44:45], v[50:51], 3, s[8:9]
	v_lshl_add_u64 v[50:51], v[54:55], 3, s[8:9]
	;; [unrolled: 1-line block ×3, first 2 shown]
	global_load_dwordx4 v[28:31], v[28:29], off
	s_waitcnt vmcnt(2)
	v_xor_b32_e32 v36, 0x80000000, v11
	v_mov_b32_e32 v37, v10
	s_waitcnt vmcnt(1)
	v_pk_fma_f32 v[34:35], v[8:9], v[38:39], v[42:43] op_sel_hi:[1,0,1]
	v_pk_fma_f32 v[40:41], v[10:11], v[38:39], v[32:33] op_sel_hi:[1,0,1]
	v_pk_fma_f32 v[42:43], v[8:9], v[38:39], v[34:35] op_sel:[1,1,0] op_sel_hi:[0,1,1] neg_lo:[1,0,0]
	global_load_dwordx4 v[8:11], v[44:45], off
	global_load_dwordx4 v[32:35], v[48:49], off
	v_pk_fma_f32 v[40:41], v[36:37], v[38:39], v[40:41] op_sel:[0,1,0]
	global_load_dwordx2 v[20:21], v[20:21], off
	s_waitcnt vmcnt(3)
	v_xor_b32_e32 v44, 0x80000000, v31
	global_load_dwordx4 v[36:39], v[50:51], off
	v_mov_b32_e32 v45, v30
	s_waitcnt vmcnt(1)
	v_pk_fma_f32 v[42:43], v[28:29], v[20:21], v[42:43] op_sel_hi:[1,0,1]
	v_pk_fma_f32 v[46:47], v[30:31], v[20:21], v[40:41] op_sel_hi:[1,0,1]
	v_pk_fma_f32 v[66:67], v[28:29], v[20:21], v[42:43] op_sel:[1,1,0] op_sel_hi:[0,1,1] neg_lo:[1,0,0]
	global_load_dwordx4 v[28:31], v[52:53], off
	global_load_dwordx4 v[40:43], v[54:55], off
	v_pk_fma_f32 v[20:21], v[44:45], v[20:21], v[46:47] op_sel:[0,1,0]
	global_load_dwordx4 v[44:47], v[56:57], off
	global_load_dwordx4 v[48:51], v[64:65], off
	v_lshl_add_u64 v[52:53], v[62:63], 3, s[10:11]
	v_lshl_add_u64 v[54:55], v[60:61], 3, s[10:11]
	;; [unrolled: 1-line block ×3, first 2 shown]
	global_load_dwordx2 v[58:59], v[18:19], off
	global_load_dwordx2 v[60:61], v[22:23], off
	;; [unrolled: 1-line block ×7, first 2 shown]
	v_xor_b32_e32 v16, 0x80000000, v11
	v_mov_b32_e32 v17, v10
	s_waitcnt vmcnt(6)
	v_pk_fma_f32 v[18:19], v[8:9], v[58:59], v[66:67] op_sel_hi:[1,0,1]
	v_pk_fma_f32 v[10:11], v[10:11], v[58:59], v[20:21] op_sel_hi:[1,0,1]
	v_pk_fma_f32 v[8:9], v[8:9], v[58:59], v[18:19] op_sel:[1,1,0] op_sel_hi:[0,1,1] neg_lo:[1,0,0]
	v_pk_fma_f32 v[10:11], v[16:17], v[58:59], v[10:11] op_sel:[0,1,0]
	v_xor_b32_e32 v18, 0x80000000, v35
	v_mov_b32_e32 v19, v34
	s_waitcnt vmcnt(5)
	v_pk_fma_f32 v[8:9], v[32:33], v[60:61], v[8:9] op_sel_hi:[1,0,1]
	v_pk_fma_f32 v[10:11], v[34:35], v[60:61], v[10:11] op_sel_hi:[1,0,1]
	v_pk_fma_f32 v[8:9], v[32:33], v[60:61], v[8:9] op_sel:[1,1,0] op_sel_hi:[0,1,1] neg_lo:[1,0,0]
	v_pk_fma_f32 v[10:11], v[18:19], v[60:61], v[10:11] op_sel:[0,1,0]
	;; [unrolled: 7-line block ×7, first 2 shown]
	s_andn2_b64 exec, exec, s[14:15]
	s_cbranch_execnz .LBB209_13
; %bb.14:
	s_or_b64 exec, exec, s[14:15]
.LBB209_15:
	s_or_b64 exec, exec, s[4:5]
	s_cbranch_execz .LBB209_19
	s_branch .LBB209_24
.LBB209_16:
	v_mov_b64_e32 v[4:5], s[8:9]
	flat_load_dword v3, v[4:5] offset:4
	s_and_b64 vcc, exec, s[4:5]
	v_mov_b32_e32 v4, s6
	s_cbranch_vccnz .LBB209_4
.LBB209_17:
	v_mov_b64_e32 v[4:5], s[6:7]
	flat_load_dword v4, v[4:5]
	s_and_b64 vcc, exec, s[4:5]
	v_mov_b32_e32 v5, s7
	s_cbranch_vccz .LBB209_5
	s_branch .LBB209_6
.LBB209_18:
                                        ; implicit-def: $vgpr11
                                        ; implicit-def: $vgpr9
.LBB209_19:
	v_mov_b32_e32 v11, 0
	v_mov_b32_e32 v10, v11
	;; [unrolled: 1-line block ×4, first 2 shown]
	s_and_saveexec_b64 s[4:5], s[2:3]
	s_cbranch_execz .LBB209_23
; %bb.20:
	v_mad_u64_u32 v[12:13], s[2:3], v0, 26, 25
	v_mov_b32_e32 v15, 0
	s_mov_b64 s[2:3], 0
	v_mov_b32_e32 v8, v15
	v_mov_b32_e32 v9, v15
	;; [unrolled: 1-line block ×4, first 2 shown]
.LBB209_21:                             ; =>This Inner Loop Header: Depth=1
	v_ashrrev_i32_e32 v1, 31, v0
	v_subrev_u32_e32 v14, 25, v12
	v_add_u32_e32 v18, -12, v12
	v_mov_b32_e32 v19, v15
	v_mov_b32_e32 v13, v15
	v_lshl_add_u64 v[22:23], v[0:1], 2, s[6:7]
	v_lshl_add_u64 v[24:25], v[14:15], 3, s[8:9]
	;; [unrolled: 1-line block ×4, first 2 shown]
	global_load_dword v1, v[22:23], off
	global_load_dwordx4 v[18:21], v[24:25], off
	global_load_dwordx2 v[32:33], v[28:29], off
	global_load_dwordx2 v[34:35], v[30:31], off
	v_mov_b32_e32 v17, v15
	v_add_u32_e32 v0, 16, v0
	v_cmp_ge_i32_e32 vcc, v0, v26
	s_or_b64 s[2:3], vcc, s[2:3]
	s_waitcnt vmcnt(3)
	v_subrev_u32_e32 v1, s12, v1
	v_mul_lo_u32 v16, v1, 13
	v_lshl_add_u64 v[24:25], v[16:17], 3, s[10:11]
	global_load_dwordx2 v[24:25], v[24:25], off
	v_add_u32_e32 v14, 1, v16
	v_lshl_add_u64 v[28:29], v[14:15], 3, s[10:11]
	global_load_dwordx2 v[28:29], v[28:29], off
	v_add_u32_e32 v14, -11, v12
	v_lshl_add_u64 v[30:31], v[14:15], 3, s[8:9]
	v_subrev_u32_e32 v14, 23, v12
	global_load_dwordx2 v[30:31], v[30:31], off
	v_lshl_add_u64 v[36:37], v[14:15], 3, s[8:9]
	v_add_u32_e32 v14, 2, v16
	v_lshl_add_u64 v[38:39], v[14:15], 3, s[10:11]
	v_add_u32_e32 v14, -10, v12
	global_load_dwordx2 v[36:37], v[36:37], off
	v_lshl_add_u64 v[40:41], v[14:15], 3, s[8:9]
	global_load_dwordx2 v[38:39], v[38:39], off
	v_subrev_u32_e32 v14, 22, v12
	global_load_dwordx2 v[40:41], v[40:41], off
	v_lshl_add_u64 v[42:43], v[14:15], 3, s[8:9]
	global_load_dwordx2 v[42:43], v[42:43], off
	v_add_u32_e32 v14, 3, v16
	v_lshl_add_u64 v[44:45], v[14:15], 3, s[10:11]
	v_add_u32_e32 v14, -9, v12
	global_load_dwordx2 v[44:45], v[44:45], off
	v_lshl_add_u64 v[46:47], v[14:15], 3, s[8:9]
	v_subrev_u32_e32 v14, 21, v12
	global_load_dwordx2 v[46:47], v[46:47], off
	v_lshl_add_u64 v[48:49], v[14:15], 3, s[8:9]
	global_load_dwordx2 v[48:49], v[48:49], off
	v_add_u32_e32 v14, 4, v16
	v_lshl_add_u64 v[50:51], v[14:15], 3, s[10:11]
	v_add_u32_e32 v14, -8, v12
	global_load_dwordx2 v[50:51], v[50:51], off
	v_lshl_add_u64 v[52:53], v[14:15], 3, s[8:9]
	global_load_dwordx2 v[52:53], v[52:53], off
	v_subrev_u32_e32 v14, 20, v12
	v_lshl_add_u64 v[54:55], v[14:15], 3, s[8:9]
	v_add_u32_e32 v14, 5, v16
	v_lshl_add_u64 v[56:57], v[14:15], 3, s[10:11]
	v_add_u32_e32 v14, -7, v12
	v_lshl_add_u64 v[58:59], v[14:15], 3, s[8:9]
	v_subrev_u32_e32 v14, 19, v12
	v_lshl_add_u64 v[60:61], v[14:15], 3, s[8:9]
	v_add_u32_e32 v14, 6, v16
	v_lshl_add_u64 v[62:63], v[14:15], 3, s[10:11]
	v_add_u32_e32 v14, -6, v12
	v_lshl_add_u64 v[64:65], v[14:15], 3, s[8:9]
	v_subrev_u32_e32 v14, 18, v12
	s_waitcnt vmcnt(14)
	v_xor_b32_e32 v22, 0x80000000, v21
	v_mov_b32_e32 v23, v20
	global_load_dwordx2 v[54:55], v[54:55], off
	s_waitcnt vmcnt(12)
	v_pk_fma_f32 v[8:9], v[32:33], v[24:25], v[8:9] op_sel_hi:[1,0,1]
	s_nop 0
	v_pk_fma_f32 v[8:9], v[32:33], v[24:25], v[8:9] op_sel:[1,1,0] op_sel_hi:[0,1,1] neg_lo:[1,0,0]
	v_lshl_add_u64 v[32:33], v[14:15], 3, s[8:9]
	v_add_u32_e32 v14, 7, v16
	v_pk_fma_f32 v[10:11], v[18:19], v[24:25], v[10:11] op_sel_hi:[1,0,1]
	global_load_dwordx2 v[56:57], v[56:57], off
	v_pk_fma_f32 v[10:11], v[18:19], v[24:25], v[10:11] op_sel:[1,1,0] op_sel_hi:[0,1,1] neg_lo:[1,0,0]
	v_lshl_add_u64 v[18:19], v[14:15], 3, s[10:11]
	v_add_u32_e32 v14, -5, v12
	s_waitcnt vmcnt(12)
	v_pk_fma_f32 v[10:11], v[20:21], v[28:29], v[10:11] op_sel_hi:[1,0,1]
	v_lshl_add_u64 v[20:21], v[14:15], 3, s[8:9]
	v_subrev_u32_e32 v14, 17, v12
	global_load_dwordx2 v[58:59], v[58:59], off
	v_pk_fma_f32 v[10:11], v[22:23], v[28:29], v[10:11] op_sel:[0,1,0]
	global_load_dwordx2 v[60:61], v[60:61], off
	s_nop 0
	global_load_dwordx2 v[24:25], v[32:33], off
	v_lshl_add_u64 v[32:33], v[14:15], 3, s[8:9]
	v_add_u32_e32 v14, 8, v16
	v_lshl_add_u64 v[22:23], v[14:15], 3, s[10:11]
	v_add_u32_e32 v14, -4, v12
	s_waitcnt vmcnt(14)
	v_pk_fma_f32 v[8:9], v[30:31], v[28:29], v[8:9] op_sel_hi:[1,0,1]
	global_load_dwordx2 v[62:63], v[62:63], off
	v_pk_fma_f32 v[8:9], v[30:31], v[28:29], v[8:9] op_sel:[1,1,0] op_sel_hi:[0,1,1] neg_lo:[1,0,0]
	global_load_dwordx2 v[64:65], v[64:65], off
	v_lshl_add_u64 v[28:29], v[14:15], 3, s[8:9]
	v_add_u32_e32 v14, -16, v12
	v_lshl_add_u64 v[30:31], v[14:15], 3, s[8:9]
	v_add_u32_e32 v14, 9, v16
	s_waitcnt vmcnt(14)
	v_pk_fma_f32 v[10:11], v[36:37], v[38:39], v[10:11] op_sel_hi:[1,0,1]
	global_load_dwordx2 v[18:19], v[18:19], off
	v_pk_fma_f32 v[10:11], v[36:37], v[38:39], v[10:11] op_sel:[1,1,0] op_sel_hi:[0,1,1] neg_lo:[1,0,0]
	global_load_dwordx2 v[20:21], v[20:21], off
	v_lshl_add_u64 v[36:37], v[14:15], 3, s[10:11]
	v_add_u32_e32 v14, -3, v12
	s_waitcnt vmcnt(15)
	v_pk_fma_f32 v[8:9], v[40:41], v[38:39], v[8:9] op_sel_hi:[1,0,1]
	global_load_dwordx2 v[32:33], v[32:33], off
	v_pk_fma_f32 v[8:9], v[40:41], v[38:39], v[8:9] op_sel:[1,1,0] op_sel_hi:[0,1,1] neg_lo:[1,0,0]
	global_load_dwordx2 v[30:31], v[30:31], off
	v_lshl_add_u64 v[38:39], v[14:15], 3, s[8:9]
	v_add_u32_e32 v14, -15, v12
	global_load_dwordx2 v[22:23], v[22:23], off
	v_lshl_add_u64 v[40:41], v[14:15], 3, s[8:9]
	global_load_dwordx2 v[28:29], v[28:29], off
	v_add_u32_e32 v14, 10, v16
	s_waitcnt vmcnt(17)
	v_pk_fma_f32 v[10:11], v[42:43], v[44:45], v[10:11] op_sel_hi:[1,0,1]
	s_waitcnt vmcnt(16)
	v_pk_fma_f32 v[8:9], v[46:47], v[44:45], v[8:9] op_sel_hi:[1,0,1]
	v_pk_fma_f32 v[10:11], v[42:43], v[44:45], v[10:11] op_sel:[1,1,0] op_sel_hi:[0,1,1] neg_lo:[1,0,0]
	v_lshl_add_u64 v[42:43], v[14:15], 3, s[10:11]
	v_add_u32_e32 v14, -2, v12
	global_load_dwordx2 v[36:37], v[36:37], off
	v_pk_fma_f32 v[8:9], v[46:47], v[44:45], v[8:9] op_sel:[1,1,0] op_sel_hi:[0,1,1] neg_lo:[1,0,0]
	global_load_dwordx2 v[38:39], v[38:39], off
	v_lshl_add_u64 v[44:45], v[14:15], 3, s[8:9]
	global_load_dwordx2 v[40:41], v[40:41], off
	v_add_u32_e32 v14, -14, v12
	v_lshl_add_u64 v[46:47], v[14:15], 3, s[8:9]
	v_add_u32_e32 v14, 11, v16
	s_waitcnt vmcnt(17)
	v_pk_fma_f32 v[10:11], v[48:49], v[50:51], v[10:11] op_sel_hi:[1,0,1]
	global_load_dwordx2 v[42:43], v[42:43], off
	v_pk_fma_f32 v[10:11], v[48:49], v[50:51], v[10:11] op_sel:[1,1,0] op_sel_hi:[0,1,1] neg_lo:[1,0,0]
	global_load_dwordx2 v[44:45], v[44:45], off
	v_lshl_add_u64 v[48:49], v[14:15], 3, s[10:11]
	global_load_dwordx2 v[46:47], v[46:47], off
	v_add_u32_e32 v14, -1, v12
	s_waitcnt vmcnt(19)
	v_pk_fma_f32 v[8:9], v[52:53], v[50:51], v[8:9] op_sel_hi:[1,0,1]
	global_load_dwordx2 v[48:49], v[48:49], off
	v_pk_fma_f32 v[8:9], v[52:53], v[50:51], v[8:9] op_sel:[1,1,0] op_sel_hi:[0,1,1] neg_lo:[1,0,0]
	v_lshl_add_u64 v[50:51], v[14:15], 3, s[8:9]
	v_add_u32_e32 v14, -13, v12
	v_lshl_add_u64 v[52:53], v[14:15], 3, s[8:9]
	v_add_u32_e32 v14, 12, v16
	global_load_dwordx2 v[16:17], v[50:51], off
	v_lshl_add_u64 v[50:51], v[14:15], 3, s[10:11]
	global_load_dwordx2 v[66:67], v[52:53], off
	global_load_dwordx2 v[68:69], v[50:51], off
	v_add_u32_e32 v12, 0x1a0, v12
	s_waitcnt vmcnt(21)
	v_pk_fma_f32 v[10:11], v[54:55], v[56:57], v[10:11] op_sel_hi:[1,0,1]
	s_nop 0
	v_pk_fma_f32 v[10:11], v[54:55], v[56:57], v[10:11] op_sel:[1,1,0] op_sel_hi:[0,1,1] neg_lo:[1,0,0]
	s_waitcnt vmcnt(20)
	v_pk_fma_f32 v[8:9], v[58:59], v[56:57], v[8:9] op_sel_hi:[1,0,1]
	s_nop 0
	v_pk_fma_f32 v[8:9], v[58:59], v[56:57], v[8:9] op_sel:[1,1,0] op_sel_hi:[0,1,1] neg_lo:[1,0,0]
	;; [unrolled: 4-line block ×3, first 2 shown]
	s_waitcnt vmcnt(16)
	v_pk_fma_f32 v[8:9], v[64:65], v[62:63], v[8:9] op_sel_hi:[1,0,1]
	s_waitcnt vmcnt(15)
	v_pk_fma_f32 v[10:11], v[24:25], v[18:19], v[10:11] op_sel_hi:[1,0,1]
	v_pk_fma_f32 v[8:9], v[64:65], v[62:63], v[8:9] op_sel:[1,1,0] op_sel_hi:[0,1,1] neg_lo:[1,0,0]
	s_waitcnt vmcnt(14)
	v_pk_fma_f32 v[8:9], v[20:21], v[18:19], v[8:9] op_sel_hi:[1,0,1]
	v_pk_fma_f32 v[10:11], v[24:25], v[18:19], v[10:11] op_sel:[1,1,0] op_sel_hi:[0,1,1] neg_lo:[1,0,0]
	v_pk_fma_f32 v[8:9], v[20:21], v[18:19], v[8:9] op_sel:[1,1,0] op_sel_hi:[0,1,1] neg_lo:[1,0,0]
	s_waitcnt vmcnt(11)
	v_pk_fma_f32 v[10:11], v[32:33], v[22:23], v[10:11] op_sel_hi:[1,0,1]
	s_nop 0
	v_pk_fma_f32 v[10:11], v[32:33], v[22:23], v[10:11] op_sel:[1,1,0] op_sel_hi:[0,1,1] neg_lo:[1,0,0]
	s_waitcnt vmcnt(10)
	v_pk_fma_f32 v[8:9], v[28:29], v[22:23], v[8:9] op_sel_hi:[1,0,1]
	s_waitcnt vmcnt(9)
	v_pk_fma_f32 v[10:11], v[30:31], v[36:37], v[10:11] op_sel_hi:[1,0,1]
	v_pk_fma_f32 v[8:9], v[28:29], v[22:23], v[8:9] op_sel:[1,1,0] op_sel_hi:[0,1,1] neg_lo:[1,0,0]
	s_waitcnt vmcnt(8)
	v_pk_fma_f32 v[8:9], v[38:39], v[36:37], v[8:9] op_sel_hi:[1,0,1]
	v_pk_fma_f32 v[10:11], v[30:31], v[36:37], v[10:11] op_sel:[1,1,0] op_sel_hi:[0,1,1] neg_lo:[1,0,0]
	v_pk_fma_f32 v[8:9], v[38:39], v[36:37], v[8:9] op_sel:[1,1,0] op_sel_hi:[0,1,1] neg_lo:[1,0,0]
	s_waitcnt vmcnt(6)
	v_pk_fma_f32 v[10:11], v[40:41], v[42:43], v[10:11] op_sel_hi:[1,0,1]
	s_nop 0
	v_pk_fma_f32 v[10:11], v[40:41], v[42:43], v[10:11] op_sel:[1,1,0] op_sel_hi:[0,1,1] neg_lo:[1,0,0]
	s_waitcnt vmcnt(5)
	v_pk_fma_f32 v[8:9], v[44:45], v[42:43], v[8:9] op_sel_hi:[1,0,1]
	s_waitcnt vmcnt(3)
	v_pk_fma_f32 v[10:11], v[46:47], v[48:49], v[10:11] op_sel_hi:[1,0,1]
	v_pk_fma_f32 v[8:9], v[44:45], v[42:43], v[8:9] op_sel:[1,1,0] op_sel_hi:[0,1,1] neg_lo:[1,0,0]
	v_pk_fma_f32 v[10:11], v[46:47], v[48:49], v[10:11] op_sel:[1,1,0] op_sel_hi:[0,1,1] neg_lo:[1,0,0]
	s_waitcnt vmcnt(2)
	v_pk_fma_f32 v[8:9], v[16:17], v[48:49], v[8:9] op_sel_hi:[1,0,1]
	s_nop 0
	v_pk_fma_f32 v[8:9], v[16:17], v[48:49], v[8:9] op_sel:[1,1,0] op_sel_hi:[0,1,1] neg_lo:[1,0,0]
	s_waitcnt vmcnt(0)
	v_pk_fma_f32 v[10:11], v[66:67], v[68:69], v[10:11] op_sel_hi:[1,0,1]
	v_pk_fma_f32 v[8:9], v[34:35], v[68:69], v[8:9] op_sel_hi:[1,0,1]
	v_pk_fma_f32 v[10:11], v[66:67], v[68:69], v[10:11] op_sel:[1,1,0] op_sel_hi:[0,1,1] neg_lo:[1,0,0]
	v_pk_fma_f32 v[8:9], v[34:35], v[68:69], v[8:9] op_sel:[1,1,0] op_sel_hi:[0,1,1] neg_lo:[1,0,0]
	s_andn2_b64 exec, exec, s[2:3]
	s_cbranch_execnz .LBB209_21
; %bb.22:
	s_or_b64 exec, exec, s[2:3]
.LBB209_23:
	s_or_b64 exec, exec, s[4:5]
.LBB209_24:
	v_mov_b32_dpp v12, v8 row_shr:1 row_mask:0xf bank_mask:0xf
	v_add_f32_e32 v8, v8, v12
	v_mov_b32_dpp v0, v10 row_shr:1 row_mask:0xf bank_mask:0xf
	v_add_f32_e32 v0, v10, v0
	;; [unrolled: 2-line block ×6, first 2 shown]
	v_mov_b32_dpp v1, v0 row_shr:2 row_mask:0xf bank_mask:0xf
	v_mov_b32_dpp v11, v10 row_shr:2 row_mask:0xf bank_mask:0xf
	;; [unrolled: 1-line block ×3, first 2 shown]
	v_add_f32_e32 v0, v0, v1
	v_add_f32_e32 v10, v10, v11
	;; [unrolled: 1-line block ×3, first 2 shown]
	v_mov_b32_dpp v1, v0 row_shr:4 row_mask:0xf bank_mask:0xe
	v_mov_b32_dpp v11, v10 row_shr:4 row_mask:0xf bank_mask:0xe
	;; [unrolled: 1-line block ×3, first 2 shown]
	v_add_f32_e32 v0, v0, v1
	v_add_f32_e32 v10, v10, v11
	;; [unrolled: 1-line block ×3, first 2 shown]
	v_mov_b32_dpp v1, v0 row_shr:8 row_mask:0xf bank_mask:0xc
	v_mov_b32_dpp v11, v10 row_shr:8 row_mask:0xf bank_mask:0xc
	;; [unrolled: 1-line block ×4, first 2 shown]
	v_cmp_eq_u32_e32 vcc, 15, v7
	s_and_b64 exec, exec, vcc
	s_cbranch_execz .LBB209_29
; %bb.25:
	s_load_dwordx2 s[2:3], s[0:1], 0x38
	v_add_f32_e32 v8, v0, v1
	v_and_b32_e32 v1, 0x7fffffff, v4
	v_cmp_eq_u32_e32 vcc, 0, v1
	v_cmp_eq_f32_e64 s[0:1], 0, v5
	v_add_f32_e32 v12, v10, v11
	v_add_f32_e32 v0, v13, v14
	;; [unrolled: 1-line block ×3, first 2 shown]
	s_and_b64 s[0:1], vcc, s[0:1]
	s_and_saveexec_b64 s[4:5], s[0:1]
	s_xor_b64 s[0:1], exec, s[4:5]
	s_cbranch_execz .LBB209_27
; %bb.26:
	v_lshlrev_b32_e32 v4, 1, v6
	v_xor_b32_e32 v14, 0x80000000, v3
	v_ashrrev_i32_e32 v5, 31, v4
	v_mov_b32_e32 v15, v2
	s_waitcnt lgkmcnt(0)
	v_lshl_add_u64 v[16:17], v[4:5], 3, s[2:3]
	v_pk_mul_f32 v[4:5], v[12:13], v[14:15] op_sel_hi:[0,1]
	v_pk_mul_f32 v[6:7], v[10:11], v[14:15] op_sel_hi:[0,1]
	v_pk_fma_f32 v[4:5], v[2:3], v[8:9], v[4:5] op_sel_hi:[1,0,1]
	v_pk_fma_f32 v[6:7], v[2:3], v[0:1], v[6:7] op_sel_hi:[1,0,1]
	global_store_dwordx4 v[16:17], v[4:7], off
                                        ; implicit-def: $vgpr3
                                        ; implicit-def: $vgpr4
                                        ; implicit-def: $vgpr6
                                        ; implicit-def: $vgpr8
                                        ; implicit-def: $vgpr12
                                        ; implicit-def: $vgpr0
                                        ; implicit-def: $vgpr10
.LBB209_27:
	s_andn2_saveexec_b64 s[0:1], s[0:1]
	s_cbranch_execz .LBB209_29
; %bb.28:
	v_lshlrev_b32_e32 v6, 1, v6
	v_ashrrev_i32_e32 v7, 31, v6
	s_waitcnt lgkmcnt(0)
	v_lshl_add_u64 v[6:7], v[6:7], 3, s[2:3]
	global_load_dwordx4 v[14:17], v[6:7], off
	v_xor_b32_e32 v18, 0x80000000, v3
	v_mov_b32_e32 v19, v2
	v_pk_mul_f32 v[12:13], v[12:13], v[18:19] op_sel_hi:[0,1]
	v_pk_mul_f32 v[10:11], v[10:11], v[18:19] op_sel_hi:[0,1]
	v_pk_fma_f32 v[8:9], v[2:3], v[8:9], v[12:13] op_sel_hi:[1,0,1]
	v_pk_fma_f32 v[0:1], v[2:3], v[0:1], v[10:11] op_sel_hi:[1,0,1]
	v_xor_b32_e32 v20, 0x80000000, v5
	v_mov_b32_e32 v21, v4
	s_waitcnt vmcnt(0)
	v_pk_fma_f32 v[2:3], v[4:5], v[14:15], v[8:9] op_sel_hi:[1,0,1]
	v_pk_fma_f32 v[4:5], v[4:5], v[16:17], v[0:1] op_sel_hi:[1,0,1]
	v_mov_b32_e32 v8, v17
	v_pk_fma_f32 v[0:1], v[20:21], v[14:15], v[2:3] op_sel:[0,1,0]
	v_pk_fma_f32 v[2:3], v[20:21], v[8:9], v[4:5] op_sel_hi:[1,0,1]
	global_store_dwordx4 v[6:7], v[0:3], off
.LBB209_29:
	s_endpgm
	.section	.rodata,"a",@progbits
	.p2align	6, 0x0
	.amdhsa_kernel _ZN9rocsparseL19gebsrmvn_2xn_kernelILj128ELj13ELj16E21rocsparse_complex_numIfEEEvi20rocsparse_direction_NS_24const_host_device_scalarIT2_EEPKiS8_PKS5_SA_S6_PS5_21rocsparse_index_base_b
		.amdhsa_group_segment_fixed_size 0
		.amdhsa_private_segment_fixed_size 0
		.amdhsa_kernarg_size 72
		.amdhsa_user_sgpr_count 2
		.amdhsa_user_sgpr_dispatch_ptr 0
		.amdhsa_user_sgpr_queue_ptr 0
		.amdhsa_user_sgpr_kernarg_segment_ptr 1
		.amdhsa_user_sgpr_dispatch_id 0
		.amdhsa_user_sgpr_kernarg_preload_length 0
		.amdhsa_user_sgpr_kernarg_preload_offset 0
		.amdhsa_user_sgpr_private_segment_size 0
		.amdhsa_uses_dynamic_stack 0
		.amdhsa_enable_private_segment 0
		.amdhsa_system_sgpr_workgroup_id_x 1
		.amdhsa_system_sgpr_workgroup_id_y 0
		.amdhsa_system_sgpr_workgroup_id_z 0
		.amdhsa_system_sgpr_workgroup_info 0
		.amdhsa_system_vgpr_workitem_id 0
		.amdhsa_next_free_vgpr 74
		.amdhsa_next_free_sgpr 16
		.amdhsa_accum_offset 76
		.amdhsa_reserve_vcc 1
		.amdhsa_float_round_mode_32 0
		.amdhsa_float_round_mode_16_64 0
		.amdhsa_float_denorm_mode_32 3
		.amdhsa_float_denorm_mode_16_64 3
		.amdhsa_dx10_clamp 1
		.amdhsa_ieee_mode 1
		.amdhsa_fp16_overflow 0
		.amdhsa_tg_split 0
		.amdhsa_exception_fp_ieee_invalid_op 0
		.amdhsa_exception_fp_denorm_src 0
		.amdhsa_exception_fp_ieee_div_zero 0
		.amdhsa_exception_fp_ieee_overflow 0
		.amdhsa_exception_fp_ieee_underflow 0
		.amdhsa_exception_fp_ieee_inexact 0
		.amdhsa_exception_int_div_zero 0
	.end_amdhsa_kernel
	.section	.text._ZN9rocsparseL19gebsrmvn_2xn_kernelILj128ELj13ELj16E21rocsparse_complex_numIfEEEvi20rocsparse_direction_NS_24const_host_device_scalarIT2_EEPKiS8_PKS5_SA_S6_PS5_21rocsparse_index_base_b,"axG",@progbits,_ZN9rocsparseL19gebsrmvn_2xn_kernelILj128ELj13ELj16E21rocsparse_complex_numIfEEEvi20rocsparse_direction_NS_24const_host_device_scalarIT2_EEPKiS8_PKS5_SA_S6_PS5_21rocsparse_index_base_b,comdat
.Lfunc_end209:
	.size	_ZN9rocsparseL19gebsrmvn_2xn_kernelILj128ELj13ELj16E21rocsparse_complex_numIfEEEvi20rocsparse_direction_NS_24const_host_device_scalarIT2_EEPKiS8_PKS5_SA_S6_PS5_21rocsparse_index_base_b, .Lfunc_end209-_ZN9rocsparseL19gebsrmvn_2xn_kernelILj128ELj13ELj16E21rocsparse_complex_numIfEEEvi20rocsparse_direction_NS_24const_host_device_scalarIT2_EEPKiS8_PKS5_SA_S6_PS5_21rocsparse_index_base_b
                                        ; -- End function
	.section	.AMDGPU.csdata,"",@progbits
; Kernel info:
; codeLenInByte = 3664
; NumSgprs: 22
; NumVgprs: 74
; NumAgprs: 0
; TotalNumVgprs: 74
; ScratchSize: 0
; MemoryBound: 0
; FloatMode: 240
; IeeeMode: 1
; LDSByteSize: 0 bytes/workgroup (compile time only)
; SGPRBlocks: 2
; VGPRBlocks: 9
; NumSGPRsForWavesPerEU: 22
; NumVGPRsForWavesPerEU: 74
; AccumOffset: 76
; Occupancy: 6
; WaveLimiterHint : 1
; COMPUTE_PGM_RSRC2:SCRATCH_EN: 0
; COMPUTE_PGM_RSRC2:USER_SGPR: 2
; COMPUTE_PGM_RSRC2:TRAP_HANDLER: 0
; COMPUTE_PGM_RSRC2:TGID_X_EN: 1
; COMPUTE_PGM_RSRC2:TGID_Y_EN: 0
; COMPUTE_PGM_RSRC2:TGID_Z_EN: 0
; COMPUTE_PGM_RSRC2:TIDIG_COMP_CNT: 0
; COMPUTE_PGM_RSRC3_GFX90A:ACCUM_OFFSET: 18
; COMPUTE_PGM_RSRC3_GFX90A:TG_SPLIT: 0
	.section	.text._ZN9rocsparseL19gebsrmvn_2xn_kernelILj128ELj13ELj32E21rocsparse_complex_numIfEEEvi20rocsparse_direction_NS_24const_host_device_scalarIT2_EEPKiS8_PKS5_SA_S6_PS5_21rocsparse_index_base_b,"axG",@progbits,_ZN9rocsparseL19gebsrmvn_2xn_kernelILj128ELj13ELj32E21rocsparse_complex_numIfEEEvi20rocsparse_direction_NS_24const_host_device_scalarIT2_EEPKiS8_PKS5_SA_S6_PS5_21rocsparse_index_base_b,comdat
	.globl	_ZN9rocsparseL19gebsrmvn_2xn_kernelILj128ELj13ELj32E21rocsparse_complex_numIfEEEvi20rocsparse_direction_NS_24const_host_device_scalarIT2_EEPKiS8_PKS5_SA_S6_PS5_21rocsparse_index_base_b ; -- Begin function _ZN9rocsparseL19gebsrmvn_2xn_kernelILj128ELj13ELj32E21rocsparse_complex_numIfEEEvi20rocsparse_direction_NS_24const_host_device_scalarIT2_EEPKiS8_PKS5_SA_S6_PS5_21rocsparse_index_base_b
	.p2align	8
	.type	_ZN9rocsparseL19gebsrmvn_2xn_kernelILj128ELj13ELj32E21rocsparse_complex_numIfEEEvi20rocsparse_direction_NS_24const_host_device_scalarIT2_EEPKiS8_PKS5_SA_S6_PS5_21rocsparse_index_base_b,@function
_ZN9rocsparseL19gebsrmvn_2xn_kernelILj128ELj13ELj32E21rocsparse_complex_numIfEEEvi20rocsparse_direction_NS_24const_host_device_scalarIT2_EEPKiS8_PKS5_SA_S6_PS5_21rocsparse_index_base_b: ; @_ZN9rocsparseL19gebsrmvn_2xn_kernelILj128ELj13ELj32E21rocsparse_complex_numIfEEEvi20rocsparse_direction_NS_24const_host_device_scalarIT2_EEPKiS8_PKS5_SA_S6_PS5_21rocsparse_index_base_b
; %bb.0:
	s_load_dwordx2 s[12:13], s[0:1], 0x40
	s_load_dwordx2 s[8:9], s[0:1], 0x8
	;; [unrolled: 1-line block ×3, first 2 shown]
	s_waitcnt lgkmcnt(0)
	s_bitcmp1_b32 s13, 0
	s_cselect_b64 s[4:5], -1, 0
	s_xor_b64 s[10:11], s[4:5], -1
	s_and_b64 vcc, exec, s[4:5]
	v_mov_b32_e32 v2, s8
	s_cbranch_vccnz .LBB210_2
; %bb.1:
	v_mov_b64_e32 v[2:3], s[8:9]
	flat_load_dword v2, v[2:3]
.LBB210_2:
	v_cndmask_b32_e64 v1, 0, 1, s[10:11]
	v_cmp_ne_u32_e64 s[4:5], 1, v1
	s_andn2_b64 vcc, exec, s[10:11]
	v_mov_b32_e32 v3, s9
	s_cbranch_vccz .LBB210_16
; %bb.3:
	s_and_b64 vcc, exec, s[4:5]
	v_mov_b32_e32 v4, s6
	s_cbranch_vccz .LBB210_17
.LBB210_4:
	s_and_b64 vcc, exec, s[4:5]
	v_mov_b32_e32 v5, s7
	s_cbranch_vccnz .LBB210_6
.LBB210_5:
	v_mov_b64_e32 v[6:7], s[6:7]
	flat_load_dword v5, v[6:7] offset:4
.LBB210_6:
	s_waitcnt vmcnt(0) lgkmcnt(0)
	v_and_b32_e32 v1, 0x7fffffff, v2
	v_cmp_eq_u32_e32 vcc, 0, v1
	v_cmp_eq_f32_e64 s[4:5], 0, v3
	s_and_b64 s[8:9], vcc, s[4:5]
	s_mov_b64 s[4:5], -1
	s_and_saveexec_b64 s[6:7], s[8:9]
; %bb.7:
	v_and_b32_e32 v1, 0x7fffffff, v5
	v_cmp_neq_f32_e32 vcc, 1.0, v4
	v_cmp_ne_u32_e64 s[4:5], 0, v1
	s_or_b64 s[4:5], vcc, s[4:5]
	s_orn2_b64 s[4:5], s[4:5], exec
; %bb.8:
	s_or_b64 exec, exec, s[6:7]
	s_and_saveexec_b64 s[6:7], s[4:5]
	s_cbranch_execz .LBB210_29
; %bb.9:
	s_load_dwordx2 s[14:15], s[0:1], 0x0
	v_lshrrev_b32_e32 v1, 5, v0
	v_lshl_or_b32 v6, s2, 2, v1
	s_waitcnt lgkmcnt(0)
	v_cmp_gt_i32_e32 vcc, s14, v6
	s_and_b64 exec, exec, vcc
	s_cbranch_execz .LBB210_29
; %bb.10:
	s_load_dwordx8 s[4:11], s[0:1], 0x10
	v_ashrrev_i32_e32 v7, 31, v6
	s_cmp_lg_u32 s15, 0
	s_waitcnt lgkmcnt(0)
	v_lshl_add_u64 v[8:9], v[6:7], 2, s[4:5]
	global_load_dwordx2 v[8:9], v[8:9], off
	v_and_b32_e32 v7, 31, v0
	s_waitcnt vmcnt(0)
	v_subrev_u32_e32 v0, s12, v8
	v_subrev_u32_e32 v26, s12, v9
	v_add_u32_e32 v0, v0, v7
	v_cmp_lt_i32_e64 s[2:3], v0, v26
	s_cbranch_scc0 .LBB210_18
; %bb.11:
	v_mov_b32_e32 v11, 0
	v_mov_b32_e32 v10, v11
	;; [unrolled: 1-line block ×4, first 2 shown]
	s_and_saveexec_b64 s[4:5], s[2:3]
	s_cbranch_execz .LBB210_15
; %bb.12:
	v_mov_b32_e32 v13, 0
	v_mul_lo_u32 v12, v0, 26
	s_mov_b64 s[14:15], 0
	v_mov_b32_e32 v14, v0
	v_mov_b32_e32 v8, v13
	;; [unrolled: 1-line block ×5, first 2 shown]
.LBB210_13:                             ; =>This Inner Loop Header: Depth=1
	v_ashrrev_i32_e32 v15, 31, v14
	v_lshl_add_u64 v[58:59], v[14:15], 2, s[6:7]
	global_load_dword v1, v[58:59], off
	v_mov_b32_e32 v17, v13
	v_lshl_add_u64 v[28:29], v[12:13], 3, s[8:9]
	global_load_dwordx4 v[28:31], v[28:29], off
	v_mov_b32_e32 v35, v13
	v_mov_b32_e32 v39, v13
	v_add_u32_e32 v32, 2, v12
	v_mov_b32_e32 v33, v13
	v_add_u32_e32 v36, 4, v12
	;; [unrolled: 2-line block ×3, first 2 shown]
	v_mov_b32_e32 v41, v13
	v_mov_b32_e32 v43, v13
	v_add_u32_e32 v44, 8, v12
	v_mov_b32_e32 v45, v13
	v_mov_b32_e32 v47, v13
	v_add_u32_e32 v48, 10, v12
	v_mov_b32_e32 v49, v13
	v_add_u32_e32 v52, 14, v12
	;; [unrolled: 2-line block ×3, first 2 shown]
	v_mov_b32_e32 v57, v13
	v_mov_b32_e32 v21, v13
	v_add_u32_e32 v50, 12, v12
	v_mov_b32_e32 v51, v13
	v_add_u32_e32 v54, 16, v12
	v_mov_b32_e32 v55, v13
	v_mov_b32_e32 v19, v13
	v_mov_b32_e32 v23, v13
	v_mov_b32_e32 v25, v13
	v_mov_b32_e32 v63, v13
	v_add_u32_e32 v14, 32, v14
	v_cmp_ge_i32_e32 vcc, v14, v26
	s_or_b64 s[14:15], vcc, s[14:15]
	s_waitcnt vmcnt(1)
	v_subrev_u32_e32 v1, s12, v1
	v_mul_lo_u32 v16, v1, 13
	v_lshl_add_u64 v[60:61], v[16:17], 3, s[10:11]
	global_load_dwordx2 v[60:61], v[60:61], off
	v_add_u32_e32 v34, 1, v16
	v_add_u32_e32 v38, 2, v16
	v_lshl_add_u64 v[34:35], v[34:35], 3, s[10:11]
	v_lshl_add_u64 v[38:39], v[38:39], 3, s[10:11]
	global_load_dwordx2 v[38:39], v[38:39], off
	s_waitcnt vmcnt(2)
	v_xor_b32_e32 v58, 0x80000000, v31
	global_load_dwordx2 v[34:35], v[34:35], off
	v_mov_b32_e32 v59, v30
	v_add_u32_e32 v42, 3, v16
	v_add_u32_e32 v46, 4, v16
	;; [unrolled: 1-line block ×3, first 2 shown]
	v_lshl_add_u64 v[20:21], v[20:21], 3, s[10:11]
	v_add_u32_e32 v18, 6, v16
	v_add_u32_e32 v22, 7, v16
	;; [unrolled: 1-line block ×4, first 2 shown]
	v_lshl_add_u64 v[18:19], v[18:19], 3, s[10:11]
	v_lshl_add_u64 v[22:23], v[22:23], 3, s[10:11]
	;; [unrolled: 1-line block ×3, first 2 shown]
	s_waitcnt vmcnt(2)
	v_pk_fma_f32 v[10:11], v[28:29], v[60:61], v[10:11] op_sel_hi:[1,0,1]
	v_pk_fma_f32 v[8:9], v[30:31], v[60:61], v[8:9] op_sel_hi:[1,0,1]
	v_pk_fma_f32 v[28:29], v[28:29], v[60:61], v[10:11] op_sel:[1,1,0] op_sel_hi:[0,1,1] neg_lo:[1,0,0]
	v_lshl_add_u64 v[10:11], v[32:33], 3, s[8:9]
	v_pk_fma_f32 v[32:33], v[58:59], v[60:61], v[8:9] op_sel:[0,1,0]
	global_load_dwordx4 v[8:11], v[10:11], off
	v_add_u32_e32 v30, 20, v12
	v_mov_b32_e32 v31, v13
	v_mov_b32_e32 v61, v13
	v_add_u32_e32 v60, 10, v16
	s_waitcnt vmcnt(0)
	v_pk_fma_f32 v[28:29], v[8:9], v[34:35], v[28:29] op_sel_hi:[1,0,1]
	v_xor_b32_e32 v58, 0x80000000, v11
	v_mov_b32_e32 v59, v10
	v_pk_fma_f32 v[10:11], v[10:11], v[34:35], v[32:33] op_sel_hi:[1,0,1]
	v_pk_fma_f32 v[28:29], v[8:9], v[34:35], v[28:29] op_sel:[1,1,0] op_sel_hi:[0,1,1] neg_lo:[1,0,0]
	v_lshl_add_u64 v[8:9], v[36:37], 3, s[8:9]
	v_pk_fma_f32 v[34:35], v[58:59], v[34:35], v[10:11] op_sel:[0,1,0]
	global_load_dwordx4 v[8:11], v[8:9], off
	v_add_u32_e32 v32, 22, v12
	v_mov_b32_e32 v33, v13
	v_mov_b32_e32 v59, v13
	v_add_u32_e32 v58, 11, v16
	v_add_u32_e32 v16, 12, v16
	v_lshl_add_u64 v[16:17], v[16:17], 3, s[10:11]
	s_waitcnt vmcnt(0)
	v_pk_fma_f32 v[28:29], v[8:9], v[38:39], v[28:29] op_sel_hi:[1,0,1]
	v_xor_b32_e32 v36, 0x80000000, v11
	v_mov_b32_e32 v37, v10
	v_pk_fma_f32 v[10:11], v[10:11], v[38:39], v[34:35] op_sel_hi:[1,0,1]
	v_pk_fma_f32 v[28:29], v[8:9], v[38:39], v[28:29] op_sel:[1,1,0] op_sel_hi:[0,1,1] neg_lo:[1,0,0]
	v_lshl_add_u64 v[8:9], v[40:41], 3, s[8:9]
	v_lshl_add_u64 v[40:41], v[42:43], 3, s[10:11]
	v_pk_fma_f32 v[36:37], v[36:37], v[38:39], v[10:11] op_sel:[0,1,0]
	global_load_dwordx4 v[8:11], v[8:9], off
	v_add_u32_e32 v34, 24, v12
	global_load_dwordx2 v[40:41], v[40:41], off
	v_mov_b32_e32 v35, v13
	v_lshl_add_u64 v[64:65], v[34:35], 3, s[8:9]
	v_lshl_add_u64 v[34:35], v[46:47], 3, s[10:11]
	v_add_u32_e32 v12, 0x340, v12
	s_waitcnt vmcnt(1)
	v_xor_b32_e32 v38, 0x80000000, v11
	v_mov_b32_e32 v39, v10
	s_waitcnt vmcnt(0)
	v_pk_fma_f32 v[28:29], v[8:9], v[40:41], v[28:29] op_sel_hi:[1,0,1]
	v_pk_fma_f32 v[36:37], v[10:11], v[40:41], v[36:37] op_sel_hi:[1,0,1]
	v_pk_fma_f32 v[42:43], v[8:9], v[40:41], v[28:29] op_sel:[1,1,0] op_sel_hi:[0,1,1] neg_lo:[1,0,0]
	v_lshl_add_u64 v[8:9], v[44:45], 3, s[8:9]
	v_lshl_add_u64 v[28:29], v[48:49], 3, s[8:9]
	;; [unrolled: 1-line block ×5, first 2 shown]
	global_load_dwordx4 v[8:11], v[8:9], off
	v_pk_fma_f32 v[32:33], v[38:39], v[40:41], v[36:37] op_sel:[0,1,0]
	global_load_dwordx2 v[38:39], v[34:35], off
	v_lshl_add_u64 v[44:45], v[50:51], 3, s[8:9]
	v_lshl_add_u64 v[50:51], v[54:55], 3, s[8:9]
	;; [unrolled: 1-line block ×3, first 2 shown]
	global_load_dwordx4 v[28:31], v[28:29], off
	s_waitcnt vmcnt(2)
	v_xor_b32_e32 v36, 0x80000000, v11
	v_mov_b32_e32 v37, v10
	s_waitcnt vmcnt(1)
	v_pk_fma_f32 v[34:35], v[8:9], v[38:39], v[42:43] op_sel_hi:[1,0,1]
	v_pk_fma_f32 v[40:41], v[10:11], v[38:39], v[32:33] op_sel_hi:[1,0,1]
	v_pk_fma_f32 v[42:43], v[8:9], v[38:39], v[34:35] op_sel:[1,1,0] op_sel_hi:[0,1,1] neg_lo:[1,0,0]
	global_load_dwordx4 v[8:11], v[44:45], off
	global_load_dwordx4 v[32:35], v[48:49], off
	v_pk_fma_f32 v[40:41], v[36:37], v[38:39], v[40:41] op_sel:[0,1,0]
	global_load_dwordx2 v[20:21], v[20:21], off
	s_waitcnt vmcnt(3)
	v_xor_b32_e32 v44, 0x80000000, v31
	global_load_dwordx4 v[36:39], v[50:51], off
	v_mov_b32_e32 v45, v30
	s_waitcnt vmcnt(1)
	v_pk_fma_f32 v[42:43], v[28:29], v[20:21], v[42:43] op_sel_hi:[1,0,1]
	v_pk_fma_f32 v[46:47], v[30:31], v[20:21], v[40:41] op_sel_hi:[1,0,1]
	v_pk_fma_f32 v[66:67], v[28:29], v[20:21], v[42:43] op_sel:[1,1,0] op_sel_hi:[0,1,1] neg_lo:[1,0,0]
	global_load_dwordx4 v[28:31], v[52:53], off
	global_load_dwordx4 v[40:43], v[54:55], off
	v_pk_fma_f32 v[20:21], v[44:45], v[20:21], v[46:47] op_sel:[0,1,0]
	global_load_dwordx4 v[44:47], v[56:57], off
	global_load_dwordx4 v[48:51], v[64:65], off
	v_lshl_add_u64 v[52:53], v[62:63], 3, s[10:11]
	v_lshl_add_u64 v[54:55], v[60:61], 3, s[10:11]
	;; [unrolled: 1-line block ×3, first 2 shown]
	global_load_dwordx2 v[58:59], v[18:19], off
	global_load_dwordx2 v[60:61], v[22:23], off
	;; [unrolled: 1-line block ×7, first 2 shown]
	v_xor_b32_e32 v16, 0x80000000, v11
	v_mov_b32_e32 v17, v10
	s_waitcnt vmcnt(6)
	v_pk_fma_f32 v[18:19], v[8:9], v[58:59], v[66:67] op_sel_hi:[1,0,1]
	v_pk_fma_f32 v[10:11], v[10:11], v[58:59], v[20:21] op_sel_hi:[1,0,1]
	v_pk_fma_f32 v[8:9], v[8:9], v[58:59], v[18:19] op_sel:[1,1,0] op_sel_hi:[0,1,1] neg_lo:[1,0,0]
	v_pk_fma_f32 v[10:11], v[16:17], v[58:59], v[10:11] op_sel:[0,1,0]
	v_xor_b32_e32 v18, 0x80000000, v35
	v_mov_b32_e32 v19, v34
	s_waitcnt vmcnt(5)
	v_pk_fma_f32 v[8:9], v[32:33], v[60:61], v[8:9] op_sel_hi:[1,0,1]
	v_pk_fma_f32 v[10:11], v[34:35], v[60:61], v[10:11] op_sel_hi:[1,0,1]
	v_pk_fma_f32 v[8:9], v[32:33], v[60:61], v[8:9] op_sel:[1,1,0] op_sel_hi:[0,1,1] neg_lo:[1,0,0]
	v_pk_fma_f32 v[10:11], v[18:19], v[60:61], v[10:11] op_sel:[0,1,0]
	;; [unrolled: 7-line block ×7, first 2 shown]
	s_andn2_b64 exec, exec, s[14:15]
	s_cbranch_execnz .LBB210_13
; %bb.14:
	s_or_b64 exec, exec, s[14:15]
.LBB210_15:
	s_or_b64 exec, exec, s[4:5]
	s_cbranch_execz .LBB210_19
	s_branch .LBB210_24
.LBB210_16:
	v_mov_b64_e32 v[4:5], s[8:9]
	flat_load_dword v3, v[4:5] offset:4
	s_and_b64 vcc, exec, s[4:5]
	v_mov_b32_e32 v4, s6
	s_cbranch_vccnz .LBB210_4
.LBB210_17:
	v_mov_b64_e32 v[4:5], s[6:7]
	flat_load_dword v4, v[4:5]
	s_and_b64 vcc, exec, s[4:5]
	v_mov_b32_e32 v5, s7
	s_cbranch_vccz .LBB210_5
	s_branch .LBB210_6
.LBB210_18:
                                        ; implicit-def: $vgpr11
                                        ; implicit-def: $vgpr9
.LBB210_19:
	v_mov_b32_e32 v11, 0
	v_mov_b32_e32 v10, v11
	v_mov_b32_e32 v9, v11
	v_mov_b32_e32 v8, v11
	s_and_saveexec_b64 s[4:5], s[2:3]
	s_cbranch_execz .LBB210_23
; %bb.20:
	v_mad_u64_u32 v[12:13], s[2:3], v0, 26, 25
	v_mov_b32_e32 v15, 0
	s_mov_b64 s[2:3], 0
	v_mov_b32_e32 v8, v15
	v_mov_b32_e32 v9, v15
	v_mov_b32_e32 v10, v15
	v_mov_b32_e32 v11, v15
.LBB210_21:                             ; =>This Inner Loop Header: Depth=1
	v_ashrrev_i32_e32 v1, 31, v0
	v_subrev_u32_e32 v14, 25, v12
	v_add_u32_e32 v18, -12, v12
	v_mov_b32_e32 v19, v15
	v_mov_b32_e32 v13, v15
	v_lshl_add_u64 v[22:23], v[0:1], 2, s[6:7]
	v_lshl_add_u64 v[24:25], v[14:15], 3, s[8:9]
	;; [unrolled: 1-line block ×4, first 2 shown]
	global_load_dword v1, v[22:23], off
	global_load_dwordx4 v[18:21], v[24:25], off
	global_load_dwordx2 v[32:33], v[28:29], off
	global_load_dwordx2 v[34:35], v[30:31], off
	v_mov_b32_e32 v17, v15
	v_add_u32_e32 v0, 32, v0
	v_cmp_ge_i32_e32 vcc, v0, v26
	s_or_b64 s[2:3], vcc, s[2:3]
	s_waitcnt vmcnt(3)
	v_subrev_u32_e32 v1, s12, v1
	v_mul_lo_u32 v16, v1, 13
	v_lshl_add_u64 v[24:25], v[16:17], 3, s[10:11]
	global_load_dwordx2 v[24:25], v[24:25], off
	v_add_u32_e32 v14, 1, v16
	v_lshl_add_u64 v[28:29], v[14:15], 3, s[10:11]
	global_load_dwordx2 v[28:29], v[28:29], off
	v_add_u32_e32 v14, -11, v12
	v_lshl_add_u64 v[30:31], v[14:15], 3, s[8:9]
	v_subrev_u32_e32 v14, 23, v12
	global_load_dwordx2 v[30:31], v[30:31], off
	v_lshl_add_u64 v[36:37], v[14:15], 3, s[8:9]
	v_add_u32_e32 v14, 2, v16
	v_lshl_add_u64 v[38:39], v[14:15], 3, s[10:11]
	v_add_u32_e32 v14, -10, v12
	global_load_dwordx2 v[36:37], v[36:37], off
	v_lshl_add_u64 v[40:41], v[14:15], 3, s[8:9]
	global_load_dwordx2 v[38:39], v[38:39], off
	v_subrev_u32_e32 v14, 22, v12
	global_load_dwordx2 v[40:41], v[40:41], off
	v_lshl_add_u64 v[42:43], v[14:15], 3, s[8:9]
	global_load_dwordx2 v[42:43], v[42:43], off
	v_add_u32_e32 v14, 3, v16
	v_lshl_add_u64 v[44:45], v[14:15], 3, s[10:11]
	v_add_u32_e32 v14, -9, v12
	global_load_dwordx2 v[44:45], v[44:45], off
	v_lshl_add_u64 v[46:47], v[14:15], 3, s[8:9]
	v_subrev_u32_e32 v14, 21, v12
	global_load_dwordx2 v[46:47], v[46:47], off
	v_lshl_add_u64 v[48:49], v[14:15], 3, s[8:9]
	global_load_dwordx2 v[48:49], v[48:49], off
	v_add_u32_e32 v14, 4, v16
	v_lshl_add_u64 v[50:51], v[14:15], 3, s[10:11]
	v_add_u32_e32 v14, -8, v12
	global_load_dwordx2 v[50:51], v[50:51], off
	v_lshl_add_u64 v[52:53], v[14:15], 3, s[8:9]
	global_load_dwordx2 v[52:53], v[52:53], off
	v_subrev_u32_e32 v14, 20, v12
	v_lshl_add_u64 v[54:55], v[14:15], 3, s[8:9]
	v_add_u32_e32 v14, 5, v16
	v_lshl_add_u64 v[56:57], v[14:15], 3, s[10:11]
	v_add_u32_e32 v14, -7, v12
	v_lshl_add_u64 v[58:59], v[14:15], 3, s[8:9]
	v_subrev_u32_e32 v14, 19, v12
	v_lshl_add_u64 v[60:61], v[14:15], 3, s[8:9]
	v_add_u32_e32 v14, 6, v16
	v_lshl_add_u64 v[62:63], v[14:15], 3, s[10:11]
	v_add_u32_e32 v14, -6, v12
	v_lshl_add_u64 v[64:65], v[14:15], 3, s[8:9]
	v_subrev_u32_e32 v14, 18, v12
	s_waitcnt vmcnt(14)
	v_xor_b32_e32 v22, 0x80000000, v21
	v_mov_b32_e32 v23, v20
	global_load_dwordx2 v[54:55], v[54:55], off
	s_waitcnt vmcnt(12)
	v_pk_fma_f32 v[8:9], v[32:33], v[24:25], v[8:9] op_sel_hi:[1,0,1]
	s_nop 0
	v_pk_fma_f32 v[8:9], v[32:33], v[24:25], v[8:9] op_sel:[1,1,0] op_sel_hi:[0,1,1] neg_lo:[1,0,0]
	v_lshl_add_u64 v[32:33], v[14:15], 3, s[8:9]
	v_add_u32_e32 v14, 7, v16
	v_pk_fma_f32 v[10:11], v[18:19], v[24:25], v[10:11] op_sel_hi:[1,0,1]
	global_load_dwordx2 v[56:57], v[56:57], off
	v_pk_fma_f32 v[10:11], v[18:19], v[24:25], v[10:11] op_sel:[1,1,0] op_sel_hi:[0,1,1] neg_lo:[1,0,0]
	v_lshl_add_u64 v[18:19], v[14:15], 3, s[10:11]
	v_add_u32_e32 v14, -5, v12
	s_waitcnt vmcnt(12)
	v_pk_fma_f32 v[10:11], v[20:21], v[28:29], v[10:11] op_sel_hi:[1,0,1]
	v_lshl_add_u64 v[20:21], v[14:15], 3, s[8:9]
	v_subrev_u32_e32 v14, 17, v12
	global_load_dwordx2 v[58:59], v[58:59], off
	v_pk_fma_f32 v[10:11], v[22:23], v[28:29], v[10:11] op_sel:[0,1,0]
	global_load_dwordx2 v[60:61], v[60:61], off
	s_nop 0
	global_load_dwordx2 v[24:25], v[32:33], off
	v_lshl_add_u64 v[32:33], v[14:15], 3, s[8:9]
	v_add_u32_e32 v14, 8, v16
	v_lshl_add_u64 v[22:23], v[14:15], 3, s[10:11]
	v_add_u32_e32 v14, -4, v12
	s_waitcnt vmcnt(14)
	v_pk_fma_f32 v[8:9], v[30:31], v[28:29], v[8:9] op_sel_hi:[1,0,1]
	global_load_dwordx2 v[62:63], v[62:63], off
	v_pk_fma_f32 v[8:9], v[30:31], v[28:29], v[8:9] op_sel:[1,1,0] op_sel_hi:[0,1,1] neg_lo:[1,0,0]
	global_load_dwordx2 v[64:65], v[64:65], off
	v_lshl_add_u64 v[28:29], v[14:15], 3, s[8:9]
	v_add_u32_e32 v14, -16, v12
	v_lshl_add_u64 v[30:31], v[14:15], 3, s[8:9]
	v_add_u32_e32 v14, 9, v16
	s_waitcnt vmcnt(14)
	v_pk_fma_f32 v[10:11], v[36:37], v[38:39], v[10:11] op_sel_hi:[1,0,1]
	global_load_dwordx2 v[18:19], v[18:19], off
	v_pk_fma_f32 v[10:11], v[36:37], v[38:39], v[10:11] op_sel:[1,1,0] op_sel_hi:[0,1,1] neg_lo:[1,0,0]
	global_load_dwordx2 v[20:21], v[20:21], off
	v_lshl_add_u64 v[36:37], v[14:15], 3, s[10:11]
	v_add_u32_e32 v14, -3, v12
	s_waitcnt vmcnt(15)
	v_pk_fma_f32 v[8:9], v[40:41], v[38:39], v[8:9] op_sel_hi:[1,0,1]
	global_load_dwordx2 v[32:33], v[32:33], off
	v_pk_fma_f32 v[8:9], v[40:41], v[38:39], v[8:9] op_sel:[1,1,0] op_sel_hi:[0,1,1] neg_lo:[1,0,0]
	global_load_dwordx2 v[30:31], v[30:31], off
	v_lshl_add_u64 v[38:39], v[14:15], 3, s[8:9]
	v_add_u32_e32 v14, -15, v12
	global_load_dwordx2 v[22:23], v[22:23], off
	v_lshl_add_u64 v[40:41], v[14:15], 3, s[8:9]
	global_load_dwordx2 v[28:29], v[28:29], off
	v_add_u32_e32 v14, 10, v16
	s_waitcnt vmcnt(17)
	v_pk_fma_f32 v[10:11], v[42:43], v[44:45], v[10:11] op_sel_hi:[1,0,1]
	s_waitcnt vmcnt(16)
	v_pk_fma_f32 v[8:9], v[46:47], v[44:45], v[8:9] op_sel_hi:[1,0,1]
	v_pk_fma_f32 v[10:11], v[42:43], v[44:45], v[10:11] op_sel:[1,1,0] op_sel_hi:[0,1,1] neg_lo:[1,0,0]
	v_lshl_add_u64 v[42:43], v[14:15], 3, s[10:11]
	v_add_u32_e32 v14, -2, v12
	global_load_dwordx2 v[36:37], v[36:37], off
	v_pk_fma_f32 v[8:9], v[46:47], v[44:45], v[8:9] op_sel:[1,1,0] op_sel_hi:[0,1,1] neg_lo:[1,0,0]
	global_load_dwordx2 v[38:39], v[38:39], off
	v_lshl_add_u64 v[44:45], v[14:15], 3, s[8:9]
	global_load_dwordx2 v[40:41], v[40:41], off
	v_add_u32_e32 v14, -14, v12
	v_lshl_add_u64 v[46:47], v[14:15], 3, s[8:9]
	v_add_u32_e32 v14, 11, v16
	s_waitcnt vmcnt(17)
	v_pk_fma_f32 v[10:11], v[48:49], v[50:51], v[10:11] op_sel_hi:[1,0,1]
	global_load_dwordx2 v[42:43], v[42:43], off
	v_pk_fma_f32 v[10:11], v[48:49], v[50:51], v[10:11] op_sel:[1,1,0] op_sel_hi:[0,1,1] neg_lo:[1,0,0]
	global_load_dwordx2 v[44:45], v[44:45], off
	v_lshl_add_u64 v[48:49], v[14:15], 3, s[10:11]
	global_load_dwordx2 v[46:47], v[46:47], off
	v_add_u32_e32 v14, -1, v12
	s_waitcnt vmcnt(19)
	v_pk_fma_f32 v[8:9], v[52:53], v[50:51], v[8:9] op_sel_hi:[1,0,1]
	global_load_dwordx2 v[48:49], v[48:49], off
	v_pk_fma_f32 v[8:9], v[52:53], v[50:51], v[8:9] op_sel:[1,1,0] op_sel_hi:[0,1,1] neg_lo:[1,0,0]
	v_lshl_add_u64 v[50:51], v[14:15], 3, s[8:9]
	v_add_u32_e32 v14, -13, v12
	v_lshl_add_u64 v[52:53], v[14:15], 3, s[8:9]
	v_add_u32_e32 v14, 12, v16
	global_load_dwordx2 v[16:17], v[50:51], off
	v_lshl_add_u64 v[50:51], v[14:15], 3, s[10:11]
	global_load_dwordx2 v[66:67], v[52:53], off
	global_load_dwordx2 v[68:69], v[50:51], off
	v_add_u32_e32 v12, 0x340, v12
	s_waitcnt vmcnt(21)
	v_pk_fma_f32 v[10:11], v[54:55], v[56:57], v[10:11] op_sel_hi:[1,0,1]
	s_nop 0
	v_pk_fma_f32 v[10:11], v[54:55], v[56:57], v[10:11] op_sel:[1,1,0] op_sel_hi:[0,1,1] neg_lo:[1,0,0]
	s_waitcnt vmcnt(20)
	v_pk_fma_f32 v[8:9], v[58:59], v[56:57], v[8:9] op_sel_hi:[1,0,1]
	s_nop 0
	v_pk_fma_f32 v[8:9], v[58:59], v[56:57], v[8:9] op_sel:[1,1,0] op_sel_hi:[0,1,1] neg_lo:[1,0,0]
	;; [unrolled: 4-line block ×3, first 2 shown]
	s_waitcnt vmcnt(16)
	v_pk_fma_f32 v[8:9], v[64:65], v[62:63], v[8:9] op_sel_hi:[1,0,1]
	s_waitcnt vmcnt(15)
	v_pk_fma_f32 v[10:11], v[24:25], v[18:19], v[10:11] op_sel_hi:[1,0,1]
	v_pk_fma_f32 v[8:9], v[64:65], v[62:63], v[8:9] op_sel:[1,1,0] op_sel_hi:[0,1,1] neg_lo:[1,0,0]
	s_waitcnt vmcnt(14)
	v_pk_fma_f32 v[8:9], v[20:21], v[18:19], v[8:9] op_sel_hi:[1,0,1]
	v_pk_fma_f32 v[10:11], v[24:25], v[18:19], v[10:11] op_sel:[1,1,0] op_sel_hi:[0,1,1] neg_lo:[1,0,0]
	v_pk_fma_f32 v[8:9], v[20:21], v[18:19], v[8:9] op_sel:[1,1,0] op_sel_hi:[0,1,1] neg_lo:[1,0,0]
	s_waitcnt vmcnt(11)
	v_pk_fma_f32 v[10:11], v[32:33], v[22:23], v[10:11] op_sel_hi:[1,0,1]
	s_nop 0
	v_pk_fma_f32 v[10:11], v[32:33], v[22:23], v[10:11] op_sel:[1,1,0] op_sel_hi:[0,1,1] neg_lo:[1,0,0]
	s_waitcnt vmcnt(10)
	v_pk_fma_f32 v[8:9], v[28:29], v[22:23], v[8:9] op_sel_hi:[1,0,1]
	s_waitcnt vmcnt(9)
	v_pk_fma_f32 v[10:11], v[30:31], v[36:37], v[10:11] op_sel_hi:[1,0,1]
	v_pk_fma_f32 v[8:9], v[28:29], v[22:23], v[8:9] op_sel:[1,1,0] op_sel_hi:[0,1,1] neg_lo:[1,0,0]
	s_waitcnt vmcnt(8)
	v_pk_fma_f32 v[8:9], v[38:39], v[36:37], v[8:9] op_sel_hi:[1,0,1]
	v_pk_fma_f32 v[10:11], v[30:31], v[36:37], v[10:11] op_sel:[1,1,0] op_sel_hi:[0,1,1] neg_lo:[1,0,0]
	v_pk_fma_f32 v[8:9], v[38:39], v[36:37], v[8:9] op_sel:[1,1,0] op_sel_hi:[0,1,1] neg_lo:[1,0,0]
	s_waitcnt vmcnt(6)
	v_pk_fma_f32 v[10:11], v[40:41], v[42:43], v[10:11] op_sel_hi:[1,0,1]
	s_nop 0
	v_pk_fma_f32 v[10:11], v[40:41], v[42:43], v[10:11] op_sel:[1,1,0] op_sel_hi:[0,1,1] neg_lo:[1,0,0]
	s_waitcnt vmcnt(5)
	v_pk_fma_f32 v[8:9], v[44:45], v[42:43], v[8:9] op_sel_hi:[1,0,1]
	s_waitcnt vmcnt(3)
	v_pk_fma_f32 v[10:11], v[46:47], v[48:49], v[10:11] op_sel_hi:[1,0,1]
	v_pk_fma_f32 v[8:9], v[44:45], v[42:43], v[8:9] op_sel:[1,1,0] op_sel_hi:[0,1,1] neg_lo:[1,0,0]
	v_pk_fma_f32 v[10:11], v[46:47], v[48:49], v[10:11] op_sel:[1,1,0] op_sel_hi:[0,1,1] neg_lo:[1,0,0]
	s_waitcnt vmcnt(2)
	v_pk_fma_f32 v[8:9], v[16:17], v[48:49], v[8:9] op_sel_hi:[1,0,1]
	s_nop 0
	v_pk_fma_f32 v[8:9], v[16:17], v[48:49], v[8:9] op_sel:[1,1,0] op_sel_hi:[0,1,1] neg_lo:[1,0,0]
	s_waitcnt vmcnt(0)
	v_pk_fma_f32 v[10:11], v[66:67], v[68:69], v[10:11] op_sel_hi:[1,0,1]
	v_pk_fma_f32 v[8:9], v[34:35], v[68:69], v[8:9] op_sel_hi:[1,0,1]
	v_pk_fma_f32 v[10:11], v[66:67], v[68:69], v[10:11] op_sel:[1,1,0] op_sel_hi:[0,1,1] neg_lo:[1,0,0]
	v_pk_fma_f32 v[8:9], v[34:35], v[68:69], v[8:9] op_sel:[1,1,0] op_sel_hi:[0,1,1] neg_lo:[1,0,0]
	s_andn2_b64 exec, exec, s[2:3]
	s_cbranch_execnz .LBB210_21
; %bb.22:
	s_or_b64 exec, exec, s[2:3]
.LBB210_23:
	s_or_b64 exec, exec, s[4:5]
.LBB210_24:
	v_mov_b32_dpp v12, v8 row_shr:1 row_mask:0xf bank_mask:0xf
	v_add_f32_e32 v8, v8, v12
	v_mov_b32_dpp v0, v10 row_shr:1 row_mask:0xf bank_mask:0xf
	v_add_f32_e32 v0, v10, v0
	;; [unrolled: 2-line block ×5, first 2 shown]
	v_mov_b32_dpp v1, v0 row_shr:2 row_mask:0xf bank_mask:0xf
	v_mov_b32_dpp v11, v10 row_shr:2 row_mask:0xf bank_mask:0xf
	;; [unrolled: 1-line block ×3, first 2 shown]
	v_add_f32_e32 v13, v8, v12
	v_mov_b32_dpp v8, v9 row_shr:1 row_mask:0xf bank_mask:0xf
	v_add_f32_e32 v8, v9, v8
	v_add_f32_e32 v0, v0, v1
	;; [unrolled: 1-line block ×3, first 2 shown]
	v_mov_b32_dpp v9, v8 row_shr:2 row_mask:0xf bank_mask:0xf
	v_add_f32_e32 v8, v8, v9
	v_mov_b32_dpp v1, v0 row_shr:4 row_mask:0xf bank_mask:0xe
	v_mov_b32_dpp v11, v10 row_shr:4 row_mask:0xf bank_mask:0xe
	;; [unrolled: 1-line block ×3, first 2 shown]
	v_add_f32_e32 v0, v0, v1
	v_add_f32_e32 v10, v10, v11
	;; [unrolled: 1-line block ×3, first 2 shown]
	v_mov_b32_dpp v1, v0 row_shr:8 row_mask:0xf bank_mask:0xc
	v_mov_b32_dpp v11, v10 row_shr:8 row_mask:0xf bank_mask:0xc
	;; [unrolled: 1-line block ×3, first 2 shown]
	v_add_f32_e32 v0, v0, v1
	v_add_f32_e32 v10, v10, v11
	;; [unrolled: 1-line block ×3, first 2 shown]
	v_mov_b32_dpp v1, v0 row_bcast:15 row_mask:0xa bank_mask:0xf
	v_mov_b32_dpp v11, v10 row_bcast:15 row_mask:0xa bank_mask:0xf
	;; [unrolled: 1-line block ×4, first 2 shown]
	v_cmp_eq_u32_e32 vcc, 31, v7
	s_and_b64 exec, exec, vcc
	s_cbranch_execz .LBB210_29
; %bb.25:
	s_load_dwordx2 s[2:3], s[0:1], 0x38
	v_add_f32_e32 v8, v0, v1
	v_and_b32_e32 v1, 0x7fffffff, v4
	v_cmp_eq_u32_e32 vcc, 0, v1
	v_cmp_eq_f32_e64 s[0:1], 0, v5
	v_add_f32_e32 v12, v10, v11
	v_add_f32_e32 v0, v13, v14
	v_add_f32_e32 v10, v9, v15
	s_and_b64 s[0:1], vcc, s[0:1]
	s_and_saveexec_b64 s[4:5], s[0:1]
	s_xor_b64 s[0:1], exec, s[4:5]
	s_cbranch_execz .LBB210_27
; %bb.26:
	v_lshlrev_b32_e32 v4, 1, v6
	v_xor_b32_e32 v14, 0x80000000, v3
	v_ashrrev_i32_e32 v5, 31, v4
	v_mov_b32_e32 v15, v2
	s_waitcnt lgkmcnt(0)
	v_lshl_add_u64 v[16:17], v[4:5], 3, s[2:3]
	v_pk_mul_f32 v[4:5], v[12:13], v[14:15] op_sel_hi:[0,1]
	v_pk_mul_f32 v[6:7], v[10:11], v[14:15] op_sel_hi:[0,1]
	v_pk_fma_f32 v[4:5], v[2:3], v[8:9], v[4:5] op_sel_hi:[1,0,1]
	v_pk_fma_f32 v[6:7], v[2:3], v[0:1], v[6:7] op_sel_hi:[1,0,1]
	global_store_dwordx4 v[16:17], v[4:7], off
                                        ; implicit-def: $vgpr3
                                        ; implicit-def: $vgpr4
                                        ; implicit-def: $vgpr6
                                        ; implicit-def: $vgpr8
                                        ; implicit-def: $vgpr12
                                        ; implicit-def: $vgpr0
                                        ; implicit-def: $vgpr10
.LBB210_27:
	s_andn2_saveexec_b64 s[0:1], s[0:1]
	s_cbranch_execz .LBB210_29
; %bb.28:
	v_lshlrev_b32_e32 v6, 1, v6
	v_ashrrev_i32_e32 v7, 31, v6
	s_waitcnt lgkmcnt(0)
	v_lshl_add_u64 v[6:7], v[6:7], 3, s[2:3]
	global_load_dwordx4 v[14:17], v[6:7], off
	v_xor_b32_e32 v18, 0x80000000, v3
	v_mov_b32_e32 v19, v2
	v_pk_mul_f32 v[12:13], v[12:13], v[18:19] op_sel_hi:[0,1]
	v_pk_mul_f32 v[10:11], v[10:11], v[18:19] op_sel_hi:[0,1]
	v_pk_fma_f32 v[8:9], v[2:3], v[8:9], v[12:13] op_sel_hi:[1,0,1]
	v_pk_fma_f32 v[0:1], v[2:3], v[0:1], v[10:11] op_sel_hi:[1,0,1]
	v_xor_b32_e32 v20, 0x80000000, v5
	v_mov_b32_e32 v21, v4
	s_waitcnt vmcnt(0)
	v_pk_fma_f32 v[2:3], v[4:5], v[14:15], v[8:9] op_sel_hi:[1,0,1]
	v_pk_fma_f32 v[4:5], v[4:5], v[16:17], v[0:1] op_sel_hi:[1,0,1]
	v_mov_b32_e32 v8, v17
	v_pk_fma_f32 v[0:1], v[20:21], v[14:15], v[2:3] op_sel:[0,1,0]
	v_pk_fma_f32 v[2:3], v[20:21], v[8:9], v[4:5] op_sel_hi:[1,0,1]
	global_store_dwordx4 v[6:7], v[0:3], off
.LBB210_29:
	s_endpgm
	.section	.rodata,"a",@progbits
	.p2align	6, 0x0
	.amdhsa_kernel _ZN9rocsparseL19gebsrmvn_2xn_kernelILj128ELj13ELj32E21rocsparse_complex_numIfEEEvi20rocsparse_direction_NS_24const_host_device_scalarIT2_EEPKiS8_PKS5_SA_S6_PS5_21rocsparse_index_base_b
		.amdhsa_group_segment_fixed_size 0
		.amdhsa_private_segment_fixed_size 0
		.amdhsa_kernarg_size 72
		.amdhsa_user_sgpr_count 2
		.amdhsa_user_sgpr_dispatch_ptr 0
		.amdhsa_user_sgpr_queue_ptr 0
		.amdhsa_user_sgpr_kernarg_segment_ptr 1
		.amdhsa_user_sgpr_dispatch_id 0
		.amdhsa_user_sgpr_kernarg_preload_length 0
		.amdhsa_user_sgpr_kernarg_preload_offset 0
		.amdhsa_user_sgpr_private_segment_size 0
		.amdhsa_uses_dynamic_stack 0
		.amdhsa_enable_private_segment 0
		.amdhsa_system_sgpr_workgroup_id_x 1
		.amdhsa_system_sgpr_workgroup_id_y 0
		.amdhsa_system_sgpr_workgroup_id_z 0
		.amdhsa_system_sgpr_workgroup_info 0
		.amdhsa_system_vgpr_workitem_id 0
		.amdhsa_next_free_vgpr 74
		.amdhsa_next_free_sgpr 16
		.amdhsa_accum_offset 76
		.amdhsa_reserve_vcc 1
		.amdhsa_float_round_mode_32 0
		.amdhsa_float_round_mode_16_64 0
		.amdhsa_float_denorm_mode_32 3
		.amdhsa_float_denorm_mode_16_64 3
		.amdhsa_dx10_clamp 1
		.amdhsa_ieee_mode 1
		.amdhsa_fp16_overflow 0
		.amdhsa_tg_split 0
		.amdhsa_exception_fp_ieee_invalid_op 0
		.amdhsa_exception_fp_denorm_src 0
		.amdhsa_exception_fp_ieee_div_zero 0
		.amdhsa_exception_fp_ieee_overflow 0
		.amdhsa_exception_fp_ieee_underflow 0
		.amdhsa_exception_fp_ieee_inexact 0
		.amdhsa_exception_int_div_zero 0
	.end_amdhsa_kernel
	.section	.text._ZN9rocsparseL19gebsrmvn_2xn_kernelILj128ELj13ELj32E21rocsparse_complex_numIfEEEvi20rocsparse_direction_NS_24const_host_device_scalarIT2_EEPKiS8_PKS5_SA_S6_PS5_21rocsparse_index_base_b,"axG",@progbits,_ZN9rocsparseL19gebsrmvn_2xn_kernelILj128ELj13ELj32E21rocsparse_complex_numIfEEEvi20rocsparse_direction_NS_24const_host_device_scalarIT2_EEPKiS8_PKS5_SA_S6_PS5_21rocsparse_index_base_b,comdat
.Lfunc_end210:
	.size	_ZN9rocsparseL19gebsrmvn_2xn_kernelILj128ELj13ELj32E21rocsparse_complex_numIfEEEvi20rocsparse_direction_NS_24const_host_device_scalarIT2_EEPKiS8_PKS5_SA_S6_PS5_21rocsparse_index_base_b, .Lfunc_end210-_ZN9rocsparseL19gebsrmvn_2xn_kernelILj128ELj13ELj32E21rocsparse_complex_numIfEEEvi20rocsparse_direction_NS_24const_host_device_scalarIT2_EEPKiS8_PKS5_SA_S6_PS5_21rocsparse_index_base_b
                                        ; -- End function
	.section	.AMDGPU.csdata,"",@progbits
; Kernel info:
; codeLenInByte = 3712
; NumSgprs: 22
; NumVgprs: 74
; NumAgprs: 0
; TotalNumVgprs: 74
; ScratchSize: 0
; MemoryBound: 0
; FloatMode: 240
; IeeeMode: 1
; LDSByteSize: 0 bytes/workgroup (compile time only)
; SGPRBlocks: 2
; VGPRBlocks: 9
; NumSGPRsForWavesPerEU: 22
; NumVGPRsForWavesPerEU: 74
; AccumOffset: 76
; Occupancy: 6
; WaveLimiterHint : 1
; COMPUTE_PGM_RSRC2:SCRATCH_EN: 0
; COMPUTE_PGM_RSRC2:USER_SGPR: 2
; COMPUTE_PGM_RSRC2:TRAP_HANDLER: 0
; COMPUTE_PGM_RSRC2:TGID_X_EN: 1
; COMPUTE_PGM_RSRC2:TGID_Y_EN: 0
; COMPUTE_PGM_RSRC2:TGID_Z_EN: 0
; COMPUTE_PGM_RSRC2:TIDIG_COMP_CNT: 0
; COMPUTE_PGM_RSRC3_GFX90A:ACCUM_OFFSET: 18
; COMPUTE_PGM_RSRC3_GFX90A:TG_SPLIT: 0
	.section	.text._ZN9rocsparseL19gebsrmvn_2xn_kernelILj128ELj13ELj64E21rocsparse_complex_numIfEEEvi20rocsparse_direction_NS_24const_host_device_scalarIT2_EEPKiS8_PKS5_SA_S6_PS5_21rocsparse_index_base_b,"axG",@progbits,_ZN9rocsparseL19gebsrmvn_2xn_kernelILj128ELj13ELj64E21rocsparse_complex_numIfEEEvi20rocsparse_direction_NS_24const_host_device_scalarIT2_EEPKiS8_PKS5_SA_S6_PS5_21rocsparse_index_base_b,comdat
	.globl	_ZN9rocsparseL19gebsrmvn_2xn_kernelILj128ELj13ELj64E21rocsparse_complex_numIfEEEvi20rocsparse_direction_NS_24const_host_device_scalarIT2_EEPKiS8_PKS5_SA_S6_PS5_21rocsparse_index_base_b ; -- Begin function _ZN9rocsparseL19gebsrmvn_2xn_kernelILj128ELj13ELj64E21rocsparse_complex_numIfEEEvi20rocsparse_direction_NS_24const_host_device_scalarIT2_EEPKiS8_PKS5_SA_S6_PS5_21rocsparse_index_base_b
	.p2align	8
	.type	_ZN9rocsparseL19gebsrmvn_2xn_kernelILj128ELj13ELj64E21rocsparse_complex_numIfEEEvi20rocsparse_direction_NS_24const_host_device_scalarIT2_EEPKiS8_PKS5_SA_S6_PS5_21rocsparse_index_base_b,@function
_ZN9rocsparseL19gebsrmvn_2xn_kernelILj128ELj13ELj64E21rocsparse_complex_numIfEEEvi20rocsparse_direction_NS_24const_host_device_scalarIT2_EEPKiS8_PKS5_SA_S6_PS5_21rocsparse_index_base_b: ; @_ZN9rocsparseL19gebsrmvn_2xn_kernelILj128ELj13ELj64E21rocsparse_complex_numIfEEEvi20rocsparse_direction_NS_24const_host_device_scalarIT2_EEPKiS8_PKS5_SA_S6_PS5_21rocsparse_index_base_b
; %bb.0:
	s_load_dwordx2 s[12:13], s[0:1], 0x40
	s_load_dwordx2 s[8:9], s[0:1], 0x8
	;; [unrolled: 1-line block ×3, first 2 shown]
	s_waitcnt lgkmcnt(0)
	s_bitcmp1_b32 s13, 0
	s_cselect_b64 s[4:5], -1, 0
	s_xor_b64 s[10:11], s[4:5], -1
	s_and_b64 vcc, exec, s[4:5]
	v_mov_b32_e32 v2, s8
	s_cbranch_vccnz .LBB211_2
; %bb.1:
	v_mov_b64_e32 v[2:3], s[8:9]
	flat_load_dword v2, v[2:3]
.LBB211_2:
	v_cndmask_b32_e64 v1, 0, 1, s[10:11]
	v_cmp_ne_u32_e64 s[4:5], 1, v1
	s_andn2_b64 vcc, exec, s[10:11]
	v_mov_b32_e32 v3, s9
	s_cbranch_vccz .LBB211_16
; %bb.3:
	s_and_b64 vcc, exec, s[4:5]
	v_mov_b32_e32 v4, s6
	s_cbranch_vccz .LBB211_17
.LBB211_4:
	s_and_b64 vcc, exec, s[4:5]
	v_mov_b32_e32 v5, s7
	s_cbranch_vccnz .LBB211_6
.LBB211_5:
	v_mov_b64_e32 v[6:7], s[6:7]
	flat_load_dword v5, v[6:7] offset:4
.LBB211_6:
	s_waitcnt vmcnt(0) lgkmcnt(0)
	v_and_b32_e32 v1, 0x7fffffff, v2
	v_cmp_eq_u32_e32 vcc, 0, v1
	v_cmp_eq_f32_e64 s[4:5], 0, v3
	s_and_b64 s[8:9], vcc, s[4:5]
	s_mov_b64 s[4:5], -1
	s_and_saveexec_b64 s[6:7], s[8:9]
; %bb.7:
	v_and_b32_e32 v1, 0x7fffffff, v5
	v_cmp_neq_f32_e32 vcc, 1.0, v4
	v_cmp_ne_u32_e64 s[4:5], 0, v1
	s_or_b64 s[4:5], vcc, s[4:5]
	s_orn2_b64 s[4:5], s[4:5], exec
; %bb.8:
	s_or_b64 exec, exec, s[6:7]
	s_and_saveexec_b64 s[6:7], s[4:5]
	s_cbranch_execz .LBB211_29
; %bb.9:
	s_load_dwordx2 s[14:15], s[0:1], 0x0
	v_lshrrev_b32_e32 v1, 6, v0
	v_lshl_or_b32 v6, s2, 1, v1
	s_waitcnt lgkmcnt(0)
	v_cmp_gt_i32_e32 vcc, s14, v6
	s_and_b64 exec, exec, vcc
	s_cbranch_execz .LBB211_29
; %bb.10:
	s_load_dwordx8 s[4:11], s[0:1], 0x10
	v_ashrrev_i32_e32 v7, 31, v6
	s_cmp_lg_u32 s15, 0
	s_waitcnt lgkmcnt(0)
	v_lshl_add_u64 v[8:9], v[6:7], 2, s[4:5]
	global_load_dwordx2 v[8:9], v[8:9], off
	v_and_b32_e32 v7, 63, v0
	s_waitcnt vmcnt(0)
	v_subrev_u32_e32 v0, s12, v8
	v_subrev_u32_e32 v26, s12, v9
	v_add_u32_e32 v0, v0, v7
	v_cmp_lt_i32_e64 s[2:3], v0, v26
	s_cbranch_scc0 .LBB211_18
; %bb.11:
	v_mov_b32_e32 v11, 0
	v_mov_b32_e32 v10, v11
	;; [unrolled: 1-line block ×4, first 2 shown]
	s_and_saveexec_b64 s[4:5], s[2:3]
	s_cbranch_execz .LBB211_15
; %bb.12:
	v_mov_b32_e32 v13, 0
	v_mul_lo_u32 v12, v0, 26
	s_mov_b64 s[14:15], 0
	v_mov_b32_e32 v14, v0
	v_mov_b32_e32 v8, v13
	;; [unrolled: 1-line block ×5, first 2 shown]
.LBB211_13:                             ; =>This Inner Loop Header: Depth=1
	v_ashrrev_i32_e32 v15, 31, v14
	v_lshl_add_u64 v[58:59], v[14:15], 2, s[6:7]
	global_load_dword v1, v[58:59], off
	v_mov_b32_e32 v17, v13
	v_lshl_add_u64 v[28:29], v[12:13], 3, s[8:9]
	global_load_dwordx4 v[28:31], v[28:29], off
	v_mov_b32_e32 v35, v13
	v_mov_b32_e32 v39, v13
	v_add_u32_e32 v32, 2, v12
	v_mov_b32_e32 v33, v13
	v_add_u32_e32 v36, 4, v12
	;; [unrolled: 2-line block ×3, first 2 shown]
	v_mov_b32_e32 v41, v13
	v_mov_b32_e32 v43, v13
	v_add_u32_e32 v44, 8, v12
	v_mov_b32_e32 v45, v13
	v_mov_b32_e32 v47, v13
	v_add_u32_e32 v48, 10, v12
	v_mov_b32_e32 v49, v13
	v_add_u32_e32 v52, 14, v12
	;; [unrolled: 2-line block ×3, first 2 shown]
	v_mov_b32_e32 v57, v13
	v_mov_b32_e32 v21, v13
	v_add_u32_e32 v50, 12, v12
	v_mov_b32_e32 v51, v13
	v_add_u32_e32 v54, 16, v12
	v_mov_b32_e32 v55, v13
	v_mov_b32_e32 v19, v13
	;; [unrolled: 1-line block ×5, first 2 shown]
	v_add_u32_e32 v14, 64, v14
	v_cmp_ge_i32_e32 vcc, v14, v26
	s_or_b64 s[14:15], vcc, s[14:15]
	s_waitcnt vmcnt(1)
	v_subrev_u32_e32 v1, s12, v1
	v_mul_lo_u32 v16, v1, 13
	v_lshl_add_u64 v[60:61], v[16:17], 3, s[10:11]
	global_load_dwordx2 v[60:61], v[60:61], off
	v_add_u32_e32 v34, 1, v16
	v_add_u32_e32 v38, 2, v16
	v_lshl_add_u64 v[34:35], v[34:35], 3, s[10:11]
	v_lshl_add_u64 v[38:39], v[38:39], 3, s[10:11]
	global_load_dwordx2 v[38:39], v[38:39], off
	s_waitcnt vmcnt(2)
	v_xor_b32_e32 v58, 0x80000000, v31
	global_load_dwordx2 v[34:35], v[34:35], off
	v_mov_b32_e32 v59, v30
	v_add_u32_e32 v42, 3, v16
	v_add_u32_e32 v46, 4, v16
	;; [unrolled: 1-line block ×3, first 2 shown]
	v_lshl_add_u64 v[20:21], v[20:21], 3, s[10:11]
	v_add_u32_e32 v18, 6, v16
	v_add_u32_e32 v22, 7, v16
	;; [unrolled: 1-line block ×4, first 2 shown]
	v_lshl_add_u64 v[18:19], v[18:19], 3, s[10:11]
	v_lshl_add_u64 v[22:23], v[22:23], 3, s[10:11]
	;; [unrolled: 1-line block ×3, first 2 shown]
	s_waitcnt vmcnt(2)
	v_pk_fma_f32 v[10:11], v[28:29], v[60:61], v[10:11] op_sel_hi:[1,0,1]
	v_pk_fma_f32 v[8:9], v[30:31], v[60:61], v[8:9] op_sel_hi:[1,0,1]
	v_pk_fma_f32 v[28:29], v[28:29], v[60:61], v[10:11] op_sel:[1,1,0] op_sel_hi:[0,1,1] neg_lo:[1,0,0]
	v_lshl_add_u64 v[10:11], v[32:33], 3, s[8:9]
	v_pk_fma_f32 v[32:33], v[58:59], v[60:61], v[8:9] op_sel:[0,1,0]
	global_load_dwordx4 v[8:11], v[10:11], off
	v_add_u32_e32 v30, 20, v12
	v_mov_b32_e32 v31, v13
	v_mov_b32_e32 v61, v13
	v_add_u32_e32 v60, 10, v16
	s_waitcnt vmcnt(0)
	v_pk_fma_f32 v[28:29], v[8:9], v[34:35], v[28:29] op_sel_hi:[1,0,1]
	v_xor_b32_e32 v58, 0x80000000, v11
	v_mov_b32_e32 v59, v10
	v_pk_fma_f32 v[10:11], v[10:11], v[34:35], v[32:33] op_sel_hi:[1,0,1]
	v_pk_fma_f32 v[28:29], v[8:9], v[34:35], v[28:29] op_sel:[1,1,0] op_sel_hi:[0,1,1] neg_lo:[1,0,0]
	v_lshl_add_u64 v[8:9], v[36:37], 3, s[8:9]
	v_pk_fma_f32 v[34:35], v[58:59], v[34:35], v[10:11] op_sel:[0,1,0]
	global_load_dwordx4 v[8:11], v[8:9], off
	v_add_u32_e32 v32, 22, v12
	v_mov_b32_e32 v33, v13
	v_mov_b32_e32 v59, v13
	v_add_u32_e32 v58, 11, v16
	v_add_u32_e32 v16, 12, v16
	v_lshl_add_u64 v[16:17], v[16:17], 3, s[10:11]
	s_waitcnt vmcnt(0)
	v_pk_fma_f32 v[28:29], v[8:9], v[38:39], v[28:29] op_sel_hi:[1,0,1]
	v_xor_b32_e32 v36, 0x80000000, v11
	v_mov_b32_e32 v37, v10
	v_pk_fma_f32 v[10:11], v[10:11], v[38:39], v[34:35] op_sel_hi:[1,0,1]
	v_pk_fma_f32 v[28:29], v[8:9], v[38:39], v[28:29] op_sel:[1,1,0] op_sel_hi:[0,1,1] neg_lo:[1,0,0]
	v_lshl_add_u64 v[8:9], v[40:41], 3, s[8:9]
	v_lshl_add_u64 v[40:41], v[42:43], 3, s[10:11]
	v_pk_fma_f32 v[36:37], v[36:37], v[38:39], v[10:11] op_sel:[0,1,0]
	global_load_dwordx4 v[8:11], v[8:9], off
	v_add_u32_e32 v34, 24, v12
	global_load_dwordx2 v[40:41], v[40:41], off
	v_mov_b32_e32 v35, v13
	v_lshl_add_u64 v[64:65], v[34:35], 3, s[8:9]
	v_lshl_add_u64 v[34:35], v[46:47], 3, s[10:11]
	v_add_u32_e32 v12, 0x680, v12
	s_waitcnt vmcnt(1)
	v_xor_b32_e32 v38, 0x80000000, v11
	v_mov_b32_e32 v39, v10
	s_waitcnt vmcnt(0)
	v_pk_fma_f32 v[28:29], v[8:9], v[40:41], v[28:29] op_sel_hi:[1,0,1]
	v_pk_fma_f32 v[36:37], v[10:11], v[40:41], v[36:37] op_sel_hi:[1,0,1]
	v_pk_fma_f32 v[42:43], v[8:9], v[40:41], v[28:29] op_sel:[1,1,0] op_sel_hi:[0,1,1] neg_lo:[1,0,0]
	v_lshl_add_u64 v[8:9], v[44:45], 3, s[8:9]
	v_lshl_add_u64 v[28:29], v[48:49], 3, s[8:9]
	;; [unrolled: 1-line block ×5, first 2 shown]
	global_load_dwordx4 v[8:11], v[8:9], off
	v_pk_fma_f32 v[32:33], v[38:39], v[40:41], v[36:37] op_sel:[0,1,0]
	global_load_dwordx2 v[38:39], v[34:35], off
	v_lshl_add_u64 v[44:45], v[50:51], 3, s[8:9]
	v_lshl_add_u64 v[50:51], v[54:55], 3, s[8:9]
	;; [unrolled: 1-line block ×3, first 2 shown]
	global_load_dwordx4 v[28:31], v[28:29], off
	s_waitcnt vmcnt(2)
	v_xor_b32_e32 v36, 0x80000000, v11
	v_mov_b32_e32 v37, v10
	s_waitcnt vmcnt(1)
	v_pk_fma_f32 v[34:35], v[8:9], v[38:39], v[42:43] op_sel_hi:[1,0,1]
	v_pk_fma_f32 v[40:41], v[10:11], v[38:39], v[32:33] op_sel_hi:[1,0,1]
	v_pk_fma_f32 v[42:43], v[8:9], v[38:39], v[34:35] op_sel:[1,1,0] op_sel_hi:[0,1,1] neg_lo:[1,0,0]
	global_load_dwordx4 v[8:11], v[44:45], off
	global_load_dwordx4 v[32:35], v[48:49], off
	v_pk_fma_f32 v[40:41], v[36:37], v[38:39], v[40:41] op_sel:[0,1,0]
	global_load_dwordx2 v[20:21], v[20:21], off
	s_waitcnt vmcnt(3)
	v_xor_b32_e32 v44, 0x80000000, v31
	global_load_dwordx4 v[36:39], v[50:51], off
	v_mov_b32_e32 v45, v30
	s_waitcnt vmcnt(1)
	v_pk_fma_f32 v[42:43], v[28:29], v[20:21], v[42:43] op_sel_hi:[1,0,1]
	v_pk_fma_f32 v[46:47], v[30:31], v[20:21], v[40:41] op_sel_hi:[1,0,1]
	v_pk_fma_f32 v[66:67], v[28:29], v[20:21], v[42:43] op_sel:[1,1,0] op_sel_hi:[0,1,1] neg_lo:[1,0,0]
	global_load_dwordx4 v[28:31], v[52:53], off
	global_load_dwordx4 v[40:43], v[54:55], off
	v_pk_fma_f32 v[20:21], v[44:45], v[20:21], v[46:47] op_sel:[0,1,0]
	global_load_dwordx4 v[44:47], v[56:57], off
	global_load_dwordx4 v[48:51], v[64:65], off
	v_lshl_add_u64 v[52:53], v[62:63], 3, s[10:11]
	v_lshl_add_u64 v[54:55], v[60:61], 3, s[10:11]
	;; [unrolled: 1-line block ×3, first 2 shown]
	global_load_dwordx2 v[58:59], v[18:19], off
	global_load_dwordx2 v[60:61], v[22:23], off
	;; [unrolled: 1-line block ×7, first 2 shown]
	v_xor_b32_e32 v16, 0x80000000, v11
	v_mov_b32_e32 v17, v10
	s_waitcnt vmcnt(6)
	v_pk_fma_f32 v[18:19], v[8:9], v[58:59], v[66:67] op_sel_hi:[1,0,1]
	v_pk_fma_f32 v[10:11], v[10:11], v[58:59], v[20:21] op_sel_hi:[1,0,1]
	v_pk_fma_f32 v[8:9], v[8:9], v[58:59], v[18:19] op_sel:[1,1,0] op_sel_hi:[0,1,1] neg_lo:[1,0,0]
	v_pk_fma_f32 v[10:11], v[16:17], v[58:59], v[10:11] op_sel:[0,1,0]
	v_xor_b32_e32 v18, 0x80000000, v35
	v_mov_b32_e32 v19, v34
	s_waitcnt vmcnt(5)
	v_pk_fma_f32 v[8:9], v[32:33], v[60:61], v[8:9] op_sel_hi:[1,0,1]
	v_pk_fma_f32 v[10:11], v[34:35], v[60:61], v[10:11] op_sel_hi:[1,0,1]
	v_pk_fma_f32 v[8:9], v[32:33], v[60:61], v[8:9] op_sel:[1,1,0] op_sel_hi:[0,1,1] neg_lo:[1,0,0]
	v_pk_fma_f32 v[10:11], v[18:19], v[60:61], v[10:11] op_sel:[0,1,0]
	;; [unrolled: 7-line block ×7, first 2 shown]
	s_andn2_b64 exec, exec, s[14:15]
	s_cbranch_execnz .LBB211_13
; %bb.14:
	s_or_b64 exec, exec, s[14:15]
.LBB211_15:
	s_or_b64 exec, exec, s[4:5]
	s_cbranch_execz .LBB211_19
	s_branch .LBB211_24
.LBB211_16:
	v_mov_b64_e32 v[4:5], s[8:9]
	flat_load_dword v3, v[4:5] offset:4
	s_and_b64 vcc, exec, s[4:5]
	v_mov_b32_e32 v4, s6
	s_cbranch_vccnz .LBB211_4
.LBB211_17:
	v_mov_b64_e32 v[4:5], s[6:7]
	flat_load_dword v4, v[4:5]
	s_and_b64 vcc, exec, s[4:5]
	v_mov_b32_e32 v5, s7
	s_cbranch_vccz .LBB211_5
	s_branch .LBB211_6
.LBB211_18:
                                        ; implicit-def: $vgpr11
                                        ; implicit-def: $vgpr9
.LBB211_19:
	v_mov_b32_e32 v11, 0
	v_mov_b32_e32 v10, v11
	;; [unrolled: 1-line block ×4, first 2 shown]
	s_and_saveexec_b64 s[4:5], s[2:3]
	s_cbranch_execz .LBB211_23
; %bb.20:
	v_mad_u64_u32 v[12:13], s[2:3], v0, 26, 25
	v_mov_b32_e32 v15, 0
	s_mov_b64 s[2:3], 0
	v_mov_b32_e32 v8, v15
	v_mov_b32_e32 v9, v15
	;; [unrolled: 1-line block ×4, first 2 shown]
.LBB211_21:                             ; =>This Inner Loop Header: Depth=1
	v_ashrrev_i32_e32 v1, 31, v0
	v_subrev_u32_e32 v14, 25, v12
	v_add_u32_e32 v18, -12, v12
	v_mov_b32_e32 v19, v15
	v_mov_b32_e32 v13, v15
	v_lshl_add_u64 v[22:23], v[0:1], 2, s[6:7]
	v_lshl_add_u64 v[24:25], v[14:15], 3, s[8:9]
	;; [unrolled: 1-line block ×4, first 2 shown]
	global_load_dword v1, v[22:23], off
	global_load_dwordx4 v[18:21], v[24:25], off
	global_load_dwordx2 v[32:33], v[28:29], off
	global_load_dwordx2 v[34:35], v[30:31], off
	v_mov_b32_e32 v17, v15
	v_add_u32_e32 v0, 64, v0
	v_cmp_ge_i32_e32 vcc, v0, v26
	s_or_b64 s[2:3], vcc, s[2:3]
	s_waitcnt vmcnt(3)
	v_subrev_u32_e32 v1, s12, v1
	v_mul_lo_u32 v16, v1, 13
	v_lshl_add_u64 v[24:25], v[16:17], 3, s[10:11]
	global_load_dwordx2 v[24:25], v[24:25], off
	v_add_u32_e32 v14, 1, v16
	v_lshl_add_u64 v[28:29], v[14:15], 3, s[10:11]
	global_load_dwordx2 v[28:29], v[28:29], off
	v_add_u32_e32 v14, -11, v12
	v_lshl_add_u64 v[30:31], v[14:15], 3, s[8:9]
	v_subrev_u32_e32 v14, 23, v12
	global_load_dwordx2 v[30:31], v[30:31], off
	v_lshl_add_u64 v[36:37], v[14:15], 3, s[8:9]
	v_add_u32_e32 v14, 2, v16
	v_lshl_add_u64 v[38:39], v[14:15], 3, s[10:11]
	v_add_u32_e32 v14, -10, v12
	global_load_dwordx2 v[36:37], v[36:37], off
	v_lshl_add_u64 v[40:41], v[14:15], 3, s[8:9]
	global_load_dwordx2 v[38:39], v[38:39], off
	v_subrev_u32_e32 v14, 22, v12
	global_load_dwordx2 v[40:41], v[40:41], off
	v_lshl_add_u64 v[42:43], v[14:15], 3, s[8:9]
	global_load_dwordx2 v[42:43], v[42:43], off
	v_add_u32_e32 v14, 3, v16
	v_lshl_add_u64 v[44:45], v[14:15], 3, s[10:11]
	v_add_u32_e32 v14, -9, v12
	global_load_dwordx2 v[44:45], v[44:45], off
	v_lshl_add_u64 v[46:47], v[14:15], 3, s[8:9]
	v_subrev_u32_e32 v14, 21, v12
	global_load_dwordx2 v[46:47], v[46:47], off
	v_lshl_add_u64 v[48:49], v[14:15], 3, s[8:9]
	global_load_dwordx2 v[48:49], v[48:49], off
	v_add_u32_e32 v14, 4, v16
	v_lshl_add_u64 v[50:51], v[14:15], 3, s[10:11]
	v_add_u32_e32 v14, -8, v12
	global_load_dwordx2 v[50:51], v[50:51], off
	v_lshl_add_u64 v[52:53], v[14:15], 3, s[8:9]
	global_load_dwordx2 v[52:53], v[52:53], off
	v_subrev_u32_e32 v14, 20, v12
	v_lshl_add_u64 v[54:55], v[14:15], 3, s[8:9]
	v_add_u32_e32 v14, 5, v16
	v_lshl_add_u64 v[56:57], v[14:15], 3, s[10:11]
	v_add_u32_e32 v14, -7, v12
	v_lshl_add_u64 v[58:59], v[14:15], 3, s[8:9]
	v_subrev_u32_e32 v14, 19, v12
	v_lshl_add_u64 v[60:61], v[14:15], 3, s[8:9]
	v_add_u32_e32 v14, 6, v16
	v_lshl_add_u64 v[62:63], v[14:15], 3, s[10:11]
	v_add_u32_e32 v14, -6, v12
	v_lshl_add_u64 v[64:65], v[14:15], 3, s[8:9]
	v_subrev_u32_e32 v14, 18, v12
	s_waitcnt vmcnt(14)
	v_xor_b32_e32 v22, 0x80000000, v21
	v_mov_b32_e32 v23, v20
	global_load_dwordx2 v[54:55], v[54:55], off
	s_waitcnt vmcnt(12)
	v_pk_fma_f32 v[8:9], v[32:33], v[24:25], v[8:9] op_sel_hi:[1,0,1]
	s_nop 0
	v_pk_fma_f32 v[8:9], v[32:33], v[24:25], v[8:9] op_sel:[1,1,0] op_sel_hi:[0,1,1] neg_lo:[1,0,0]
	v_lshl_add_u64 v[32:33], v[14:15], 3, s[8:9]
	v_add_u32_e32 v14, 7, v16
	v_pk_fma_f32 v[10:11], v[18:19], v[24:25], v[10:11] op_sel_hi:[1,0,1]
	global_load_dwordx2 v[56:57], v[56:57], off
	v_pk_fma_f32 v[10:11], v[18:19], v[24:25], v[10:11] op_sel:[1,1,0] op_sel_hi:[0,1,1] neg_lo:[1,0,0]
	v_lshl_add_u64 v[18:19], v[14:15], 3, s[10:11]
	v_add_u32_e32 v14, -5, v12
	s_waitcnt vmcnt(12)
	v_pk_fma_f32 v[10:11], v[20:21], v[28:29], v[10:11] op_sel_hi:[1,0,1]
	v_lshl_add_u64 v[20:21], v[14:15], 3, s[8:9]
	v_subrev_u32_e32 v14, 17, v12
	global_load_dwordx2 v[58:59], v[58:59], off
	v_pk_fma_f32 v[10:11], v[22:23], v[28:29], v[10:11] op_sel:[0,1,0]
	global_load_dwordx2 v[60:61], v[60:61], off
	s_nop 0
	global_load_dwordx2 v[24:25], v[32:33], off
	v_lshl_add_u64 v[32:33], v[14:15], 3, s[8:9]
	v_add_u32_e32 v14, 8, v16
	v_lshl_add_u64 v[22:23], v[14:15], 3, s[10:11]
	v_add_u32_e32 v14, -4, v12
	s_waitcnt vmcnt(14)
	v_pk_fma_f32 v[8:9], v[30:31], v[28:29], v[8:9] op_sel_hi:[1,0,1]
	global_load_dwordx2 v[62:63], v[62:63], off
	v_pk_fma_f32 v[8:9], v[30:31], v[28:29], v[8:9] op_sel:[1,1,0] op_sel_hi:[0,1,1] neg_lo:[1,0,0]
	global_load_dwordx2 v[64:65], v[64:65], off
	v_lshl_add_u64 v[28:29], v[14:15], 3, s[8:9]
	v_add_u32_e32 v14, -16, v12
	v_lshl_add_u64 v[30:31], v[14:15], 3, s[8:9]
	v_add_u32_e32 v14, 9, v16
	s_waitcnt vmcnt(14)
	v_pk_fma_f32 v[10:11], v[36:37], v[38:39], v[10:11] op_sel_hi:[1,0,1]
	global_load_dwordx2 v[18:19], v[18:19], off
	v_pk_fma_f32 v[10:11], v[36:37], v[38:39], v[10:11] op_sel:[1,1,0] op_sel_hi:[0,1,1] neg_lo:[1,0,0]
	global_load_dwordx2 v[20:21], v[20:21], off
	v_lshl_add_u64 v[36:37], v[14:15], 3, s[10:11]
	v_add_u32_e32 v14, -3, v12
	s_waitcnt vmcnt(15)
	v_pk_fma_f32 v[8:9], v[40:41], v[38:39], v[8:9] op_sel_hi:[1,0,1]
	global_load_dwordx2 v[32:33], v[32:33], off
	v_pk_fma_f32 v[8:9], v[40:41], v[38:39], v[8:9] op_sel:[1,1,0] op_sel_hi:[0,1,1] neg_lo:[1,0,0]
	global_load_dwordx2 v[30:31], v[30:31], off
	v_lshl_add_u64 v[38:39], v[14:15], 3, s[8:9]
	v_add_u32_e32 v14, -15, v12
	global_load_dwordx2 v[22:23], v[22:23], off
	v_lshl_add_u64 v[40:41], v[14:15], 3, s[8:9]
	global_load_dwordx2 v[28:29], v[28:29], off
	v_add_u32_e32 v14, 10, v16
	s_waitcnt vmcnt(17)
	v_pk_fma_f32 v[10:11], v[42:43], v[44:45], v[10:11] op_sel_hi:[1,0,1]
	s_waitcnt vmcnt(16)
	v_pk_fma_f32 v[8:9], v[46:47], v[44:45], v[8:9] op_sel_hi:[1,0,1]
	v_pk_fma_f32 v[10:11], v[42:43], v[44:45], v[10:11] op_sel:[1,1,0] op_sel_hi:[0,1,1] neg_lo:[1,0,0]
	v_lshl_add_u64 v[42:43], v[14:15], 3, s[10:11]
	v_add_u32_e32 v14, -2, v12
	global_load_dwordx2 v[36:37], v[36:37], off
	v_pk_fma_f32 v[8:9], v[46:47], v[44:45], v[8:9] op_sel:[1,1,0] op_sel_hi:[0,1,1] neg_lo:[1,0,0]
	global_load_dwordx2 v[38:39], v[38:39], off
	v_lshl_add_u64 v[44:45], v[14:15], 3, s[8:9]
	global_load_dwordx2 v[40:41], v[40:41], off
	v_add_u32_e32 v14, -14, v12
	v_lshl_add_u64 v[46:47], v[14:15], 3, s[8:9]
	v_add_u32_e32 v14, 11, v16
	s_waitcnt vmcnt(17)
	v_pk_fma_f32 v[10:11], v[48:49], v[50:51], v[10:11] op_sel_hi:[1,0,1]
	global_load_dwordx2 v[42:43], v[42:43], off
	v_pk_fma_f32 v[10:11], v[48:49], v[50:51], v[10:11] op_sel:[1,1,0] op_sel_hi:[0,1,1] neg_lo:[1,0,0]
	global_load_dwordx2 v[44:45], v[44:45], off
	v_lshl_add_u64 v[48:49], v[14:15], 3, s[10:11]
	global_load_dwordx2 v[46:47], v[46:47], off
	v_add_u32_e32 v14, -1, v12
	s_waitcnt vmcnt(19)
	v_pk_fma_f32 v[8:9], v[52:53], v[50:51], v[8:9] op_sel_hi:[1,0,1]
	global_load_dwordx2 v[48:49], v[48:49], off
	v_pk_fma_f32 v[8:9], v[52:53], v[50:51], v[8:9] op_sel:[1,1,0] op_sel_hi:[0,1,1] neg_lo:[1,0,0]
	v_lshl_add_u64 v[50:51], v[14:15], 3, s[8:9]
	v_add_u32_e32 v14, -13, v12
	v_lshl_add_u64 v[52:53], v[14:15], 3, s[8:9]
	v_add_u32_e32 v14, 12, v16
	global_load_dwordx2 v[16:17], v[50:51], off
	v_lshl_add_u64 v[50:51], v[14:15], 3, s[10:11]
	global_load_dwordx2 v[66:67], v[52:53], off
	global_load_dwordx2 v[68:69], v[50:51], off
	v_add_u32_e32 v12, 0x680, v12
	s_waitcnt vmcnt(21)
	v_pk_fma_f32 v[10:11], v[54:55], v[56:57], v[10:11] op_sel_hi:[1,0,1]
	s_nop 0
	v_pk_fma_f32 v[10:11], v[54:55], v[56:57], v[10:11] op_sel:[1,1,0] op_sel_hi:[0,1,1] neg_lo:[1,0,0]
	s_waitcnt vmcnt(20)
	v_pk_fma_f32 v[8:9], v[58:59], v[56:57], v[8:9] op_sel_hi:[1,0,1]
	s_nop 0
	v_pk_fma_f32 v[8:9], v[58:59], v[56:57], v[8:9] op_sel:[1,1,0] op_sel_hi:[0,1,1] neg_lo:[1,0,0]
	;; [unrolled: 4-line block ×3, first 2 shown]
	s_waitcnt vmcnt(16)
	v_pk_fma_f32 v[8:9], v[64:65], v[62:63], v[8:9] op_sel_hi:[1,0,1]
	s_waitcnt vmcnt(15)
	v_pk_fma_f32 v[10:11], v[24:25], v[18:19], v[10:11] op_sel_hi:[1,0,1]
	v_pk_fma_f32 v[8:9], v[64:65], v[62:63], v[8:9] op_sel:[1,1,0] op_sel_hi:[0,1,1] neg_lo:[1,0,0]
	s_waitcnt vmcnt(14)
	v_pk_fma_f32 v[8:9], v[20:21], v[18:19], v[8:9] op_sel_hi:[1,0,1]
	v_pk_fma_f32 v[10:11], v[24:25], v[18:19], v[10:11] op_sel:[1,1,0] op_sel_hi:[0,1,1] neg_lo:[1,0,0]
	v_pk_fma_f32 v[8:9], v[20:21], v[18:19], v[8:9] op_sel:[1,1,0] op_sel_hi:[0,1,1] neg_lo:[1,0,0]
	s_waitcnt vmcnt(11)
	v_pk_fma_f32 v[10:11], v[32:33], v[22:23], v[10:11] op_sel_hi:[1,0,1]
	s_nop 0
	v_pk_fma_f32 v[10:11], v[32:33], v[22:23], v[10:11] op_sel:[1,1,0] op_sel_hi:[0,1,1] neg_lo:[1,0,0]
	s_waitcnt vmcnt(10)
	v_pk_fma_f32 v[8:9], v[28:29], v[22:23], v[8:9] op_sel_hi:[1,0,1]
	s_waitcnt vmcnt(9)
	v_pk_fma_f32 v[10:11], v[30:31], v[36:37], v[10:11] op_sel_hi:[1,0,1]
	v_pk_fma_f32 v[8:9], v[28:29], v[22:23], v[8:9] op_sel:[1,1,0] op_sel_hi:[0,1,1] neg_lo:[1,0,0]
	s_waitcnt vmcnt(8)
	v_pk_fma_f32 v[8:9], v[38:39], v[36:37], v[8:9] op_sel_hi:[1,0,1]
	v_pk_fma_f32 v[10:11], v[30:31], v[36:37], v[10:11] op_sel:[1,1,0] op_sel_hi:[0,1,1] neg_lo:[1,0,0]
	v_pk_fma_f32 v[8:9], v[38:39], v[36:37], v[8:9] op_sel:[1,1,0] op_sel_hi:[0,1,1] neg_lo:[1,0,0]
	s_waitcnt vmcnt(6)
	v_pk_fma_f32 v[10:11], v[40:41], v[42:43], v[10:11] op_sel_hi:[1,0,1]
	s_nop 0
	v_pk_fma_f32 v[10:11], v[40:41], v[42:43], v[10:11] op_sel:[1,1,0] op_sel_hi:[0,1,1] neg_lo:[1,0,0]
	s_waitcnt vmcnt(5)
	v_pk_fma_f32 v[8:9], v[44:45], v[42:43], v[8:9] op_sel_hi:[1,0,1]
	s_waitcnt vmcnt(3)
	v_pk_fma_f32 v[10:11], v[46:47], v[48:49], v[10:11] op_sel_hi:[1,0,1]
	v_pk_fma_f32 v[8:9], v[44:45], v[42:43], v[8:9] op_sel:[1,1,0] op_sel_hi:[0,1,1] neg_lo:[1,0,0]
	v_pk_fma_f32 v[10:11], v[46:47], v[48:49], v[10:11] op_sel:[1,1,0] op_sel_hi:[0,1,1] neg_lo:[1,0,0]
	s_waitcnt vmcnt(2)
	v_pk_fma_f32 v[8:9], v[16:17], v[48:49], v[8:9] op_sel_hi:[1,0,1]
	s_nop 0
	v_pk_fma_f32 v[8:9], v[16:17], v[48:49], v[8:9] op_sel:[1,1,0] op_sel_hi:[0,1,1] neg_lo:[1,0,0]
	s_waitcnt vmcnt(0)
	v_pk_fma_f32 v[10:11], v[66:67], v[68:69], v[10:11] op_sel_hi:[1,0,1]
	v_pk_fma_f32 v[8:9], v[34:35], v[68:69], v[8:9] op_sel_hi:[1,0,1]
	v_pk_fma_f32 v[10:11], v[66:67], v[68:69], v[10:11] op_sel:[1,1,0] op_sel_hi:[0,1,1] neg_lo:[1,0,0]
	v_pk_fma_f32 v[8:9], v[34:35], v[68:69], v[8:9] op_sel:[1,1,0] op_sel_hi:[0,1,1] neg_lo:[1,0,0]
	s_andn2_b64 exec, exec, s[2:3]
	s_cbranch_execnz .LBB211_21
; %bb.22:
	s_or_b64 exec, exec, s[2:3]
.LBB211_23:
	s_or_b64 exec, exec, s[4:5]
.LBB211_24:
	v_mov_b32_dpp v12, v8 row_shr:1 row_mask:0xf bank_mask:0xf
	v_add_f32_e32 v8, v8, v12
	v_mov_b32_dpp v0, v10 row_shr:1 row_mask:0xf bank_mask:0xf
	v_add_f32_e32 v0, v10, v0
	;; [unrolled: 2-line block ×5, first 2 shown]
	v_mov_b32_dpp v1, v0 row_shr:2 row_mask:0xf bank_mask:0xf
	v_mov_b32_dpp v11, v10 row_shr:2 row_mask:0xf bank_mask:0xf
	;; [unrolled: 1-line block ×3, first 2 shown]
	v_add_f32_e32 v8, v8, v12
	v_add_f32_e32 v0, v0, v1
	;; [unrolled: 1-line block ×3, first 2 shown]
	v_mov_b32_dpp v12, v8 row_bcast:15 row_mask:0xa bank_mask:0xf
	v_add_f32_e32 v13, v8, v12
	v_mov_b32_dpp v8, v9 row_shr:1 row_mask:0xf bank_mask:0xf
	v_add_f32_e32 v8, v9, v8
	v_mov_b32_dpp v1, v0 row_shr:4 row_mask:0xf bank_mask:0xe
	v_mov_b32_dpp v11, v10 row_shr:4 row_mask:0xf bank_mask:0xe
	;; [unrolled: 1-line block ×3, first 2 shown]
	v_add_f32_e32 v8, v8, v9
	v_add_f32_e32 v0, v0, v1
	;; [unrolled: 1-line block ×3, first 2 shown]
	v_mov_b32_dpp v9, v8 row_shr:4 row_mask:0xf bank_mask:0xe
	v_add_f32_e32 v8, v8, v9
	v_mov_b32_dpp v1, v0 row_shr:8 row_mask:0xf bank_mask:0xc
	v_mov_b32_dpp v11, v10 row_shr:8 row_mask:0xf bank_mask:0xc
	;; [unrolled: 1-line block ×3, first 2 shown]
	v_add_f32_e32 v0, v0, v1
	v_add_f32_e32 v10, v10, v11
	;; [unrolled: 1-line block ×3, first 2 shown]
	v_mov_b32_dpp v1, v0 row_bcast:15 row_mask:0xa bank_mask:0xf
	v_mov_b32_dpp v11, v10 row_bcast:15 row_mask:0xa bank_mask:0xf
	;; [unrolled: 1-line block ×3, first 2 shown]
	v_add_f32_e32 v0, v0, v1
	v_add_f32_e32 v10, v10, v11
	;; [unrolled: 1-line block ×3, first 2 shown]
	v_mov_b32_dpp v1, v0 row_bcast:31 row_mask:0xc bank_mask:0xf
	v_mov_b32_dpp v11, v10 row_bcast:31 row_mask:0xc bank_mask:0xf
	;; [unrolled: 1-line block ×4, first 2 shown]
	v_cmp_eq_u32_e32 vcc, 63, v7
	s_and_b64 exec, exec, vcc
	s_cbranch_execz .LBB211_29
; %bb.25:
	s_load_dwordx2 s[2:3], s[0:1], 0x38
	v_add_f32_e32 v8, v0, v1
	v_and_b32_e32 v1, 0x7fffffff, v4
	v_cmp_eq_u32_e32 vcc, 0, v1
	v_cmp_eq_f32_e64 s[0:1], 0, v5
	v_add_f32_e32 v12, v10, v11
	v_add_f32_e32 v0, v13, v14
	;; [unrolled: 1-line block ×3, first 2 shown]
	s_and_b64 s[0:1], vcc, s[0:1]
	s_and_saveexec_b64 s[4:5], s[0:1]
	s_xor_b64 s[0:1], exec, s[4:5]
	s_cbranch_execz .LBB211_27
; %bb.26:
	v_lshlrev_b32_e32 v4, 1, v6
	v_xor_b32_e32 v14, 0x80000000, v3
	v_ashrrev_i32_e32 v5, 31, v4
	v_mov_b32_e32 v15, v2
	s_waitcnt lgkmcnt(0)
	v_lshl_add_u64 v[16:17], v[4:5], 3, s[2:3]
	v_pk_mul_f32 v[4:5], v[12:13], v[14:15] op_sel_hi:[0,1]
	v_pk_mul_f32 v[6:7], v[10:11], v[14:15] op_sel_hi:[0,1]
	v_pk_fma_f32 v[4:5], v[2:3], v[8:9], v[4:5] op_sel_hi:[1,0,1]
	v_pk_fma_f32 v[6:7], v[2:3], v[0:1], v[6:7] op_sel_hi:[1,0,1]
	global_store_dwordx4 v[16:17], v[4:7], off
                                        ; implicit-def: $vgpr3
                                        ; implicit-def: $vgpr4
                                        ; implicit-def: $vgpr6
                                        ; implicit-def: $vgpr8
                                        ; implicit-def: $vgpr12
                                        ; implicit-def: $vgpr0
                                        ; implicit-def: $vgpr10
.LBB211_27:
	s_andn2_saveexec_b64 s[0:1], s[0:1]
	s_cbranch_execz .LBB211_29
; %bb.28:
	v_lshlrev_b32_e32 v6, 1, v6
	v_ashrrev_i32_e32 v7, 31, v6
	s_waitcnt lgkmcnt(0)
	v_lshl_add_u64 v[6:7], v[6:7], 3, s[2:3]
	global_load_dwordx4 v[14:17], v[6:7], off
	v_xor_b32_e32 v18, 0x80000000, v3
	v_mov_b32_e32 v19, v2
	v_pk_mul_f32 v[12:13], v[12:13], v[18:19] op_sel_hi:[0,1]
	v_pk_mul_f32 v[10:11], v[10:11], v[18:19] op_sel_hi:[0,1]
	v_pk_fma_f32 v[8:9], v[2:3], v[8:9], v[12:13] op_sel_hi:[1,0,1]
	v_pk_fma_f32 v[0:1], v[2:3], v[0:1], v[10:11] op_sel_hi:[1,0,1]
	v_xor_b32_e32 v20, 0x80000000, v5
	v_mov_b32_e32 v21, v4
	s_waitcnt vmcnt(0)
	v_pk_fma_f32 v[2:3], v[4:5], v[14:15], v[8:9] op_sel_hi:[1,0,1]
	v_pk_fma_f32 v[4:5], v[4:5], v[16:17], v[0:1] op_sel_hi:[1,0,1]
	v_mov_b32_e32 v8, v17
	v_pk_fma_f32 v[0:1], v[20:21], v[14:15], v[2:3] op_sel:[0,1,0]
	v_pk_fma_f32 v[2:3], v[20:21], v[8:9], v[4:5] op_sel_hi:[1,0,1]
	global_store_dwordx4 v[6:7], v[0:3], off
.LBB211_29:
	s_endpgm
	.section	.rodata,"a",@progbits
	.p2align	6, 0x0
	.amdhsa_kernel _ZN9rocsparseL19gebsrmvn_2xn_kernelILj128ELj13ELj64E21rocsparse_complex_numIfEEEvi20rocsparse_direction_NS_24const_host_device_scalarIT2_EEPKiS8_PKS5_SA_S6_PS5_21rocsparse_index_base_b
		.amdhsa_group_segment_fixed_size 0
		.amdhsa_private_segment_fixed_size 0
		.amdhsa_kernarg_size 72
		.amdhsa_user_sgpr_count 2
		.amdhsa_user_sgpr_dispatch_ptr 0
		.amdhsa_user_sgpr_queue_ptr 0
		.amdhsa_user_sgpr_kernarg_segment_ptr 1
		.amdhsa_user_sgpr_dispatch_id 0
		.amdhsa_user_sgpr_kernarg_preload_length 0
		.amdhsa_user_sgpr_kernarg_preload_offset 0
		.amdhsa_user_sgpr_private_segment_size 0
		.amdhsa_uses_dynamic_stack 0
		.amdhsa_enable_private_segment 0
		.amdhsa_system_sgpr_workgroup_id_x 1
		.amdhsa_system_sgpr_workgroup_id_y 0
		.amdhsa_system_sgpr_workgroup_id_z 0
		.amdhsa_system_sgpr_workgroup_info 0
		.amdhsa_system_vgpr_workitem_id 0
		.amdhsa_next_free_vgpr 74
		.amdhsa_next_free_sgpr 16
		.amdhsa_accum_offset 76
		.amdhsa_reserve_vcc 1
		.amdhsa_float_round_mode_32 0
		.amdhsa_float_round_mode_16_64 0
		.amdhsa_float_denorm_mode_32 3
		.amdhsa_float_denorm_mode_16_64 3
		.amdhsa_dx10_clamp 1
		.amdhsa_ieee_mode 1
		.amdhsa_fp16_overflow 0
		.amdhsa_tg_split 0
		.amdhsa_exception_fp_ieee_invalid_op 0
		.amdhsa_exception_fp_denorm_src 0
		.amdhsa_exception_fp_ieee_div_zero 0
		.amdhsa_exception_fp_ieee_overflow 0
		.amdhsa_exception_fp_ieee_underflow 0
		.amdhsa_exception_fp_ieee_inexact 0
		.amdhsa_exception_int_div_zero 0
	.end_amdhsa_kernel
	.section	.text._ZN9rocsparseL19gebsrmvn_2xn_kernelILj128ELj13ELj64E21rocsparse_complex_numIfEEEvi20rocsparse_direction_NS_24const_host_device_scalarIT2_EEPKiS8_PKS5_SA_S6_PS5_21rocsparse_index_base_b,"axG",@progbits,_ZN9rocsparseL19gebsrmvn_2xn_kernelILj128ELj13ELj64E21rocsparse_complex_numIfEEEvi20rocsparse_direction_NS_24const_host_device_scalarIT2_EEPKiS8_PKS5_SA_S6_PS5_21rocsparse_index_base_b,comdat
.Lfunc_end211:
	.size	_ZN9rocsparseL19gebsrmvn_2xn_kernelILj128ELj13ELj64E21rocsparse_complex_numIfEEEvi20rocsparse_direction_NS_24const_host_device_scalarIT2_EEPKiS8_PKS5_SA_S6_PS5_21rocsparse_index_base_b, .Lfunc_end211-_ZN9rocsparseL19gebsrmvn_2xn_kernelILj128ELj13ELj64E21rocsparse_complex_numIfEEEvi20rocsparse_direction_NS_24const_host_device_scalarIT2_EEPKiS8_PKS5_SA_S6_PS5_21rocsparse_index_base_b
                                        ; -- End function
	.section	.AMDGPU.csdata,"",@progbits
; Kernel info:
; codeLenInByte = 3760
; NumSgprs: 22
; NumVgprs: 74
; NumAgprs: 0
; TotalNumVgprs: 74
; ScratchSize: 0
; MemoryBound: 0
; FloatMode: 240
; IeeeMode: 1
; LDSByteSize: 0 bytes/workgroup (compile time only)
; SGPRBlocks: 2
; VGPRBlocks: 9
; NumSGPRsForWavesPerEU: 22
; NumVGPRsForWavesPerEU: 74
; AccumOffset: 76
; Occupancy: 6
; WaveLimiterHint : 1
; COMPUTE_PGM_RSRC2:SCRATCH_EN: 0
; COMPUTE_PGM_RSRC2:USER_SGPR: 2
; COMPUTE_PGM_RSRC2:TRAP_HANDLER: 0
; COMPUTE_PGM_RSRC2:TGID_X_EN: 1
; COMPUTE_PGM_RSRC2:TGID_Y_EN: 0
; COMPUTE_PGM_RSRC2:TGID_Z_EN: 0
; COMPUTE_PGM_RSRC2:TIDIG_COMP_CNT: 0
; COMPUTE_PGM_RSRC3_GFX90A:ACCUM_OFFSET: 18
; COMPUTE_PGM_RSRC3_GFX90A:TG_SPLIT: 0
	.section	.text._ZN9rocsparseL19gebsrmvn_2xn_kernelILj128ELj14ELj4E21rocsparse_complex_numIfEEEvi20rocsparse_direction_NS_24const_host_device_scalarIT2_EEPKiS8_PKS5_SA_S6_PS5_21rocsparse_index_base_b,"axG",@progbits,_ZN9rocsparseL19gebsrmvn_2xn_kernelILj128ELj14ELj4E21rocsparse_complex_numIfEEEvi20rocsparse_direction_NS_24const_host_device_scalarIT2_EEPKiS8_PKS5_SA_S6_PS5_21rocsparse_index_base_b,comdat
	.globl	_ZN9rocsparseL19gebsrmvn_2xn_kernelILj128ELj14ELj4E21rocsparse_complex_numIfEEEvi20rocsparse_direction_NS_24const_host_device_scalarIT2_EEPKiS8_PKS5_SA_S6_PS5_21rocsparse_index_base_b ; -- Begin function _ZN9rocsparseL19gebsrmvn_2xn_kernelILj128ELj14ELj4E21rocsparse_complex_numIfEEEvi20rocsparse_direction_NS_24const_host_device_scalarIT2_EEPKiS8_PKS5_SA_S6_PS5_21rocsparse_index_base_b
	.p2align	8
	.type	_ZN9rocsparseL19gebsrmvn_2xn_kernelILj128ELj14ELj4E21rocsparse_complex_numIfEEEvi20rocsparse_direction_NS_24const_host_device_scalarIT2_EEPKiS8_PKS5_SA_S6_PS5_21rocsparse_index_base_b,@function
_ZN9rocsparseL19gebsrmvn_2xn_kernelILj128ELj14ELj4E21rocsparse_complex_numIfEEEvi20rocsparse_direction_NS_24const_host_device_scalarIT2_EEPKiS8_PKS5_SA_S6_PS5_21rocsparse_index_base_b: ; @_ZN9rocsparseL19gebsrmvn_2xn_kernelILj128ELj14ELj4E21rocsparse_complex_numIfEEEvi20rocsparse_direction_NS_24const_host_device_scalarIT2_EEPKiS8_PKS5_SA_S6_PS5_21rocsparse_index_base_b
; %bb.0:
	s_load_dwordx2 s[12:13], s[0:1], 0x40
	s_load_dwordx2 s[8:9], s[0:1], 0x8
	;; [unrolled: 1-line block ×3, first 2 shown]
	s_waitcnt lgkmcnt(0)
	s_bitcmp1_b32 s13, 0
	s_cselect_b64 s[4:5], -1, 0
	s_xor_b64 s[10:11], s[4:5], -1
	s_and_b64 vcc, exec, s[4:5]
	v_mov_b32_e32 v2, s8
	s_cbranch_vccnz .LBB212_2
; %bb.1:
	v_mov_b64_e32 v[2:3], s[8:9]
	flat_load_dword v2, v[2:3]
.LBB212_2:
	v_cndmask_b32_e64 v1, 0, 1, s[10:11]
	v_cmp_ne_u32_e64 s[4:5], 1, v1
	s_andn2_b64 vcc, exec, s[10:11]
	v_mov_b32_e32 v3, s9
	s_cbranch_vccz .LBB212_16
; %bb.3:
	s_and_b64 vcc, exec, s[4:5]
	v_mov_b32_e32 v4, s6
	s_cbranch_vccz .LBB212_17
.LBB212_4:
	s_and_b64 vcc, exec, s[4:5]
	v_mov_b32_e32 v5, s7
	s_cbranch_vccnz .LBB212_6
.LBB212_5:
	v_mov_b64_e32 v[6:7], s[6:7]
	flat_load_dword v5, v[6:7] offset:4
.LBB212_6:
	s_waitcnt vmcnt(0) lgkmcnt(0)
	v_and_b32_e32 v1, 0x7fffffff, v2
	v_cmp_eq_u32_e32 vcc, 0, v1
	v_cmp_eq_f32_e64 s[4:5], 0, v3
	s_and_b64 s[8:9], vcc, s[4:5]
	s_mov_b64 s[4:5], -1
	s_and_saveexec_b64 s[6:7], s[8:9]
; %bb.7:
	v_and_b32_e32 v1, 0x7fffffff, v5
	v_cmp_neq_f32_e32 vcc, 1.0, v4
	v_cmp_ne_u32_e64 s[4:5], 0, v1
	s_or_b64 s[4:5], vcc, s[4:5]
	s_orn2_b64 s[4:5], s[4:5], exec
; %bb.8:
	s_or_b64 exec, exec, s[6:7]
	s_and_saveexec_b64 s[6:7], s[4:5]
	s_cbranch_execz .LBB212_29
; %bb.9:
	s_load_dwordx2 s[14:15], s[0:1], 0x0
	v_lshrrev_b32_e32 v1, 2, v0
	v_lshl_or_b32 v6, s2, 5, v1
	s_waitcnt lgkmcnt(0)
	v_cmp_gt_i32_e32 vcc, s14, v6
	s_and_b64 exec, exec, vcc
	s_cbranch_execz .LBB212_29
; %bb.10:
	s_load_dwordx8 s[4:11], s[0:1], 0x10
	v_ashrrev_i32_e32 v7, 31, v6
	s_cmp_lg_u32 s15, 0
	s_waitcnt lgkmcnt(0)
	v_lshl_add_u64 v[8:9], v[6:7], 2, s[4:5]
	global_load_dwordx2 v[8:9], v[8:9], off
	v_and_b32_e32 v7, 3, v0
	s_waitcnt vmcnt(0)
	v_subrev_u32_e32 v0, s12, v8
	v_subrev_u32_e32 v24, s12, v9
	v_add_u32_e32 v0, v0, v7
	v_cmp_lt_i32_e64 s[2:3], v0, v24
	s_cbranch_scc0 .LBB212_18
; %bb.11:
	v_mov_b32_e32 v11, 0
	v_mov_b32_e32 v10, v11
	;; [unrolled: 1-line block ×4, first 2 shown]
	s_and_saveexec_b64 s[4:5], s[2:3]
	s_cbranch_execz .LBB212_15
; %bb.12:
	v_mov_b32_e32 v13, 0
	v_mul_lo_u32 v12, v0, 28
	s_mov_b64 s[14:15], 0
	v_mov_b32_e32 v14, v0
	v_mov_b32_e32 v8, v13
	;; [unrolled: 1-line block ×5, first 2 shown]
.LBB212_13:                             ; =>This Inner Loop Header: Depth=1
	v_ashrrev_i32_e32 v15, 31, v14
	v_lshl_add_u64 v[34:35], v[12:13], 3, s[8:9]
	v_add_u32_e32 v36, 4, v12
	v_mov_b32_e32 v37, v13
	v_add_u32_e32 v38, 8, v12
	v_mov_b32_e32 v39, v13
	;; [unrolled: 2-line block ×6, first 2 shown]
	v_lshl_add_u64 v[66:67], v[14:15], 2, s[6:7]
	global_load_dwordx4 v[26:29], v[34:35], off offset:16
	global_load_dwordx4 v[30:33], v[34:35], off
	v_lshl_add_u64 v[68:69], v[36:37], 3, s[8:9]
	v_lshl_add_u64 v[76:77], v[38:39], 3, s[8:9]
	;; [unrolled: 1-line block ×6, first 2 shown]
	global_load_dword v1, v[66:67], off
	global_load_dwordx4 v[34:37], v[68:69], off offset:16
	global_load_dwordx4 v[38:41], v[68:69], off
	global_load_dwordx4 v[42:45], v[76:77], off offset:16
	global_load_dwordx4 v[46:49], v[76:77], off
	;; [unrolled: 2-line block ×4, first 2 shown]
	v_mov_b32_e32 v17, v13
	v_mov_b32_e32 v19, v13
	v_mov_b32_e32 v21, v13
	v_mov_b32_e32 v23, v13
	v_mov_b32_e32 v71, v13
	v_mov_b32_e32 v73, v13
	v_mov_b32_e32 v75, v13
	v_add_u32_e32 v14, 4, v14
	v_cmp_ge_i32_e32 vcc, v14, v24
	v_add_u32_e32 v12, 0x70, v12
	s_or_b64 s[14:15], vcc, s[14:15]
	s_waitcnt vmcnt(8)
	v_subrev_u32_e32 v1, s12, v1
	v_mul_lo_u32 v16, v1, 14
	v_lshl_add_u64 v[66:67], v[16:17], 3, s[10:11]
	global_load_dwordx4 v[66:69], v[66:67], off
	v_xor_b32_e32 v76, 0x80000000, v33
	v_mov_b32_e32 v77, v32
	v_add_u32_e32 v18, 2, v16
	v_add_u32_e32 v20, 4, v16
	;; [unrolled: 1-line block ×3, first 2 shown]
	v_lshl_add_u64 v[86:87], v[18:19], 3, s[10:11]
	v_add_u32_e32 v70, 8, v16
	v_add_u32_e32 v72, 10, v16
	;; [unrolled: 1-line block ×3, first 2 shown]
	v_lshl_add_u64 v[88:89], v[20:21], 3, s[10:11]
	v_lshl_add_u64 v[90:91], v[22:23], 3, s[10:11]
	v_lshl_add_u64 v[70:71], v[70:71], 3, s[10:11]
	v_lshl_add_u64 v[72:73], v[72:73], 3, s[10:11]
	v_lshl_add_u64 v[74:75], v[74:75], 3, s[10:11]
	s_waitcnt vmcnt(0)
	v_pk_fma_f32 v[10:11], v[30:31], v[66:67], v[10:11] op_sel_hi:[1,0,1]
	v_pk_fma_f32 v[78:79], v[32:33], v[66:67], v[8:9] op_sel_hi:[1,0,1]
	v_pk_fma_f32 v[80:81], v[30:31], v[66:67], v[10:11] op_sel:[1,1,0] op_sel_hi:[0,1,1] neg_lo:[1,0,0]
	v_pk_fma_f32 v[66:67], v[76:77], v[66:67], v[78:79] op_sel:[0,1,0]
	v_pk_fma_f32 v[78:79], v[26:27], v[68:69], v[80:81] op_sel_hi:[1,0,1]
	v_pk_fma_f32 v[66:67], v[28:29], v[68:69], v[66:67] op_sel_hi:[1,0,1]
	v_mov_b32_e32 v68, v69
	global_load_dwordx4 v[8:11], v[82:83], off offset:16
	global_load_dwordx4 v[30:33], v[82:83], off
	v_xor_b32_e32 v76, 0x80000000, v29
	v_mov_b32_e32 v77, v28
	v_pk_fma_f32 v[78:79], v[26:27], v[68:69], v[78:79] op_sel:[1,0,0] op_sel_hi:[0,0,1] neg_lo:[1,0,0]
	global_load_dwordx4 v[26:29], v[84:85], off
	global_load_dwordx4 v[16:19], v[86:87], off
	;; [unrolled: 1-line block ×3, first 2 shown]
	v_pk_fma_f32 v[66:67], v[76:77], v[68:69], v[66:67] op_sel_hi:[1,0,1]
	v_xor_b32_e32 v80, 0x80000000, v41
	v_mov_b32_e32 v81, v40
	v_xor_b32_e32 v82, 0x80000000, v37
	v_mov_b32_e32 v83, v36
	s_waitcnt vmcnt(1)
	v_pk_fma_f32 v[68:69], v[38:39], v[16:17], v[78:79] op_sel_hi:[1,0,1]
	v_pk_fma_f32 v[76:77], v[40:41], v[16:17], v[66:67] op_sel_hi:[1,0,1]
	v_pk_fma_f32 v[78:79], v[38:39], v[16:17], v[68:69] op_sel:[1,1,0] op_sel_hi:[0,1,1] neg_lo:[1,0,0]
	global_load_dwordx4 v[38:41], v[90:91], off
	global_load_dwordx4 v[66:69], v[70:71], off
	v_pk_fma_f32 v[16:17], v[80:81], v[16:17], v[76:77] op_sel:[0,1,0]
	global_load_dwordx4 v[70:73], v[72:73], off
	v_pk_fma_f32 v[76:77], v[34:35], v[18:19], v[78:79] op_sel_hi:[1,0,1]
	v_pk_fma_f32 v[78:79], v[36:37], v[18:19], v[16:17] op_sel_hi:[1,0,1]
	v_mov_b32_e32 v80, v19
	global_load_dwordx4 v[16:19], v[74:75], off
	v_pk_fma_f32 v[74:75], v[34:35], v[80:81], v[76:77] op_sel:[1,0,0] op_sel_hi:[0,0,1] neg_lo:[1,0,0]
	global_load_dwordx4 v[34:37], v[84:85], off offset:16
	v_pk_fma_f32 v[78:79], v[82:83], v[80:81], v[78:79] op_sel_hi:[1,0,1]
	v_xor_b32_e32 v76, 0x80000000, v49
	v_mov_b32_e32 v77, v48
	s_waitcnt vmcnt(5)
	v_pk_fma_f32 v[74:75], v[46:47], v[20:21], v[74:75] op_sel_hi:[1,0,1]
	v_pk_fma_f32 v[48:49], v[48:49], v[20:21], v[78:79] op_sel_hi:[1,0,1]
	v_pk_fma_f32 v[46:47], v[46:47], v[20:21], v[74:75] op_sel:[1,1,0] op_sel_hi:[0,1,1] neg_lo:[1,0,0]
	v_pk_fma_f32 v[20:21], v[76:77], v[20:21], v[48:49] op_sel:[0,1,0]
	v_xor_b32_e32 v80, 0x80000000, v45
	v_mov_b32_e32 v81, v44
	v_pk_fma_f32 v[46:47], v[42:43], v[22:23], v[46:47] op_sel_hi:[1,0,1]
	v_pk_fma_f32 v[20:21], v[44:45], v[22:23], v[20:21] op_sel_hi:[1,0,1]
	v_mov_b32_e32 v22, v23
	v_pk_fma_f32 v[42:43], v[42:43], v[22:23], v[46:47] op_sel:[1,0,0] op_sel_hi:[0,0,1] neg_lo:[1,0,0]
	v_pk_fma_f32 v[20:21], v[80:81], v[22:23], v[20:21] op_sel_hi:[1,0,1]
	v_xor_b32_e32 v82, 0x80000000, v57
	v_mov_b32_e32 v83, v56
	v_xor_b32_e32 v74, 0x80000000, v53
	v_mov_b32_e32 v75, v52
	;; [unrolled: 2-line block ×7, first 2 shown]
	s_waitcnt vmcnt(4)
	v_pk_fma_f32 v[42:43], v[54:55], v[38:39], v[42:43] op_sel_hi:[1,0,1]
	v_pk_fma_f32 v[20:21], v[56:57], v[38:39], v[20:21] op_sel_hi:[1,0,1]
	v_pk_fma_f32 v[42:43], v[54:55], v[38:39], v[42:43] op_sel:[1,1,0] op_sel_hi:[0,1,1] neg_lo:[1,0,0]
	v_pk_fma_f32 v[20:21], v[82:83], v[38:39], v[20:21] op_sel:[0,1,0]
	v_mov_b32_e32 v80, v41
	v_pk_fma_f32 v[42:43], v[50:51], v[40:41], v[42:43] op_sel_hi:[1,0,1]
	v_pk_fma_f32 v[20:21], v[52:53], v[40:41], v[20:21] op_sel_hi:[1,0,1]
	v_pk_fma_f32 v[40:41], v[50:51], v[80:81], v[42:43] op_sel:[1,0,0] op_sel_hi:[0,0,1] neg_lo:[1,0,0]
	v_pk_fma_f32 v[20:21], v[74:75], v[80:81], v[20:21] op_sel_hi:[1,0,1]
	s_waitcnt vmcnt(3)
	v_pk_fma_f32 v[40:41], v[62:63], v[66:67], v[40:41] op_sel_hi:[1,0,1]
	v_pk_fma_f32 v[20:21], v[64:65], v[66:67], v[20:21] op_sel_hi:[1,0,1]
	v_pk_fma_f32 v[40:41], v[62:63], v[66:67], v[40:41] op_sel:[1,1,0] op_sel_hi:[0,1,1] neg_lo:[1,0,0]
	v_pk_fma_f32 v[20:21], v[78:79], v[66:67], v[20:21] op_sel:[0,1,0]
	v_mov_b32_e32 v54, v69
	v_pk_fma_f32 v[40:41], v[58:59], v[68:69], v[40:41] op_sel_hi:[1,0,1]
	v_pk_fma_f32 v[20:21], v[60:61], v[68:69], v[20:21] op_sel_hi:[1,0,1]
	v_pk_fma_f32 v[40:41], v[58:59], v[54:55], v[40:41] op_sel:[1,0,0] op_sel_hi:[0,0,1] neg_lo:[1,0,0]
	v_pk_fma_f32 v[20:21], v[48:49], v[54:55], v[20:21] op_sel_hi:[1,0,1]
	;; [unrolled: 10-line block ×3, first 2 shown]
	s_waitcnt vmcnt(1)
	v_pk_fma_f32 v[8:9], v[26:27], v[16:17], v[8:9] op_sel_hi:[1,0,1]
	v_pk_fma_f32 v[10:11], v[28:29], v[16:17], v[10:11] op_sel_hi:[1,0,1]
	v_pk_fma_f32 v[8:9], v[26:27], v[16:17], v[8:9] op_sel:[1,1,0] op_sel_hi:[0,1,1] neg_lo:[1,0,0]
	v_pk_fma_f32 v[10:11], v[76:77], v[16:17], v[10:11] op_sel:[0,1,0]
	s_waitcnt vmcnt(0)
	v_xor_b32_e32 v22, 0x80000000, v37
	v_mov_b32_e32 v23, v36
	v_mov_b32_e32 v38, v19
	v_pk_fma_f32 v[8:9], v[34:35], v[18:19], v[8:9] op_sel_hi:[1,0,1]
	v_pk_fma_f32 v[16:17], v[36:37], v[18:19], v[10:11] op_sel_hi:[1,0,1]
	v_pk_fma_f32 v[10:11], v[34:35], v[38:39], v[8:9] op_sel:[1,0,0] op_sel_hi:[0,0,1] neg_lo:[1,0,0]
	v_pk_fma_f32 v[8:9], v[22:23], v[38:39], v[16:17] op_sel_hi:[1,0,1]
	s_andn2_b64 exec, exec, s[14:15]
	s_cbranch_execnz .LBB212_13
; %bb.14:
	s_or_b64 exec, exec, s[14:15]
.LBB212_15:
	s_or_b64 exec, exec, s[4:5]
	s_cbranch_execz .LBB212_19
	s_branch .LBB212_24
.LBB212_16:
	v_mov_b64_e32 v[4:5], s[8:9]
	flat_load_dword v3, v[4:5] offset:4
	s_and_b64 vcc, exec, s[4:5]
	v_mov_b32_e32 v4, s6
	s_cbranch_vccnz .LBB212_4
.LBB212_17:
	v_mov_b64_e32 v[4:5], s[6:7]
	flat_load_dword v4, v[4:5]
	s_and_b64 vcc, exec, s[4:5]
	v_mov_b32_e32 v5, s7
	s_cbranch_vccz .LBB212_5
	s_branch .LBB212_6
.LBB212_18:
                                        ; implicit-def: $vgpr11
                                        ; implicit-def: $vgpr9
.LBB212_19:
	v_mov_b32_e32 v11, 0
	v_mov_b32_e32 v10, v11
	;; [unrolled: 1-line block ×4, first 2 shown]
	s_and_saveexec_b64 s[4:5], s[2:3]
	s_cbranch_execz .LBB212_23
; %bb.20:
	v_mad_u64_u32 v[12:13], s[2:3], v0, 28, 27
	v_mov_b32_e32 v15, 0
	s_mov_b64 s[2:3], 0
	v_mov_b32_e32 v8, v15
	v_mov_b32_e32 v9, v15
	;; [unrolled: 1-line block ×4, first 2 shown]
.LBB212_21:                             ; =>This Inner Loop Header: Depth=1
	v_ashrrev_i32_e32 v1, 31, v0
	v_subrev_u32_e32 v14, 27, v12
	v_add_u32_e32 v18, -13, v12
	v_mov_b32_e32 v19, v15
	v_lshl_add_u64 v[22:23], v[0:1], 2, s[6:7]
	v_lshl_add_u64 v[30:31], v[14:15], 3, s[8:9]
	;; [unrolled: 1-line block ×3, first 2 shown]
	global_load_dword v1, v[22:23], off
	global_load_dwordx4 v[18:21], v[30:31], off
	global_load_dwordx4 v[26:29], v[30:31], off offset:16
	v_mov_b32_e32 v17, v15
	v_add_u32_e32 v14, -12, v12
	v_lshl_add_u64 v[22:23], v[14:15], 3, s[8:9]
	global_load_dwordx2 v[40:41], v[32:33], off
	global_load_dwordx2 v[42:43], v[22:23], off
	v_mov_b32_e32 v13, v15
	v_lshl_add_u64 v[38:39], v[12:13], 3, s[8:9]
	v_add_u32_e32 v0, 4, v0
	v_cmp_ge_i32_e32 vcc, v0, v24
	s_or_b64 s[2:3], vcc, s[2:3]
	s_waitcnt vmcnt(4)
	v_subrev_u32_e32 v1, s12, v1
	v_mul_lo_u32 v16, v1, 14
	v_lshl_add_u64 v[30:31], v[16:17], 3, s[10:11]
	global_load_dwordx4 v[30:33], v[30:31], off
	v_add_u32_e32 v14, 2, v16
	v_lshl_add_u64 v[34:35], v[14:15], 3, s[10:11]
	global_load_dwordx4 v[34:37], v[34:35], off
	v_add_u32_e32 v14, -11, v12
	v_lshl_add_u64 v[46:47], v[14:15], 3, s[8:9]
	global_load_dwordx2 v[46:47], v[46:47], off
	v_add_u32_e32 v14, -10, v12
	v_lshl_add_u64 v[48:49], v[14:15], 3, s[8:9]
	global_load_dwordx2 v[48:49], v[48:49], off
	v_subrev_u32_e32 v14, 23, v12
	v_lshl_add_u64 v[50:51], v[14:15], 3, s[8:9]
	global_load_dwordx2 v[50:51], v[50:51], off
	v_add_u32_e32 v14, 4, v16
	s_waitcnt vmcnt(8)
	v_xor_b32_e32 v22, 0x80000000, v21
	v_mov_b32_e32 v23, v20
	v_lshl_add_u64 v[52:53], v[14:15], 3, s[10:11]
	v_add_u32_e32 v14, -9, v12
	v_lshl_add_u64 v[54:55], v[14:15], 3, s[8:9]
	v_subrev_u32_e32 v14, 22, v12
	v_lshl_add_u64 v[56:57], v[14:15], 3, s[8:9]
	v_add_u32_e32 v14, -8, v12
	v_lshl_add_u64 v[58:59], v[14:15], 3, s[8:9]
	v_subrev_u32_e32 v14, 21, v12
	v_lshl_add_u64 v[60:61], v[14:15], 3, s[8:9]
	v_add_u32_e32 v14, 6, v16
	v_lshl_add_u64 v[62:63], v[14:15], 3, s[10:11]
	v_add_u32_e32 v14, -7, v12
	v_lshl_add_u64 v[64:65], v[14:15], 3, s[8:9]
	v_subrev_u32_e32 v14, 20, v12
	v_lshl_add_u64 v[66:67], v[14:15], 3, s[8:9]
	v_add_u32_e32 v14, -6, v12
	v_lshl_add_u64 v[68:69], v[14:15], 3, s[8:9]
	v_subrev_u32_e32 v14, 19, v12
	v_lshl_add_u64 v[70:71], v[14:15], 3, s[8:9]
	v_add_u32_e32 v14, 8, v16
	v_lshl_add_u64 v[72:73], v[14:15], 3, s[10:11]
	v_add_u32_e32 v14, -5, v12
	v_lshl_add_u64 v[74:75], v[14:15], 3, s[8:9]
	v_subrev_u32_e32 v14, 18, v12
	v_lshl_add_u64 v[76:77], v[14:15], 3, s[8:9]
	v_add_u32_e32 v14, -4, v12
	s_waitcnt vmcnt(7)
	v_xor_b32_e32 v44, 0x80000000, v29
	v_mov_b32_e32 v45, v28
	s_waitcnt vmcnt(4)
	v_pk_fma_f32 v[10:11], v[18:19], v[30:31], v[10:11] op_sel_hi:[1,0,1]
	s_nop 0
	v_pk_fma_f32 v[10:11], v[18:19], v[30:31], v[10:11] op_sel:[1,1,0] op_sel_hi:[0,1,1] neg_lo:[1,0,0]
	v_pk_fma_f32 v[8:9], v[40:41], v[30:31], v[8:9] op_sel_hi:[1,0,1]
	v_pk_fma_f32 v[10:11], v[20:21], v[32:33], v[10:11] op_sel_hi:[1,0,1]
	v_pk_fma_f32 v[8:9], v[40:41], v[30:31], v[8:9] op_sel:[1,1,0] op_sel_hi:[0,1,1] neg_lo:[1,0,0]
	v_mov_b32_e32 v18, v33
	v_pk_fma_f32 v[8:9], v[42:43], v[32:33], v[8:9] op_sel_hi:[1,0,1]
	v_pk_fma_f32 v[10:11], v[22:23], v[18:19], v[10:11] op_sel_hi:[1,0,1]
	v_pk_fma_f32 v[18:19], v[42:43], v[18:19], v[8:9] op_sel:[1,0,0] op_sel_hi:[0,0,1] neg_lo:[1,0,0]
	s_waitcnt vmcnt(3)
	v_pk_fma_f32 v[8:9], v[26:27], v[34:35], v[10:11] op_sel_hi:[1,0,1]
	v_lshl_add_u64 v[30:31], v[14:15], 3, s[8:9]
	v_pk_fma_f32 v[8:9], v[26:27], v[34:35], v[8:9] op_sel:[1,1,0] op_sel_hi:[0,1,1] neg_lo:[1,0,0]
	v_pk_fma_f32 v[26:27], v[28:29], v[36:37], v[8:9] op_sel_hi:[1,0,1]
	global_load_dwordx4 v[8:11], v[52:53], off
	global_load_dwordx2 v[84:85], v[54:55], off
	global_load_dwordx2 v[86:87], v[56:57], off
	global_load_dwordx2 v[88:89], v[58:59], off
	global_load_dwordx2 v[90:91], v[60:61], off
	v_subrev_u32_e32 v14, 17, v12
	v_lshl_add_u64 v[32:33], v[14:15], 3, s[8:9]
	v_add_u32_e32 v14, 10, v16
	v_lshl_add_u64 v[40:41], v[14:15], 3, s[10:11]
	v_add_u32_e32 v14, -3, v12
	v_lshl_add_u64 v[42:43], v[14:15], 3, s[8:9]
	v_add_u32_e32 v14, -16, v12
	;; [unrolled: 2-line block ×4, first 2 shown]
	v_lshl_add_u64 v[82:83], v[14:15], 3, s[8:9]
	v_add_u32_e32 v14, 12, v16
	s_waitcnt vmcnt(7)
	v_pk_fma_f32 v[16:17], v[46:47], v[34:35], v[18:19] op_sel_hi:[1,0,1]
	s_nop 0
	v_pk_fma_f32 v[20:21], v[46:47], v[34:35], v[16:17] op_sel:[1,1,0] op_sel_hi:[0,1,1] neg_lo:[1,0,0]
	global_load_dwordx4 v[16:19], v[62:63], off
	global_load_dwordx2 v[34:35], v[64:65], off
	global_load_dwordx2 v[46:47], v[66:67], off
	;; [unrolled: 1-line block ×4, first 2 shown]
	s_waitcnt vmcnt(11)
	v_pk_fma_f32 v[56:57], v[48:49], v[36:37], v[20:21] op_sel_hi:[1,0,1]
	global_load_dwordx4 v[20:23], v[72:73], off
	global_load_dwordx2 v[58:59], v[74:75], off
	global_load_dwordx2 v[60:61], v[76:77], off
	;; [unrolled: 1-line block ×4, first 2 shown]
	v_mov_b32_e32 v36, v37
	v_pk_fma_f32 v[44:45], v[44:45], v[36:37], v[26:27] op_sel_hi:[1,0,1]
	global_load_dwordx4 v[26:29], v[40:41], off
	global_load_dwordx2 v[66:67], v[42:43], off
	global_load_dwordx2 v[68:69], v[78:79], off
	;; [unrolled: 1-line block ×3, first 2 shown]
	v_lshl_add_u64 v[30:31], v[14:15], 3, s[10:11]
	v_add_u32_e32 v14, -1, v12
	v_pk_fma_f32 v[36:37], v[48:49], v[36:37], v[56:57] op_sel:[1,0,0] op_sel_hi:[0,0,1] neg_lo:[1,0,0]
	global_load_dwordx2 v[40:41], v[82:83], off
	s_waitcnt vmcnt(19)
	v_pk_fma_f32 v[42:43], v[50:51], v[8:9], v[44:45] op_sel_hi:[1,0,1]
	v_lshl_add_u64 v[44:45], v[14:15], 3, s[8:9]
	global_load_dwordx2 v[44:45], v[44:45], off
	v_add_u32_e32 v14, -14, v12
	global_load_dwordx4 v[30:33], v[30:31], off
	s_waitcnt vmcnt(20)
	v_pk_fma_f32 v[36:37], v[84:85], v[8:9], v[36:37] op_sel_hi:[1,0,1]
	v_pk_fma_f32 v[42:43], v[50:51], v[8:9], v[42:43] op_sel:[1,1,0] op_sel_hi:[0,1,1] neg_lo:[1,0,0]
	v_pk_fma_f32 v[8:9], v[84:85], v[8:9], v[36:37] op_sel:[1,1,0] op_sel_hi:[0,1,1] neg_lo:[1,0,0]
	v_lshl_add_u64 v[36:37], v[14:15], 3, s[8:9]
	global_load_dwordx2 v[48:49], v[36:37], off
	global_load_dwordx2 v[50:51], v[38:39], off
	s_waitcnt vmcnt(21)
	v_pk_fma_f32 v[36:37], v[86:87], v[10:11], v[42:43] op_sel_hi:[1,0,1]
	s_waitcnt vmcnt(20)
	v_pk_fma_f32 v[8:9], v[88:89], v[10:11], v[8:9] op_sel_hi:[1,0,1]
	v_mov_b32_e32 v10, v11
	v_pk_fma_f32 v[36:37], v[86:87], v[10:11], v[36:37] op_sel:[1,0,0] op_sel_hi:[0,0,1] neg_lo:[1,0,0]
	v_pk_fma_f32 v[8:9], v[88:89], v[10:11], v[8:9] op_sel:[1,0,0] op_sel_hi:[0,0,1] neg_lo:[1,0,0]
	v_add_u32_e32 v12, 0x70, v12
	s_waitcnt vmcnt(18)
	v_pk_fma_f32 v[10:11], v[90:91], v[16:17], v[36:37] op_sel_hi:[1,0,1]
	s_waitcnt vmcnt(17)
	v_pk_fma_f32 v[8:9], v[34:35], v[16:17], v[8:9] op_sel_hi:[1,0,1]
	v_pk_fma_f32 v[10:11], v[90:91], v[16:17], v[10:11] op_sel:[1,1,0] op_sel_hi:[0,1,1] neg_lo:[1,0,0]
	v_pk_fma_f32 v[8:9], v[34:35], v[16:17], v[8:9] op_sel:[1,1,0] op_sel_hi:[0,1,1] neg_lo:[1,0,0]
	v_mov_b32_e32 v14, v19
	s_waitcnt vmcnt(16)
	v_pk_fma_f32 v[10:11], v[46:47], v[18:19], v[10:11] op_sel_hi:[1,0,1]
	s_waitcnt vmcnt(15)
	v_pk_fma_f32 v[8:9], v[52:53], v[18:19], v[8:9] op_sel_hi:[1,0,1]
	v_pk_fma_f32 v[10:11], v[46:47], v[14:15], v[10:11] op_sel:[1,0,0] op_sel_hi:[0,0,1] neg_lo:[1,0,0]
	v_pk_fma_f32 v[8:9], v[52:53], v[14:15], v[8:9] op_sel:[1,0,0] op_sel_hi:[0,0,1] neg_lo:[1,0,0]
	s_waitcnt vmcnt(13)
	v_pk_fma_f32 v[10:11], v[54:55], v[20:21], v[10:11] op_sel_hi:[1,0,1]
	s_waitcnt vmcnt(12)
	v_pk_fma_f32 v[8:9], v[58:59], v[20:21], v[8:9] op_sel_hi:[1,0,1]
	v_pk_fma_f32 v[10:11], v[54:55], v[20:21], v[10:11] op_sel:[1,1,0] op_sel_hi:[0,1,1] neg_lo:[1,0,0]
	v_pk_fma_f32 v[8:9], v[58:59], v[20:21], v[8:9] op_sel:[1,1,0] op_sel_hi:[0,1,1] neg_lo:[1,0,0]
	v_mov_b32_e32 v14, v23
	s_waitcnt vmcnt(11)
	v_pk_fma_f32 v[10:11], v[60:61], v[22:23], v[10:11] op_sel_hi:[1,0,1]
	s_waitcnt vmcnt(10)
	v_pk_fma_f32 v[8:9], v[62:63], v[22:23], v[8:9] op_sel_hi:[1,0,1]
	v_pk_fma_f32 v[10:11], v[60:61], v[14:15], v[10:11] op_sel:[1,0,0] op_sel_hi:[0,0,1] neg_lo:[1,0,0]
	v_pk_fma_f32 v[8:9], v[62:63], v[14:15], v[8:9] op_sel:[1,0,0] op_sel_hi:[0,0,1] neg_lo:[1,0,0]
	;; [unrolled: 13-line block ×3, first 2 shown]
	s_waitcnt vmcnt(2)
	v_pk_fma_f32 v[10:11], v[40:41], v[30:31], v[10:11] op_sel_hi:[1,0,1]
	v_pk_fma_f32 v[8:9], v[44:45], v[30:31], v[8:9] op_sel_hi:[1,0,1]
	v_pk_fma_f32 v[10:11], v[40:41], v[30:31], v[10:11] op_sel:[1,1,0] op_sel_hi:[0,1,1] neg_lo:[1,0,0]
	v_pk_fma_f32 v[8:9], v[44:45], v[30:31], v[8:9] op_sel:[1,1,0] op_sel_hi:[0,1,1] neg_lo:[1,0,0]
	v_mov_b32_e32 v14, v33
	s_waitcnt vmcnt(1)
	v_pk_fma_f32 v[10:11], v[48:49], v[32:33], v[10:11] op_sel_hi:[1,0,1]
	s_waitcnt vmcnt(0)
	v_pk_fma_f32 v[8:9], v[50:51], v[32:33], v[8:9] op_sel_hi:[1,0,1]
	v_pk_fma_f32 v[10:11], v[48:49], v[14:15], v[10:11] op_sel:[1,0,0] op_sel_hi:[0,0,1] neg_lo:[1,0,0]
	v_pk_fma_f32 v[8:9], v[50:51], v[14:15], v[8:9] op_sel:[1,0,0] op_sel_hi:[0,0,1] neg_lo:[1,0,0]
	s_andn2_b64 exec, exec, s[2:3]
	s_cbranch_execnz .LBB212_21
; %bb.22:
	s_or_b64 exec, exec, s[2:3]
.LBB212_23:
	s_or_b64 exec, exec, s[4:5]
.LBB212_24:
	v_mov_b32_dpp v0, v10 row_shr:1 row_mask:0xf bank_mask:0xf
	v_mov_b32_dpp v12, v8 row_shr:1 row_mask:0xf bank_mask:0xf
	v_add_f32_e32 v0, v10, v0
	v_mov_b32_dpp v10, v11 row_shr:1 row_mask:0xf bank_mask:0xf
	v_add_f32_e32 v13, v8, v12
	;; [unrolled: 2-line block ×3, first 2 shown]
	v_add_f32_e32 v9, v9, v8
	v_mov_b32_dpp v1, v0 row_shr:2 row_mask:0xf bank_mask:0xf
	v_mov_b32_dpp v11, v10 row_shr:2 row_mask:0xf bank_mask:0xf
	;; [unrolled: 1-line block ×4, first 2 shown]
	v_cmp_eq_u32_e32 vcc, 3, v7
	s_and_b64 exec, exec, vcc
	s_cbranch_execz .LBB212_29
; %bb.25:
	s_load_dwordx2 s[2:3], s[0:1], 0x38
	v_add_f32_e32 v8, v0, v1
	v_and_b32_e32 v1, 0x7fffffff, v4
	v_cmp_eq_u32_e32 vcc, 0, v1
	v_cmp_eq_f32_e64 s[0:1], 0, v5
	v_add_f32_e32 v12, v10, v11
	v_add_f32_e32 v0, v13, v14
	;; [unrolled: 1-line block ×3, first 2 shown]
	s_and_b64 s[0:1], vcc, s[0:1]
	s_and_saveexec_b64 s[4:5], s[0:1]
	s_xor_b64 s[0:1], exec, s[4:5]
	s_cbranch_execz .LBB212_27
; %bb.26:
	v_lshlrev_b32_e32 v4, 1, v6
	v_xor_b32_e32 v14, 0x80000000, v3
	v_ashrrev_i32_e32 v5, 31, v4
	v_mov_b32_e32 v15, v2
	s_waitcnt lgkmcnt(0)
	v_lshl_add_u64 v[16:17], v[4:5], 3, s[2:3]
	v_pk_mul_f32 v[4:5], v[12:13], v[14:15] op_sel_hi:[0,1]
	v_pk_mul_f32 v[6:7], v[10:11], v[14:15] op_sel_hi:[0,1]
	v_pk_fma_f32 v[4:5], v[2:3], v[8:9], v[4:5] op_sel_hi:[1,0,1]
	v_pk_fma_f32 v[6:7], v[2:3], v[0:1], v[6:7] op_sel_hi:[1,0,1]
	global_store_dwordx4 v[16:17], v[4:7], off
                                        ; implicit-def: $vgpr3
                                        ; implicit-def: $vgpr4
                                        ; implicit-def: $vgpr6
                                        ; implicit-def: $vgpr8
                                        ; implicit-def: $vgpr12
                                        ; implicit-def: $vgpr0
                                        ; implicit-def: $vgpr10
.LBB212_27:
	s_andn2_saveexec_b64 s[0:1], s[0:1]
	s_cbranch_execz .LBB212_29
; %bb.28:
	v_lshlrev_b32_e32 v6, 1, v6
	v_ashrrev_i32_e32 v7, 31, v6
	s_waitcnt lgkmcnt(0)
	v_lshl_add_u64 v[6:7], v[6:7], 3, s[2:3]
	global_load_dwordx4 v[14:17], v[6:7], off
	v_xor_b32_e32 v18, 0x80000000, v3
	v_mov_b32_e32 v19, v2
	v_pk_mul_f32 v[12:13], v[12:13], v[18:19] op_sel_hi:[0,1]
	v_pk_mul_f32 v[10:11], v[10:11], v[18:19] op_sel_hi:[0,1]
	v_pk_fma_f32 v[8:9], v[2:3], v[8:9], v[12:13] op_sel_hi:[1,0,1]
	v_pk_fma_f32 v[0:1], v[2:3], v[0:1], v[10:11] op_sel_hi:[1,0,1]
	v_xor_b32_e32 v20, 0x80000000, v5
	v_mov_b32_e32 v21, v4
	s_waitcnt vmcnt(0)
	v_pk_fma_f32 v[2:3], v[4:5], v[14:15], v[8:9] op_sel_hi:[1,0,1]
	v_pk_fma_f32 v[4:5], v[4:5], v[16:17], v[0:1] op_sel_hi:[1,0,1]
	v_mov_b32_e32 v8, v17
	v_pk_fma_f32 v[0:1], v[20:21], v[14:15], v[2:3] op_sel:[0,1,0]
	v_pk_fma_f32 v[2:3], v[20:21], v[8:9], v[4:5] op_sel_hi:[1,0,1]
	global_store_dwordx4 v[6:7], v[0:3], off
.LBB212_29:
	s_endpgm
	.section	.rodata,"a",@progbits
	.p2align	6, 0x0
	.amdhsa_kernel _ZN9rocsparseL19gebsrmvn_2xn_kernelILj128ELj14ELj4E21rocsparse_complex_numIfEEEvi20rocsparse_direction_NS_24const_host_device_scalarIT2_EEPKiS8_PKS5_SA_S6_PS5_21rocsparse_index_base_b
		.amdhsa_group_segment_fixed_size 0
		.amdhsa_private_segment_fixed_size 0
		.amdhsa_kernarg_size 72
		.amdhsa_user_sgpr_count 2
		.amdhsa_user_sgpr_dispatch_ptr 0
		.amdhsa_user_sgpr_queue_ptr 0
		.amdhsa_user_sgpr_kernarg_segment_ptr 1
		.amdhsa_user_sgpr_dispatch_id 0
		.amdhsa_user_sgpr_kernarg_preload_length 0
		.amdhsa_user_sgpr_kernarg_preload_offset 0
		.amdhsa_user_sgpr_private_segment_size 0
		.amdhsa_uses_dynamic_stack 0
		.amdhsa_enable_private_segment 0
		.amdhsa_system_sgpr_workgroup_id_x 1
		.amdhsa_system_sgpr_workgroup_id_y 0
		.amdhsa_system_sgpr_workgroup_id_z 0
		.amdhsa_system_sgpr_workgroup_info 0
		.amdhsa_system_vgpr_workitem_id 0
		.amdhsa_next_free_vgpr 92
		.amdhsa_next_free_sgpr 16
		.amdhsa_accum_offset 92
		.amdhsa_reserve_vcc 1
		.amdhsa_float_round_mode_32 0
		.amdhsa_float_round_mode_16_64 0
		.amdhsa_float_denorm_mode_32 3
		.amdhsa_float_denorm_mode_16_64 3
		.amdhsa_dx10_clamp 1
		.amdhsa_ieee_mode 1
		.amdhsa_fp16_overflow 0
		.amdhsa_tg_split 0
		.amdhsa_exception_fp_ieee_invalid_op 0
		.amdhsa_exception_fp_denorm_src 0
		.amdhsa_exception_fp_ieee_div_zero 0
		.amdhsa_exception_fp_ieee_overflow 0
		.amdhsa_exception_fp_ieee_underflow 0
		.amdhsa_exception_fp_ieee_inexact 0
		.amdhsa_exception_int_div_zero 0
	.end_amdhsa_kernel
	.section	.text._ZN9rocsparseL19gebsrmvn_2xn_kernelILj128ELj14ELj4E21rocsparse_complex_numIfEEEvi20rocsparse_direction_NS_24const_host_device_scalarIT2_EEPKiS8_PKS5_SA_S6_PS5_21rocsparse_index_base_b,"axG",@progbits,_ZN9rocsparseL19gebsrmvn_2xn_kernelILj128ELj14ELj4E21rocsparse_complex_numIfEEEvi20rocsparse_direction_NS_24const_host_device_scalarIT2_EEPKiS8_PKS5_SA_S6_PS5_21rocsparse_index_base_b,comdat
.Lfunc_end212:
	.size	_ZN9rocsparseL19gebsrmvn_2xn_kernelILj128ELj14ELj4E21rocsparse_complex_numIfEEEvi20rocsparse_direction_NS_24const_host_device_scalarIT2_EEPKiS8_PKS5_SA_S6_PS5_21rocsparse_index_base_b, .Lfunc_end212-_ZN9rocsparseL19gebsrmvn_2xn_kernelILj128ELj14ELj4E21rocsparse_complex_numIfEEEvi20rocsparse_direction_NS_24const_host_device_scalarIT2_EEPKiS8_PKS5_SA_S6_PS5_21rocsparse_index_base_b
                                        ; -- End function
	.section	.AMDGPU.csdata,"",@progbits
; Kernel info:
; codeLenInByte = 3312
; NumSgprs: 22
; NumVgprs: 92
; NumAgprs: 0
; TotalNumVgprs: 92
; ScratchSize: 0
; MemoryBound: 0
; FloatMode: 240
; IeeeMode: 1
; LDSByteSize: 0 bytes/workgroup (compile time only)
; SGPRBlocks: 2
; VGPRBlocks: 11
; NumSGPRsForWavesPerEU: 22
; NumVGPRsForWavesPerEU: 92
; AccumOffset: 92
; Occupancy: 5
; WaveLimiterHint : 1
; COMPUTE_PGM_RSRC2:SCRATCH_EN: 0
; COMPUTE_PGM_RSRC2:USER_SGPR: 2
; COMPUTE_PGM_RSRC2:TRAP_HANDLER: 0
; COMPUTE_PGM_RSRC2:TGID_X_EN: 1
; COMPUTE_PGM_RSRC2:TGID_Y_EN: 0
; COMPUTE_PGM_RSRC2:TGID_Z_EN: 0
; COMPUTE_PGM_RSRC2:TIDIG_COMP_CNT: 0
; COMPUTE_PGM_RSRC3_GFX90A:ACCUM_OFFSET: 22
; COMPUTE_PGM_RSRC3_GFX90A:TG_SPLIT: 0
	.section	.text._ZN9rocsparseL19gebsrmvn_2xn_kernelILj128ELj14ELj8E21rocsparse_complex_numIfEEEvi20rocsparse_direction_NS_24const_host_device_scalarIT2_EEPKiS8_PKS5_SA_S6_PS5_21rocsparse_index_base_b,"axG",@progbits,_ZN9rocsparseL19gebsrmvn_2xn_kernelILj128ELj14ELj8E21rocsparse_complex_numIfEEEvi20rocsparse_direction_NS_24const_host_device_scalarIT2_EEPKiS8_PKS5_SA_S6_PS5_21rocsparse_index_base_b,comdat
	.globl	_ZN9rocsparseL19gebsrmvn_2xn_kernelILj128ELj14ELj8E21rocsparse_complex_numIfEEEvi20rocsparse_direction_NS_24const_host_device_scalarIT2_EEPKiS8_PKS5_SA_S6_PS5_21rocsparse_index_base_b ; -- Begin function _ZN9rocsparseL19gebsrmvn_2xn_kernelILj128ELj14ELj8E21rocsparse_complex_numIfEEEvi20rocsparse_direction_NS_24const_host_device_scalarIT2_EEPKiS8_PKS5_SA_S6_PS5_21rocsparse_index_base_b
	.p2align	8
	.type	_ZN9rocsparseL19gebsrmvn_2xn_kernelILj128ELj14ELj8E21rocsparse_complex_numIfEEEvi20rocsparse_direction_NS_24const_host_device_scalarIT2_EEPKiS8_PKS5_SA_S6_PS5_21rocsparse_index_base_b,@function
_ZN9rocsparseL19gebsrmvn_2xn_kernelILj128ELj14ELj8E21rocsparse_complex_numIfEEEvi20rocsparse_direction_NS_24const_host_device_scalarIT2_EEPKiS8_PKS5_SA_S6_PS5_21rocsparse_index_base_b: ; @_ZN9rocsparseL19gebsrmvn_2xn_kernelILj128ELj14ELj8E21rocsparse_complex_numIfEEEvi20rocsparse_direction_NS_24const_host_device_scalarIT2_EEPKiS8_PKS5_SA_S6_PS5_21rocsparse_index_base_b
; %bb.0:
	s_load_dwordx2 s[12:13], s[0:1], 0x40
	s_load_dwordx2 s[8:9], s[0:1], 0x8
	;; [unrolled: 1-line block ×3, first 2 shown]
	s_waitcnt lgkmcnt(0)
	s_bitcmp1_b32 s13, 0
	s_cselect_b64 s[4:5], -1, 0
	s_xor_b64 s[10:11], s[4:5], -1
	s_and_b64 vcc, exec, s[4:5]
	v_mov_b32_e32 v2, s8
	s_cbranch_vccnz .LBB213_2
; %bb.1:
	v_mov_b64_e32 v[2:3], s[8:9]
	flat_load_dword v2, v[2:3]
.LBB213_2:
	v_cndmask_b32_e64 v1, 0, 1, s[10:11]
	v_cmp_ne_u32_e64 s[4:5], 1, v1
	s_andn2_b64 vcc, exec, s[10:11]
	v_mov_b32_e32 v3, s9
	s_cbranch_vccz .LBB213_16
; %bb.3:
	s_and_b64 vcc, exec, s[4:5]
	v_mov_b32_e32 v4, s6
	s_cbranch_vccz .LBB213_17
.LBB213_4:
	s_and_b64 vcc, exec, s[4:5]
	v_mov_b32_e32 v5, s7
	s_cbranch_vccnz .LBB213_6
.LBB213_5:
	v_mov_b64_e32 v[6:7], s[6:7]
	flat_load_dword v5, v[6:7] offset:4
.LBB213_6:
	s_waitcnt vmcnt(0) lgkmcnt(0)
	v_and_b32_e32 v1, 0x7fffffff, v2
	v_cmp_eq_u32_e32 vcc, 0, v1
	v_cmp_eq_f32_e64 s[4:5], 0, v3
	s_and_b64 s[8:9], vcc, s[4:5]
	s_mov_b64 s[4:5], -1
	s_and_saveexec_b64 s[6:7], s[8:9]
; %bb.7:
	v_and_b32_e32 v1, 0x7fffffff, v5
	v_cmp_neq_f32_e32 vcc, 1.0, v4
	v_cmp_ne_u32_e64 s[4:5], 0, v1
	s_or_b64 s[4:5], vcc, s[4:5]
	s_orn2_b64 s[4:5], s[4:5], exec
; %bb.8:
	s_or_b64 exec, exec, s[6:7]
	s_and_saveexec_b64 s[6:7], s[4:5]
	s_cbranch_execz .LBB213_29
; %bb.9:
	s_load_dwordx2 s[14:15], s[0:1], 0x0
	v_lshrrev_b32_e32 v1, 3, v0
	v_lshl_or_b32 v6, s2, 4, v1
	s_waitcnt lgkmcnt(0)
	v_cmp_gt_i32_e32 vcc, s14, v6
	s_and_b64 exec, exec, vcc
	s_cbranch_execz .LBB213_29
; %bb.10:
	s_load_dwordx8 s[4:11], s[0:1], 0x10
	v_ashrrev_i32_e32 v7, 31, v6
	s_cmp_lg_u32 s15, 0
	s_waitcnt lgkmcnt(0)
	v_lshl_add_u64 v[8:9], v[6:7], 2, s[4:5]
	global_load_dwordx2 v[8:9], v[8:9], off
	v_and_b32_e32 v7, 7, v0
	s_waitcnt vmcnt(0)
	v_subrev_u32_e32 v0, s12, v8
	v_subrev_u32_e32 v24, s12, v9
	v_add_u32_e32 v0, v0, v7
	v_cmp_lt_i32_e64 s[2:3], v0, v24
	s_cbranch_scc0 .LBB213_18
; %bb.11:
	v_mov_b32_e32 v11, 0
	v_mov_b32_e32 v10, v11
	;; [unrolled: 1-line block ×4, first 2 shown]
	s_and_saveexec_b64 s[4:5], s[2:3]
	s_cbranch_execz .LBB213_15
; %bb.12:
	v_mov_b32_e32 v13, 0
	v_mul_lo_u32 v12, v0, 28
	s_mov_b64 s[14:15], 0
	v_mov_b32_e32 v14, v0
	v_mov_b32_e32 v8, v13
	;; [unrolled: 1-line block ×5, first 2 shown]
.LBB213_13:                             ; =>This Inner Loop Header: Depth=1
	v_ashrrev_i32_e32 v15, 31, v14
	v_lshl_add_u64 v[34:35], v[12:13], 3, s[8:9]
	v_add_u32_e32 v36, 4, v12
	v_mov_b32_e32 v37, v13
	v_add_u32_e32 v38, 8, v12
	v_mov_b32_e32 v39, v13
	;; [unrolled: 2-line block ×6, first 2 shown]
	v_lshl_add_u64 v[66:67], v[14:15], 2, s[6:7]
	global_load_dwordx4 v[26:29], v[34:35], off offset:16
	global_load_dwordx4 v[30:33], v[34:35], off
	v_lshl_add_u64 v[68:69], v[36:37], 3, s[8:9]
	v_lshl_add_u64 v[76:77], v[38:39], 3, s[8:9]
	;; [unrolled: 1-line block ×6, first 2 shown]
	global_load_dword v1, v[66:67], off
	global_load_dwordx4 v[34:37], v[68:69], off offset:16
	global_load_dwordx4 v[38:41], v[68:69], off
	global_load_dwordx4 v[42:45], v[76:77], off offset:16
	global_load_dwordx4 v[46:49], v[76:77], off
	;; [unrolled: 2-line block ×4, first 2 shown]
	v_mov_b32_e32 v17, v13
	v_mov_b32_e32 v19, v13
	;; [unrolled: 1-line block ×7, first 2 shown]
	v_add_u32_e32 v14, 8, v14
	v_cmp_ge_i32_e32 vcc, v14, v24
	v_add_u32_e32 v12, 0xe0, v12
	s_or_b64 s[14:15], vcc, s[14:15]
	s_waitcnt vmcnt(8)
	v_subrev_u32_e32 v1, s12, v1
	v_mul_lo_u32 v16, v1, 14
	v_lshl_add_u64 v[66:67], v[16:17], 3, s[10:11]
	global_load_dwordx4 v[66:69], v[66:67], off
	v_xor_b32_e32 v76, 0x80000000, v33
	v_mov_b32_e32 v77, v32
	v_add_u32_e32 v18, 2, v16
	v_add_u32_e32 v20, 4, v16
	;; [unrolled: 1-line block ×3, first 2 shown]
	v_lshl_add_u64 v[86:87], v[18:19], 3, s[10:11]
	v_add_u32_e32 v70, 8, v16
	v_add_u32_e32 v72, 10, v16
	v_add_u32_e32 v74, 12, v16
	v_lshl_add_u64 v[88:89], v[20:21], 3, s[10:11]
	v_lshl_add_u64 v[90:91], v[22:23], 3, s[10:11]
	v_lshl_add_u64 v[70:71], v[70:71], 3, s[10:11]
	v_lshl_add_u64 v[72:73], v[72:73], 3, s[10:11]
	v_lshl_add_u64 v[74:75], v[74:75], 3, s[10:11]
	s_waitcnt vmcnt(0)
	v_pk_fma_f32 v[10:11], v[30:31], v[66:67], v[10:11] op_sel_hi:[1,0,1]
	v_pk_fma_f32 v[78:79], v[32:33], v[66:67], v[8:9] op_sel_hi:[1,0,1]
	v_pk_fma_f32 v[80:81], v[30:31], v[66:67], v[10:11] op_sel:[1,1,0] op_sel_hi:[0,1,1] neg_lo:[1,0,0]
	v_pk_fma_f32 v[66:67], v[76:77], v[66:67], v[78:79] op_sel:[0,1,0]
	v_pk_fma_f32 v[78:79], v[26:27], v[68:69], v[80:81] op_sel_hi:[1,0,1]
	v_pk_fma_f32 v[66:67], v[28:29], v[68:69], v[66:67] op_sel_hi:[1,0,1]
	v_mov_b32_e32 v68, v69
	global_load_dwordx4 v[8:11], v[82:83], off offset:16
	global_load_dwordx4 v[30:33], v[82:83], off
	v_xor_b32_e32 v76, 0x80000000, v29
	v_mov_b32_e32 v77, v28
	v_pk_fma_f32 v[78:79], v[26:27], v[68:69], v[78:79] op_sel:[1,0,0] op_sel_hi:[0,0,1] neg_lo:[1,0,0]
	global_load_dwordx4 v[26:29], v[84:85], off
	global_load_dwordx4 v[16:19], v[86:87], off
	;; [unrolled: 1-line block ×3, first 2 shown]
	v_pk_fma_f32 v[66:67], v[76:77], v[68:69], v[66:67] op_sel_hi:[1,0,1]
	v_xor_b32_e32 v80, 0x80000000, v41
	v_mov_b32_e32 v81, v40
	v_xor_b32_e32 v82, 0x80000000, v37
	v_mov_b32_e32 v83, v36
	s_waitcnt vmcnt(1)
	v_pk_fma_f32 v[68:69], v[38:39], v[16:17], v[78:79] op_sel_hi:[1,0,1]
	v_pk_fma_f32 v[76:77], v[40:41], v[16:17], v[66:67] op_sel_hi:[1,0,1]
	v_pk_fma_f32 v[78:79], v[38:39], v[16:17], v[68:69] op_sel:[1,1,0] op_sel_hi:[0,1,1] neg_lo:[1,0,0]
	global_load_dwordx4 v[38:41], v[90:91], off
	global_load_dwordx4 v[66:69], v[70:71], off
	v_pk_fma_f32 v[16:17], v[80:81], v[16:17], v[76:77] op_sel:[0,1,0]
	global_load_dwordx4 v[70:73], v[72:73], off
	v_pk_fma_f32 v[76:77], v[34:35], v[18:19], v[78:79] op_sel_hi:[1,0,1]
	v_pk_fma_f32 v[78:79], v[36:37], v[18:19], v[16:17] op_sel_hi:[1,0,1]
	v_mov_b32_e32 v80, v19
	global_load_dwordx4 v[16:19], v[74:75], off
	v_pk_fma_f32 v[74:75], v[34:35], v[80:81], v[76:77] op_sel:[1,0,0] op_sel_hi:[0,0,1] neg_lo:[1,0,0]
	global_load_dwordx4 v[34:37], v[84:85], off offset:16
	v_pk_fma_f32 v[78:79], v[82:83], v[80:81], v[78:79] op_sel_hi:[1,0,1]
	v_xor_b32_e32 v76, 0x80000000, v49
	v_mov_b32_e32 v77, v48
	s_waitcnt vmcnt(5)
	v_pk_fma_f32 v[74:75], v[46:47], v[20:21], v[74:75] op_sel_hi:[1,0,1]
	v_pk_fma_f32 v[48:49], v[48:49], v[20:21], v[78:79] op_sel_hi:[1,0,1]
	v_pk_fma_f32 v[46:47], v[46:47], v[20:21], v[74:75] op_sel:[1,1,0] op_sel_hi:[0,1,1] neg_lo:[1,0,0]
	v_pk_fma_f32 v[20:21], v[76:77], v[20:21], v[48:49] op_sel:[0,1,0]
	v_xor_b32_e32 v80, 0x80000000, v45
	v_mov_b32_e32 v81, v44
	v_pk_fma_f32 v[46:47], v[42:43], v[22:23], v[46:47] op_sel_hi:[1,0,1]
	v_pk_fma_f32 v[20:21], v[44:45], v[22:23], v[20:21] op_sel_hi:[1,0,1]
	v_mov_b32_e32 v22, v23
	v_pk_fma_f32 v[42:43], v[42:43], v[22:23], v[46:47] op_sel:[1,0,0] op_sel_hi:[0,0,1] neg_lo:[1,0,0]
	v_pk_fma_f32 v[20:21], v[80:81], v[22:23], v[20:21] op_sel_hi:[1,0,1]
	v_xor_b32_e32 v82, 0x80000000, v57
	v_mov_b32_e32 v83, v56
	v_xor_b32_e32 v74, 0x80000000, v53
	v_mov_b32_e32 v75, v52
	;; [unrolled: 2-line block ×7, first 2 shown]
	s_waitcnt vmcnt(4)
	v_pk_fma_f32 v[42:43], v[54:55], v[38:39], v[42:43] op_sel_hi:[1,0,1]
	v_pk_fma_f32 v[20:21], v[56:57], v[38:39], v[20:21] op_sel_hi:[1,0,1]
	v_pk_fma_f32 v[42:43], v[54:55], v[38:39], v[42:43] op_sel:[1,1,0] op_sel_hi:[0,1,1] neg_lo:[1,0,0]
	v_pk_fma_f32 v[20:21], v[82:83], v[38:39], v[20:21] op_sel:[0,1,0]
	v_mov_b32_e32 v80, v41
	v_pk_fma_f32 v[42:43], v[50:51], v[40:41], v[42:43] op_sel_hi:[1,0,1]
	v_pk_fma_f32 v[20:21], v[52:53], v[40:41], v[20:21] op_sel_hi:[1,0,1]
	v_pk_fma_f32 v[40:41], v[50:51], v[80:81], v[42:43] op_sel:[1,0,0] op_sel_hi:[0,0,1] neg_lo:[1,0,0]
	v_pk_fma_f32 v[20:21], v[74:75], v[80:81], v[20:21] op_sel_hi:[1,0,1]
	s_waitcnt vmcnt(3)
	v_pk_fma_f32 v[40:41], v[62:63], v[66:67], v[40:41] op_sel_hi:[1,0,1]
	v_pk_fma_f32 v[20:21], v[64:65], v[66:67], v[20:21] op_sel_hi:[1,0,1]
	v_pk_fma_f32 v[40:41], v[62:63], v[66:67], v[40:41] op_sel:[1,1,0] op_sel_hi:[0,1,1] neg_lo:[1,0,0]
	v_pk_fma_f32 v[20:21], v[78:79], v[66:67], v[20:21] op_sel:[0,1,0]
	v_mov_b32_e32 v54, v69
	v_pk_fma_f32 v[40:41], v[58:59], v[68:69], v[40:41] op_sel_hi:[1,0,1]
	v_pk_fma_f32 v[20:21], v[60:61], v[68:69], v[20:21] op_sel_hi:[1,0,1]
	v_pk_fma_f32 v[40:41], v[58:59], v[54:55], v[40:41] op_sel:[1,0,0] op_sel_hi:[0,0,1] neg_lo:[1,0,0]
	v_pk_fma_f32 v[20:21], v[48:49], v[54:55], v[20:21] op_sel_hi:[1,0,1]
	s_waitcnt vmcnt(2)
	v_pk_fma_f32 v[40:41], v[30:31], v[70:71], v[40:41] op_sel_hi:[1,0,1]
	v_pk_fma_f32 v[20:21], v[32:33], v[70:71], v[20:21] op_sel_hi:[1,0,1]
	v_pk_fma_f32 v[30:31], v[30:31], v[70:71], v[40:41] op_sel:[1,1,0] op_sel_hi:[0,1,1] neg_lo:[1,0,0]
	v_pk_fma_f32 v[20:21], v[44:45], v[70:71], v[20:21] op_sel:[0,1,0]
	v_mov_b32_e32 v56, v73
	v_pk_fma_f32 v[30:31], v[8:9], v[72:73], v[30:31] op_sel_hi:[1,0,1]
	v_pk_fma_f32 v[10:11], v[10:11], v[72:73], v[20:21] op_sel_hi:[1,0,1]
	v_pk_fma_f32 v[8:9], v[8:9], v[56:57], v[30:31] op_sel:[1,0,0] op_sel_hi:[0,0,1] neg_lo:[1,0,0]
	v_pk_fma_f32 v[10:11], v[46:47], v[56:57], v[10:11] op_sel_hi:[1,0,1]
	s_waitcnt vmcnt(1)
	v_pk_fma_f32 v[8:9], v[26:27], v[16:17], v[8:9] op_sel_hi:[1,0,1]
	v_pk_fma_f32 v[10:11], v[28:29], v[16:17], v[10:11] op_sel_hi:[1,0,1]
	v_pk_fma_f32 v[8:9], v[26:27], v[16:17], v[8:9] op_sel:[1,1,0] op_sel_hi:[0,1,1] neg_lo:[1,0,0]
	v_pk_fma_f32 v[10:11], v[76:77], v[16:17], v[10:11] op_sel:[0,1,0]
	s_waitcnt vmcnt(0)
	v_xor_b32_e32 v22, 0x80000000, v37
	v_mov_b32_e32 v23, v36
	v_mov_b32_e32 v38, v19
	v_pk_fma_f32 v[8:9], v[34:35], v[18:19], v[8:9] op_sel_hi:[1,0,1]
	v_pk_fma_f32 v[16:17], v[36:37], v[18:19], v[10:11] op_sel_hi:[1,0,1]
	v_pk_fma_f32 v[10:11], v[34:35], v[38:39], v[8:9] op_sel:[1,0,0] op_sel_hi:[0,0,1] neg_lo:[1,0,0]
	v_pk_fma_f32 v[8:9], v[22:23], v[38:39], v[16:17] op_sel_hi:[1,0,1]
	s_andn2_b64 exec, exec, s[14:15]
	s_cbranch_execnz .LBB213_13
; %bb.14:
	s_or_b64 exec, exec, s[14:15]
.LBB213_15:
	s_or_b64 exec, exec, s[4:5]
	s_cbranch_execz .LBB213_19
	s_branch .LBB213_24
.LBB213_16:
	v_mov_b64_e32 v[4:5], s[8:9]
	flat_load_dword v3, v[4:5] offset:4
	s_and_b64 vcc, exec, s[4:5]
	v_mov_b32_e32 v4, s6
	s_cbranch_vccnz .LBB213_4
.LBB213_17:
	v_mov_b64_e32 v[4:5], s[6:7]
	flat_load_dword v4, v[4:5]
	s_and_b64 vcc, exec, s[4:5]
	v_mov_b32_e32 v5, s7
	s_cbranch_vccz .LBB213_5
	s_branch .LBB213_6
.LBB213_18:
                                        ; implicit-def: $vgpr11
                                        ; implicit-def: $vgpr9
.LBB213_19:
	v_mov_b32_e32 v11, 0
	v_mov_b32_e32 v10, v11
	;; [unrolled: 1-line block ×4, first 2 shown]
	s_and_saveexec_b64 s[4:5], s[2:3]
	s_cbranch_execz .LBB213_23
; %bb.20:
	v_mad_u64_u32 v[12:13], s[2:3], v0, 28, 27
	v_mov_b32_e32 v15, 0
	s_mov_b64 s[2:3], 0
	v_mov_b32_e32 v8, v15
	v_mov_b32_e32 v9, v15
	;; [unrolled: 1-line block ×4, first 2 shown]
.LBB213_21:                             ; =>This Inner Loop Header: Depth=1
	v_ashrrev_i32_e32 v1, 31, v0
	v_subrev_u32_e32 v14, 27, v12
	v_add_u32_e32 v18, -13, v12
	v_mov_b32_e32 v19, v15
	v_lshl_add_u64 v[22:23], v[0:1], 2, s[6:7]
	v_lshl_add_u64 v[30:31], v[14:15], 3, s[8:9]
	;; [unrolled: 1-line block ×3, first 2 shown]
	global_load_dword v1, v[22:23], off
	global_load_dwordx4 v[18:21], v[30:31], off
	global_load_dwordx4 v[26:29], v[30:31], off offset:16
	v_mov_b32_e32 v17, v15
	v_add_u32_e32 v14, -12, v12
	v_lshl_add_u64 v[22:23], v[14:15], 3, s[8:9]
	global_load_dwordx2 v[40:41], v[32:33], off
	global_load_dwordx2 v[42:43], v[22:23], off
	v_mov_b32_e32 v13, v15
	v_lshl_add_u64 v[38:39], v[12:13], 3, s[8:9]
	v_add_u32_e32 v0, 8, v0
	v_cmp_ge_i32_e32 vcc, v0, v24
	s_or_b64 s[2:3], vcc, s[2:3]
	s_waitcnt vmcnt(4)
	v_subrev_u32_e32 v1, s12, v1
	v_mul_lo_u32 v16, v1, 14
	v_lshl_add_u64 v[30:31], v[16:17], 3, s[10:11]
	global_load_dwordx4 v[30:33], v[30:31], off
	v_add_u32_e32 v14, 2, v16
	v_lshl_add_u64 v[34:35], v[14:15], 3, s[10:11]
	global_load_dwordx4 v[34:37], v[34:35], off
	v_add_u32_e32 v14, -11, v12
	v_lshl_add_u64 v[46:47], v[14:15], 3, s[8:9]
	global_load_dwordx2 v[46:47], v[46:47], off
	v_add_u32_e32 v14, -10, v12
	v_lshl_add_u64 v[48:49], v[14:15], 3, s[8:9]
	global_load_dwordx2 v[48:49], v[48:49], off
	v_subrev_u32_e32 v14, 23, v12
	v_lshl_add_u64 v[50:51], v[14:15], 3, s[8:9]
	global_load_dwordx2 v[50:51], v[50:51], off
	v_add_u32_e32 v14, 4, v16
	s_waitcnt vmcnt(8)
	v_xor_b32_e32 v22, 0x80000000, v21
	v_mov_b32_e32 v23, v20
	v_lshl_add_u64 v[52:53], v[14:15], 3, s[10:11]
	v_add_u32_e32 v14, -9, v12
	v_lshl_add_u64 v[54:55], v[14:15], 3, s[8:9]
	v_subrev_u32_e32 v14, 22, v12
	v_lshl_add_u64 v[56:57], v[14:15], 3, s[8:9]
	v_add_u32_e32 v14, -8, v12
	v_lshl_add_u64 v[58:59], v[14:15], 3, s[8:9]
	v_subrev_u32_e32 v14, 21, v12
	v_lshl_add_u64 v[60:61], v[14:15], 3, s[8:9]
	v_add_u32_e32 v14, 6, v16
	v_lshl_add_u64 v[62:63], v[14:15], 3, s[10:11]
	v_add_u32_e32 v14, -7, v12
	v_lshl_add_u64 v[64:65], v[14:15], 3, s[8:9]
	v_subrev_u32_e32 v14, 20, v12
	v_lshl_add_u64 v[66:67], v[14:15], 3, s[8:9]
	v_add_u32_e32 v14, -6, v12
	v_lshl_add_u64 v[68:69], v[14:15], 3, s[8:9]
	v_subrev_u32_e32 v14, 19, v12
	v_lshl_add_u64 v[70:71], v[14:15], 3, s[8:9]
	v_add_u32_e32 v14, 8, v16
	v_lshl_add_u64 v[72:73], v[14:15], 3, s[10:11]
	v_add_u32_e32 v14, -5, v12
	v_lshl_add_u64 v[74:75], v[14:15], 3, s[8:9]
	v_subrev_u32_e32 v14, 18, v12
	v_lshl_add_u64 v[76:77], v[14:15], 3, s[8:9]
	v_add_u32_e32 v14, -4, v12
	s_waitcnt vmcnt(7)
	v_xor_b32_e32 v44, 0x80000000, v29
	v_mov_b32_e32 v45, v28
	s_waitcnt vmcnt(4)
	v_pk_fma_f32 v[10:11], v[18:19], v[30:31], v[10:11] op_sel_hi:[1,0,1]
	s_nop 0
	v_pk_fma_f32 v[10:11], v[18:19], v[30:31], v[10:11] op_sel:[1,1,0] op_sel_hi:[0,1,1] neg_lo:[1,0,0]
	v_pk_fma_f32 v[8:9], v[40:41], v[30:31], v[8:9] op_sel_hi:[1,0,1]
	v_pk_fma_f32 v[10:11], v[20:21], v[32:33], v[10:11] op_sel_hi:[1,0,1]
	v_pk_fma_f32 v[8:9], v[40:41], v[30:31], v[8:9] op_sel:[1,1,0] op_sel_hi:[0,1,1] neg_lo:[1,0,0]
	v_mov_b32_e32 v18, v33
	v_pk_fma_f32 v[8:9], v[42:43], v[32:33], v[8:9] op_sel_hi:[1,0,1]
	v_pk_fma_f32 v[10:11], v[22:23], v[18:19], v[10:11] op_sel_hi:[1,0,1]
	v_pk_fma_f32 v[18:19], v[42:43], v[18:19], v[8:9] op_sel:[1,0,0] op_sel_hi:[0,0,1] neg_lo:[1,0,0]
	s_waitcnt vmcnt(3)
	v_pk_fma_f32 v[8:9], v[26:27], v[34:35], v[10:11] op_sel_hi:[1,0,1]
	v_lshl_add_u64 v[30:31], v[14:15], 3, s[8:9]
	v_pk_fma_f32 v[8:9], v[26:27], v[34:35], v[8:9] op_sel:[1,1,0] op_sel_hi:[0,1,1] neg_lo:[1,0,0]
	v_pk_fma_f32 v[26:27], v[28:29], v[36:37], v[8:9] op_sel_hi:[1,0,1]
	global_load_dwordx4 v[8:11], v[52:53], off
	global_load_dwordx2 v[84:85], v[54:55], off
	global_load_dwordx2 v[86:87], v[56:57], off
	;; [unrolled: 1-line block ×4, first 2 shown]
	v_subrev_u32_e32 v14, 17, v12
	v_lshl_add_u64 v[32:33], v[14:15], 3, s[8:9]
	v_add_u32_e32 v14, 10, v16
	v_lshl_add_u64 v[40:41], v[14:15], 3, s[10:11]
	v_add_u32_e32 v14, -3, v12
	v_lshl_add_u64 v[42:43], v[14:15], 3, s[8:9]
	v_add_u32_e32 v14, -16, v12
	;; [unrolled: 2-line block ×4, first 2 shown]
	v_lshl_add_u64 v[82:83], v[14:15], 3, s[8:9]
	v_add_u32_e32 v14, 12, v16
	s_waitcnt vmcnt(7)
	v_pk_fma_f32 v[16:17], v[46:47], v[34:35], v[18:19] op_sel_hi:[1,0,1]
	s_nop 0
	v_pk_fma_f32 v[20:21], v[46:47], v[34:35], v[16:17] op_sel:[1,1,0] op_sel_hi:[0,1,1] neg_lo:[1,0,0]
	global_load_dwordx4 v[16:19], v[62:63], off
	global_load_dwordx2 v[34:35], v[64:65], off
	global_load_dwordx2 v[46:47], v[66:67], off
	;; [unrolled: 1-line block ×4, first 2 shown]
	s_waitcnt vmcnt(11)
	v_pk_fma_f32 v[56:57], v[48:49], v[36:37], v[20:21] op_sel_hi:[1,0,1]
	global_load_dwordx4 v[20:23], v[72:73], off
	global_load_dwordx2 v[58:59], v[74:75], off
	global_load_dwordx2 v[60:61], v[76:77], off
	;; [unrolled: 1-line block ×4, first 2 shown]
	v_mov_b32_e32 v36, v37
	v_pk_fma_f32 v[44:45], v[44:45], v[36:37], v[26:27] op_sel_hi:[1,0,1]
	global_load_dwordx4 v[26:29], v[40:41], off
	global_load_dwordx2 v[66:67], v[42:43], off
	global_load_dwordx2 v[68:69], v[78:79], off
	;; [unrolled: 1-line block ×3, first 2 shown]
	v_lshl_add_u64 v[30:31], v[14:15], 3, s[10:11]
	v_add_u32_e32 v14, -1, v12
	v_pk_fma_f32 v[36:37], v[48:49], v[36:37], v[56:57] op_sel:[1,0,0] op_sel_hi:[0,0,1] neg_lo:[1,0,0]
	global_load_dwordx2 v[40:41], v[82:83], off
	s_waitcnt vmcnt(19)
	v_pk_fma_f32 v[42:43], v[50:51], v[8:9], v[44:45] op_sel_hi:[1,0,1]
	v_lshl_add_u64 v[44:45], v[14:15], 3, s[8:9]
	global_load_dwordx2 v[44:45], v[44:45], off
	v_add_u32_e32 v14, -14, v12
	global_load_dwordx4 v[30:33], v[30:31], off
	s_waitcnt vmcnt(20)
	v_pk_fma_f32 v[36:37], v[84:85], v[8:9], v[36:37] op_sel_hi:[1,0,1]
	v_pk_fma_f32 v[42:43], v[50:51], v[8:9], v[42:43] op_sel:[1,1,0] op_sel_hi:[0,1,1] neg_lo:[1,0,0]
	v_pk_fma_f32 v[8:9], v[84:85], v[8:9], v[36:37] op_sel:[1,1,0] op_sel_hi:[0,1,1] neg_lo:[1,0,0]
	v_lshl_add_u64 v[36:37], v[14:15], 3, s[8:9]
	global_load_dwordx2 v[48:49], v[36:37], off
	global_load_dwordx2 v[50:51], v[38:39], off
	s_waitcnt vmcnt(21)
	v_pk_fma_f32 v[36:37], v[86:87], v[10:11], v[42:43] op_sel_hi:[1,0,1]
	s_waitcnt vmcnt(20)
	v_pk_fma_f32 v[8:9], v[88:89], v[10:11], v[8:9] op_sel_hi:[1,0,1]
	v_mov_b32_e32 v10, v11
	v_pk_fma_f32 v[36:37], v[86:87], v[10:11], v[36:37] op_sel:[1,0,0] op_sel_hi:[0,0,1] neg_lo:[1,0,0]
	v_pk_fma_f32 v[8:9], v[88:89], v[10:11], v[8:9] op_sel:[1,0,0] op_sel_hi:[0,0,1] neg_lo:[1,0,0]
	v_add_u32_e32 v12, 0xe0, v12
	s_waitcnt vmcnt(18)
	v_pk_fma_f32 v[10:11], v[90:91], v[16:17], v[36:37] op_sel_hi:[1,0,1]
	s_waitcnt vmcnt(17)
	v_pk_fma_f32 v[8:9], v[34:35], v[16:17], v[8:9] op_sel_hi:[1,0,1]
	v_pk_fma_f32 v[10:11], v[90:91], v[16:17], v[10:11] op_sel:[1,1,0] op_sel_hi:[0,1,1] neg_lo:[1,0,0]
	v_pk_fma_f32 v[8:9], v[34:35], v[16:17], v[8:9] op_sel:[1,1,0] op_sel_hi:[0,1,1] neg_lo:[1,0,0]
	v_mov_b32_e32 v14, v19
	s_waitcnt vmcnt(16)
	v_pk_fma_f32 v[10:11], v[46:47], v[18:19], v[10:11] op_sel_hi:[1,0,1]
	s_waitcnt vmcnt(15)
	v_pk_fma_f32 v[8:9], v[52:53], v[18:19], v[8:9] op_sel_hi:[1,0,1]
	v_pk_fma_f32 v[10:11], v[46:47], v[14:15], v[10:11] op_sel:[1,0,0] op_sel_hi:[0,0,1] neg_lo:[1,0,0]
	v_pk_fma_f32 v[8:9], v[52:53], v[14:15], v[8:9] op_sel:[1,0,0] op_sel_hi:[0,0,1] neg_lo:[1,0,0]
	s_waitcnt vmcnt(13)
	v_pk_fma_f32 v[10:11], v[54:55], v[20:21], v[10:11] op_sel_hi:[1,0,1]
	s_waitcnt vmcnt(12)
	v_pk_fma_f32 v[8:9], v[58:59], v[20:21], v[8:9] op_sel_hi:[1,0,1]
	v_pk_fma_f32 v[10:11], v[54:55], v[20:21], v[10:11] op_sel:[1,1,0] op_sel_hi:[0,1,1] neg_lo:[1,0,0]
	v_pk_fma_f32 v[8:9], v[58:59], v[20:21], v[8:9] op_sel:[1,1,0] op_sel_hi:[0,1,1] neg_lo:[1,0,0]
	v_mov_b32_e32 v14, v23
	s_waitcnt vmcnt(11)
	v_pk_fma_f32 v[10:11], v[60:61], v[22:23], v[10:11] op_sel_hi:[1,0,1]
	s_waitcnt vmcnt(10)
	v_pk_fma_f32 v[8:9], v[62:63], v[22:23], v[8:9] op_sel_hi:[1,0,1]
	v_pk_fma_f32 v[10:11], v[60:61], v[14:15], v[10:11] op_sel:[1,0,0] op_sel_hi:[0,0,1] neg_lo:[1,0,0]
	v_pk_fma_f32 v[8:9], v[62:63], v[14:15], v[8:9] op_sel:[1,0,0] op_sel_hi:[0,0,1] neg_lo:[1,0,0]
	;; [unrolled: 13-line block ×3, first 2 shown]
	s_waitcnt vmcnt(2)
	v_pk_fma_f32 v[10:11], v[40:41], v[30:31], v[10:11] op_sel_hi:[1,0,1]
	v_pk_fma_f32 v[8:9], v[44:45], v[30:31], v[8:9] op_sel_hi:[1,0,1]
	v_pk_fma_f32 v[10:11], v[40:41], v[30:31], v[10:11] op_sel:[1,1,0] op_sel_hi:[0,1,1] neg_lo:[1,0,0]
	v_pk_fma_f32 v[8:9], v[44:45], v[30:31], v[8:9] op_sel:[1,1,0] op_sel_hi:[0,1,1] neg_lo:[1,0,0]
	v_mov_b32_e32 v14, v33
	s_waitcnt vmcnt(1)
	v_pk_fma_f32 v[10:11], v[48:49], v[32:33], v[10:11] op_sel_hi:[1,0,1]
	s_waitcnt vmcnt(0)
	v_pk_fma_f32 v[8:9], v[50:51], v[32:33], v[8:9] op_sel_hi:[1,0,1]
	v_pk_fma_f32 v[10:11], v[48:49], v[14:15], v[10:11] op_sel:[1,0,0] op_sel_hi:[0,0,1] neg_lo:[1,0,0]
	v_pk_fma_f32 v[8:9], v[50:51], v[14:15], v[8:9] op_sel:[1,0,0] op_sel_hi:[0,0,1] neg_lo:[1,0,0]
	s_andn2_b64 exec, exec, s[2:3]
	s_cbranch_execnz .LBB213_21
; %bb.22:
	s_or_b64 exec, exec, s[2:3]
.LBB213_23:
	s_or_b64 exec, exec, s[4:5]
.LBB213_24:
	v_mov_b32_dpp v12, v8 row_shr:1 row_mask:0xf bank_mask:0xf
	v_add_f32_e32 v8, v8, v12
	v_mov_b32_dpp v0, v10 row_shr:1 row_mask:0xf bank_mask:0xf
	v_add_f32_e32 v0, v10, v0
	v_mov_b32_dpp v12, v8 row_shr:2 row_mask:0xf bank_mask:0xf
	v_mov_b32_dpp v10, v11 row_shr:1 row_mask:0xf bank_mask:0xf
	v_add_f32_e32 v13, v8, v12
	v_mov_b32_dpp v8, v9 row_shr:1 row_mask:0xf bank_mask:0xf
	v_add_f32_e32 v10, v11, v10
	v_add_f32_e32 v8, v9, v8
	v_mov_b32_dpp v1, v0 row_shr:2 row_mask:0xf bank_mask:0xf
	v_mov_b32_dpp v11, v10 row_shr:2 row_mask:0xf bank_mask:0xf
	;; [unrolled: 1-line block ×3, first 2 shown]
	v_add_f32_e32 v0, v0, v1
	v_add_f32_e32 v10, v10, v11
	;; [unrolled: 1-line block ×3, first 2 shown]
	v_mov_b32_dpp v1, v0 row_shr:4 row_mask:0xf bank_mask:0xe
	v_mov_b32_dpp v11, v10 row_shr:4 row_mask:0xf bank_mask:0xe
	;; [unrolled: 1-line block ×4, first 2 shown]
	v_cmp_eq_u32_e32 vcc, 7, v7
	s_and_b64 exec, exec, vcc
	s_cbranch_execz .LBB213_29
; %bb.25:
	s_load_dwordx2 s[2:3], s[0:1], 0x38
	v_add_f32_e32 v8, v0, v1
	v_and_b32_e32 v1, 0x7fffffff, v4
	v_cmp_eq_u32_e32 vcc, 0, v1
	v_cmp_eq_f32_e64 s[0:1], 0, v5
	v_add_f32_e32 v12, v10, v11
	v_add_f32_e32 v0, v13, v14
	;; [unrolled: 1-line block ×3, first 2 shown]
	s_and_b64 s[0:1], vcc, s[0:1]
	s_and_saveexec_b64 s[4:5], s[0:1]
	s_xor_b64 s[0:1], exec, s[4:5]
	s_cbranch_execz .LBB213_27
; %bb.26:
	v_lshlrev_b32_e32 v4, 1, v6
	v_xor_b32_e32 v14, 0x80000000, v3
	v_ashrrev_i32_e32 v5, 31, v4
	v_mov_b32_e32 v15, v2
	s_waitcnt lgkmcnt(0)
	v_lshl_add_u64 v[16:17], v[4:5], 3, s[2:3]
	v_pk_mul_f32 v[4:5], v[12:13], v[14:15] op_sel_hi:[0,1]
	v_pk_mul_f32 v[6:7], v[10:11], v[14:15] op_sel_hi:[0,1]
	v_pk_fma_f32 v[4:5], v[2:3], v[8:9], v[4:5] op_sel_hi:[1,0,1]
	v_pk_fma_f32 v[6:7], v[2:3], v[0:1], v[6:7] op_sel_hi:[1,0,1]
	global_store_dwordx4 v[16:17], v[4:7], off
                                        ; implicit-def: $vgpr3
                                        ; implicit-def: $vgpr4
                                        ; implicit-def: $vgpr6
                                        ; implicit-def: $vgpr8
                                        ; implicit-def: $vgpr12
                                        ; implicit-def: $vgpr0
                                        ; implicit-def: $vgpr10
.LBB213_27:
	s_andn2_saveexec_b64 s[0:1], s[0:1]
	s_cbranch_execz .LBB213_29
; %bb.28:
	v_lshlrev_b32_e32 v6, 1, v6
	v_ashrrev_i32_e32 v7, 31, v6
	s_waitcnt lgkmcnt(0)
	v_lshl_add_u64 v[6:7], v[6:7], 3, s[2:3]
	global_load_dwordx4 v[14:17], v[6:7], off
	v_xor_b32_e32 v18, 0x80000000, v3
	v_mov_b32_e32 v19, v2
	v_pk_mul_f32 v[12:13], v[12:13], v[18:19] op_sel_hi:[0,1]
	v_pk_mul_f32 v[10:11], v[10:11], v[18:19] op_sel_hi:[0,1]
	v_pk_fma_f32 v[8:9], v[2:3], v[8:9], v[12:13] op_sel_hi:[1,0,1]
	v_pk_fma_f32 v[0:1], v[2:3], v[0:1], v[10:11] op_sel_hi:[1,0,1]
	v_xor_b32_e32 v20, 0x80000000, v5
	v_mov_b32_e32 v21, v4
	s_waitcnt vmcnt(0)
	v_pk_fma_f32 v[2:3], v[4:5], v[14:15], v[8:9] op_sel_hi:[1,0,1]
	v_pk_fma_f32 v[4:5], v[4:5], v[16:17], v[0:1] op_sel_hi:[1,0,1]
	v_mov_b32_e32 v8, v17
	v_pk_fma_f32 v[0:1], v[20:21], v[14:15], v[2:3] op_sel:[0,1,0]
	v_pk_fma_f32 v[2:3], v[20:21], v[8:9], v[4:5] op_sel_hi:[1,0,1]
	global_store_dwordx4 v[6:7], v[0:3], off
.LBB213_29:
	s_endpgm
	.section	.rodata,"a",@progbits
	.p2align	6, 0x0
	.amdhsa_kernel _ZN9rocsparseL19gebsrmvn_2xn_kernelILj128ELj14ELj8E21rocsparse_complex_numIfEEEvi20rocsparse_direction_NS_24const_host_device_scalarIT2_EEPKiS8_PKS5_SA_S6_PS5_21rocsparse_index_base_b
		.amdhsa_group_segment_fixed_size 0
		.amdhsa_private_segment_fixed_size 0
		.amdhsa_kernarg_size 72
		.amdhsa_user_sgpr_count 2
		.amdhsa_user_sgpr_dispatch_ptr 0
		.amdhsa_user_sgpr_queue_ptr 0
		.amdhsa_user_sgpr_kernarg_segment_ptr 1
		.amdhsa_user_sgpr_dispatch_id 0
		.amdhsa_user_sgpr_kernarg_preload_length 0
		.amdhsa_user_sgpr_kernarg_preload_offset 0
		.amdhsa_user_sgpr_private_segment_size 0
		.amdhsa_uses_dynamic_stack 0
		.amdhsa_enable_private_segment 0
		.amdhsa_system_sgpr_workgroup_id_x 1
		.amdhsa_system_sgpr_workgroup_id_y 0
		.amdhsa_system_sgpr_workgroup_id_z 0
		.amdhsa_system_sgpr_workgroup_info 0
		.amdhsa_system_vgpr_workitem_id 0
		.amdhsa_next_free_vgpr 92
		.amdhsa_next_free_sgpr 16
		.amdhsa_accum_offset 92
		.amdhsa_reserve_vcc 1
		.amdhsa_float_round_mode_32 0
		.amdhsa_float_round_mode_16_64 0
		.amdhsa_float_denorm_mode_32 3
		.amdhsa_float_denorm_mode_16_64 3
		.amdhsa_dx10_clamp 1
		.amdhsa_ieee_mode 1
		.amdhsa_fp16_overflow 0
		.amdhsa_tg_split 0
		.amdhsa_exception_fp_ieee_invalid_op 0
		.amdhsa_exception_fp_denorm_src 0
		.amdhsa_exception_fp_ieee_div_zero 0
		.amdhsa_exception_fp_ieee_overflow 0
		.amdhsa_exception_fp_ieee_underflow 0
		.amdhsa_exception_fp_ieee_inexact 0
		.amdhsa_exception_int_div_zero 0
	.end_amdhsa_kernel
	.section	.text._ZN9rocsparseL19gebsrmvn_2xn_kernelILj128ELj14ELj8E21rocsparse_complex_numIfEEEvi20rocsparse_direction_NS_24const_host_device_scalarIT2_EEPKiS8_PKS5_SA_S6_PS5_21rocsparse_index_base_b,"axG",@progbits,_ZN9rocsparseL19gebsrmvn_2xn_kernelILj128ELj14ELj8E21rocsparse_complex_numIfEEEvi20rocsparse_direction_NS_24const_host_device_scalarIT2_EEPKiS8_PKS5_SA_S6_PS5_21rocsparse_index_base_b,comdat
.Lfunc_end213:
	.size	_ZN9rocsparseL19gebsrmvn_2xn_kernelILj128ELj14ELj8E21rocsparse_complex_numIfEEEvi20rocsparse_direction_NS_24const_host_device_scalarIT2_EEPKiS8_PKS5_SA_S6_PS5_21rocsparse_index_base_b, .Lfunc_end213-_ZN9rocsparseL19gebsrmvn_2xn_kernelILj128ELj14ELj8E21rocsparse_complex_numIfEEEvi20rocsparse_direction_NS_24const_host_device_scalarIT2_EEPKiS8_PKS5_SA_S6_PS5_21rocsparse_index_base_b
                                        ; -- End function
	.section	.AMDGPU.csdata,"",@progbits
; Kernel info:
; codeLenInByte = 3360
; NumSgprs: 22
; NumVgprs: 92
; NumAgprs: 0
; TotalNumVgprs: 92
; ScratchSize: 0
; MemoryBound: 0
; FloatMode: 240
; IeeeMode: 1
; LDSByteSize: 0 bytes/workgroup (compile time only)
; SGPRBlocks: 2
; VGPRBlocks: 11
; NumSGPRsForWavesPerEU: 22
; NumVGPRsForWavesPerEU: 92
; AccumOffset: 92
; Occupancy: 5
; WaveLimiterHint : 1
; COMPUTE_PGM_RSRC2:SCRATCH_EN: 0
; COMPUTE_PGM_RSRC2:USER_SGPR: 2
; COMPUTE_PGM_RSRC2:TRAP_HANDLER: 0
; COMPUTE_PGM_RSRC2:TGID_X_EN: 1
; COMPUTE_PGM_RSRC2:TGID_Y_EN: 0
; COMPUTE_PGM_RSRC2:TGID_Z_EN: 0
; COMPUTE_PGM_RSRC2:TIDIG_COMP_CNT: 0
; COMPUTE_PGM_RSRC3_GFX90A:ACCUM_OFFSET: 22
; COMPUTE_PGM_RSRC3_GFX90A:TG_SPLIT: 0
	.section	.text._ZN9rocsparseL19gebsrmvn_2xn_kernelILj128ELj14ELj16E21rocsparse_complex_numIfEEEvi20rocsparse_direction_NS_24const_host_device_scalarIT2_EEPKiS8_PKS5_SA_S6_PS5_21rocsparse_index_base_b,"axG",@progbits,_ZN9rocsparseL19gebsrmvn_2xn_kernelILj128ELj14ELj16E21rocsparse_complex_numIfEEEvi20rocsparse_direction_NS_24const_host_device_scalarIT2_EEPKiS8_PKS5_SA_S6_PS5_21rocsparse_index_base_b,comdat
	.globl	_ZN9rocsparseL19gebsrmvn_2xn_kernelILj128ELj14ELj16E21rocsparse_complex_numIfEEEvi20rocsparse_direction_NS_24const_host_device_scalarIT2_EEPKiS8_PKS5_SA_S6_PS5_21rocsparse_index_base_b ; -- Begin function _ZN9rocsparseL19gebsrmvn_2xn_kernelILj128ELj14ELj16E21rocsparse_complex_numIfEEEvi20rocsparse_direction_NS_24const_host_device_scalarIT2_EEPKiS8_PKS5_SA_S6_PS5_21rocsparse_index_base_b
	.p2align	8
	.type	_ZN9rocsparseL19gebsrmvn_2xn_kernelILj128ELj14ELj16E21rocsparse_complex_numIfEEEvi20rocsparse_direction_NS_24const_host_device_scalarIT2_EEPKiS8_PKS5_SA_S6_PS5_21rocsparse_index_base_b,@function
_ZN9rocsparseL19gebsrmvn_2xn_kernelILj128ELj14ELj16E21rocsparse_complex_numIfEEEvi20rocsparse_direction_NS_24const_host_device_scalarIT2_EEPKiS8_PKS5_SA_S6_PS5_21rocsparse_index_base_b: ; @_ZN9rocsparseL19gebsrmvn_2xn_kernelILj128ELj14ELj16E21rocsparse_complex_numIfEEEvi20rocsparse_direction_NS_24const_host_device_scalarIT2_EEPKiS8_PKS5_SA_S6_PS5_21rocsparse_index_base_b
; %bb.0:
	s_load_dwordx2 s[12:13], s[0:1], 0x40
	s_load_dwordx2 s[8:9], s[0:1], 0x8
	;; [unrolled: 1-line block ×3, first 2 shown]
	s_waitcnt lgkmcnt(0)
	s_bitcmp1_b32 s13, 0
	s_cselect_b64 s[4:5], -1, 0
	s_xor_b64 s[10:11], s[4:5], -1
	s_and_b64 vcc, exec, s[4:5]
	v_mov_b32_e32 v2, s8
	s_cbranch_vccnz .LBB214_2
; %bb.1:
	v_mov_b64_e32 v[2:3], s[8:9]
	flat_load_dword v2, v[2:3]
.LBB214_2:
	v_cndmask_b32_e64 v1, 0, 1, s[10:11]
	v_cmp_ne_u32_e64 s[4:5], 1, v1
	s_andn2_b64 vcc, exec, s[10:11]
	v_mov_b32_e32 v3, s9
	s_cbranch_vccz .LBB214_16
; %bb.3:
	s_and_b64 vcc, exec, s[4:5]
	v_mov_b32_e32 v4, s6
	s_cbranch_vccz .LBB214_17
.LBB214_4:
	s_and_b64 vcc, exec, s[4:5]
	v_mov_b32_e32 v5, s7
	s_cbranch_vccnz .LBB214_6
.LBB214_5:
	v_mov_b64_e32 v[6:7], s[6:7]
	flat_load_dword v5, v[6:7] offset:4
.LBB214_6:
	s_waitcnt vmcnt(0) lgkmcnt(0)
	v_and_b32_e32 v1, 0x7fffffff, v2
	v_cmp_eq_u32_e32 vcc, 0, v1
	v_cmp_eq_f32_e64 s[4:5], 0, v3
	s_and_b64 s[8:9], vcc, s[4:5]
	s_mov_b64 s[4:5], -1
	s_and_saveexec_b64 s[6:7], s[8:9]
; %bb.7:
	v_and_b32_e32 v1, 0x7fffffff, v5
	v_cmp_neq_f32_e32 vcc, 1.0, v4
	v_cmp_ne_u32_e64 s[4:5], 0, v1
	s_or_b64 s[4:5], vcc, s[4:5]
	s_orn2_b64 s[4:5], s[4:5], exec
; %bb.8:
	s_or_b64 exec, exec, s[6:7]
	s_and_saveexec_b64 s[6:7], s[4:5]
	s_cbranch_execz .LBB214_29
; %bb.9:
	s_load_dwordx2 s[14:15], s[0:1], 0x0
	v_lshrrev_b32_e32 v1, 4, v0
	v_lshl_or_b32 v6, s2, 3, v1
	s_waitcnt lgkmcnt(0)
	v_cmp_gt_i32_e32 vcc, s14, v6
	s_and_b64 exec, exec, vcc
	s_cbranch_execz .LBB214_29
; %bb.10:
	s_load_dwordx8 s[4:11], s[0:1], 0x10
	v_ashrrev_i32_e32 v7, 31, v6
	s_cmp_lg_u32 s15, 0
	s_waitcnt lgkmcnt(0)
	v_lshl_add_u64 v[8:9], v[6:7], 2, s[4:5]
	global_load_dwordx2 v[8:9], v[8:9], off
	v_and_b32_e32 v7, 15, v0
	s_waitcnt vmcnt(0)
	v_subrev_u32_e32 v0, s12, v8
	v_subrev_u32_e32 v24, s12, v9
	v_add_u32_e32 v0, v0, v7
	v_cmp_lt_i32_e64 s[2:3], v0, v24
	s_cbranch_scc0 .LBB214_18
; %bb.11:
	v_mov_b32_e32 v11, 0
	v_mov_b32_e32 v10, v11
	;; [unrolled: 1-line block ×4, first 2 shown]
	s_and_saveexec_b64 s[4:5], s[2:3]
	s_cbranch_execz .LBB214_15
; %bb.12:
	v_mov_b32_e32 v13, 0
	v_mul_lo_u32 v12, v0, 28
	s_mov_b64 s[14:15], 0
	v_mov_b32_e32 v14, v0
	v_mov_b32_e32 v8, v13
	v_mov_b32_e32 v9, v13
	v_mov_b32_e32 v10, v13
	v_mov_b32_e32 v11, v13
.LBB214_13:                             ; =>This Inner Loop Header: Depth=1
	v_ashrrev_i32_e32 v15, 31, v14
	v_lshl_add_u64 v[34:35], v[12:13], 3, s[8:9]
	v_add_u32_e32 v36, 4, v12
	v_mov_b32_e32 v37, v13
	v_add_u32_e32 v38, 8, v12
	v_mov_b32_e32 v39, v13
	v_add_u32_e32 v40, 12, v12
	v_mov_b32_e32 v41, v13
	v_add_u32_e32 v42, 16, v12
	v_mov_b32_e32 v43, v13
	v_add_u32_e32 v44, 20, v12
	v_mov_b32_e32 v45, v13
	v_add_u32_e32 v46, 24, v12
	v_mov_b32_e32 v47, v13
	v_lshl_add_u64 v[66:67], v[14:15], 2, s[6:7]
	global_load_dwordx4 v[26:29], v[34:35], off offset:16
	global_load_dwordx4 v[30:33], v[34:35], off
	v_lshl_add_u64 v[68:69], v[36:37], 3, s[8:9]
	v_lshl_add_u64 v[76:77], v[38:39], 3, s[8:9]
	;; [unrolled: 1-line block ×6, first 2 shown]
	global_load_dword v1, v[66:67], off
	global_load_dwordx4 v[34:37], v[68:69], off offset:16
	global_load_dwordx4 v[38:41], v[68:69], off
	global_load_dwordx4 v[42:45], v[76:77], off offset:16
	global_load_dwordx4 v[46:49], v[76:77], off
	;; [unrolled: 2-line block ×4, first 2 shown]
	v_mov_b32_e32 v17, v13
	v_mov_b32_e32 v19, v13
	;; [unrolled: 1-line block ×7, first 2 shown]
	v_add_u32_e32 v14, 16, v14
	v_cmp_ge_i32_e32 vcc, v14, v24
	v_add_u32_e32 v12, 0x1c0, v12
	s_or_b64 s[14:15], vcc, s[14:15]
	s_waitcnt vmcnt(8)
	v_subrev_u32_e32 v1, s12, v1
	v_mul_lo_u32 v16, v1, 14
	v_lshl_add_u64 v[66:67], v[16:17], 3, s[10:11]
	global_load_dwordx4 v[66:69], v[66:67], off
	v_xor_b32_e32 v76, 0x80000000, v33
	v_mov_b32_e32 v77, v32
	v_add_u32_e32 v18, 2, v16
	v_add_u32_e32 v20, 4, v16
	;; [unrolled: 1-line block ×3, first 2 shown]
	v_lshl_add_u64 v[86:87], v[18:19], 3, s[10:11]
	v_add_u32_e32 v70, 8, v16
	v_add_u32_e32 v72, 10, v16
	;; [unrolled: 1-line block ×3, first 2 shown]
	v_lshl_add_u64 v[88:89], v[20:21], 3, s[10:11]
	v_lshl_add_u64 v[90:91], v[22:23], 3, s[10:11]
	;; [unrolled: 1-line block ×5, first 2 shown]
	s_waitcnt vmcnt(0)
	v_pk_fma_f32 v[10:11], v[30:31], v[66:67], v[10:11] op_sel_hi:[1,0,1]
	v_pk_fma_f32 v[78:79], v[32:33], v[66:67], v[8:9] op_sel_hi:[1,0,1]
	v_pk_fma_f32 v[80:81], v[30:31], v[66:67], v[10:11] op_sel:[1,1,0] op_sel_hi:[0,1,1] neg_lo:[1,0,0]
	v_pk_fma_f32 v[66:67], v[76:77], v[66:67], v[78:79] op_sel:[0,1,0]
	v_pk_fma_f32 v[78:79], v[26:27], v[68:69], v[80:81] op_sel_hi:[1,0,1]
	v_pk_fma_f32 v[66:67], v[28:29], v[68:69], v[66:67] op_sel_hi:[1,0,1]
	v_mov_b32_e32 v68, v69
	global_load_dwordx4 v[8:11], v[82:83], off offset:16
	global_load_dwordx4 v[30:33], v[82:83], off
	v_xor_b32_e32 v76, 0x80000000, v29
	v_mov_b32_e32 v77, v28
	v_pk_fma_f32 v[78:79], v[26:27], v[68:69], v[78:79] op_sel:[1,0,0] op_sel_hi:[0,0,1] neg_lo:[1,0,0]
	global_load_dwordx4 v[26:29], v[84:85], off
	global_load_dwordx4 v[16:19], v[86:87], off
	;; [unrolled: 1-line block ×3, first 2 shown]
	v_pk_fma_f32 v[66:67], v[76:77], v[68:69], v[66:67] op_sel_hi:[1,0,1]
	v_xor_b32_e32 v80, 0x80000000, v41
	v_mov_b32_e32 v81, v40
	v_xor_b32_e32 v82, 0x80000000, v37
	v_mov_b32_e32 v83, v36
	s_waitcnt vmcnt(1)
	v_pk_fma_f32 v[68:69], v[38:39], v[16:17], v[78:79] op_sel_hi:[1,0,1]
	v_pk_fma_f32 v[76:77], v[40:41], v[16:17], v[66:67] op_sel_hi:[1,0,1]
	v_pk_fma_f32 v[78:79], v[38:39], v[16:17], v[68:69] op_sel:[1,1,0] op_sel_hi:[0,1,1] neg_lo:[1,0,0]
	global_load_dwordx4 v[38:41], v[90:91], off
	global_load_dwordx4 v[66:69], v[70:71], off
	v_pk_fma_f32 v[16:17], v[80:81], v[16:17], v[76:77] op_sel:[0,1,0]
	global_load_dwordx4 v[70:73], v[72:73], off
	v_pk_fma_f32 v[76:77], v[34:35], v[18:19], v[78:79] op_sel_hi:[1,0,1]
	v_pk_fma_f32 v[78:79], v[36:37], v[18:19], v[16:17] op_sel_hi:[1,0,1]
	v_mov_b32_e32 v80, v19
	global_load_dwordx4 v[16:19], v[74:75], off
	v_pk_fma_f32 v[74:75], v[34:35], v[80:81], v[76:77] op_sel:[1,0,0] op_sel_hi:[0,0,1] neg_lo:[1,0,0]
	global_load_dwordx4 v[34:37], v[84:85], off offset:16
	v_pk_fma_f32 v[78:79], v[82:83], v[80:81], v[78:79] op_sel_hi:[1,0,1]
	v_xor_b32_e32 v76, 0x80000000, v49
	v_mov_b32_e32 v77, v48
	s_waitcnt vmcnt(5)
	v_pk_fma_f32 v[74:75], v[46:47], v[20:21], v[74:75] op_sel_hi:[1,0,1]
	v_pk_fma_f32 v[48:49], v[48:49], v[20:21], v[78:79] op_sel_hi:[1,0,1]
	v_pk_fma_f32 v[46:47], v[46:47], v[20:21], v[74:75] op_sel:[1,1,0] op_sel_hi:[0,1,1] neg_lo:[1,0,0]
	v_pk_fma_f32 v[20:21], v[76:77], v[20:21], v[48:49] op_sel:[0,1,0]
	v_xor_b32_e32 v80, 0x80000000, v45
	v_mov_b32_e32 v81, v44
	v_pk_fma_f32 v[46:47], v[42:43], v[22:23], v[46:47] op_sel_hi:[1,0,1]
	v_pk_fma_f32 v[20:21], v[44:45], v[22:23], v[20:21] op_sel_hi:[1,0,1]
	v_mov_b32_e32 v22, v23
	v_pk_fma_f32 v[42:43], v[42:43], v[22:23], v[46:47] op_sel:[1,0,0] op_sel_hi:[0,0,1] neg_lo:[1,0,0]
	v_pk_fma_f32 v[20:21], v[80:81], v[22:23], v[20:21] op_sel_hi:[1,0,1]
	v_xor_b32_e32 v82, 0x80000000, v57
	v_mov_b32_e32 v83, v56
	v_xor_b32_e32 v74, 0x80000000, v53
	v_mov_b32_e32 v75, v52
	;; [unrolled: 2-line block ×7, first 2 shown]
	s_waitcnt vmcnt(4)
	v_pk_fma_f32 v[42:43], v[54:55], v[38:39], v[42:43] op_sel_hi:[1,0,1]
	v_pk_fma_f32 v[20:21], v[56:57], v[38:39], v[20:21] op_sel_hi:[1,0,1]
	v_pk_fma_f32 v[42:43], v[54:55], v[38:39], v[42:43] op_sel:[1,1,0] op_sel_hi:[0,1,1] neg_lo:[1,0,0]
	v_pk_fma_f32 v[20:21], v[82:83], v[38:39], v[20:21] op_sel:[0,1,0]
	v_mov_b32_e32 v80, v41
	v_pk_fma_f32 v[42:43], v[50:51], v[40:41], v[42:43] op_sel_hi:[1,0,1]
	v_pk_fma_f32 v[20:21], v[52:53], v[40:41], v[20:21] op_sel_hi:[1,0,1]
	v_pk_fma_f32 v[40:41], v[50:51], v[80:81], v[42:43] op_sel:[1,0,0] op_sel_hi:[0,0,1] neg_lo:[1,0,0]
	v_pk_fma_f32 v[20:21], v[74:75], v[80:81], v[20:21] op_sel_hi:[1,0,1]
	s_waitcnt vmcnt(3)
	v_pk_fma_f32 v[40:41], v[62:63], v[66:67], v[40:41] op_sel_hi:[1,0,1]
	v_pk_fma_f32 v[20:21], v[64:65], v[66:67], v[20:21] op_sel_hi:[1,0,1]
	v_pk_fma_f32 v[40:41], v[62:63], v[66:67], v[40:41] op_sel:[1,1,0] op_sel_hi:[0,1,1] neg_lo:[1,0,0]
	v_pk_fma_f32 v[20:21], v[78:79], v[66:67], v[20:21] op_sel:[0,1,0]
	v_mov_b32_e32 v54, v69
	v_pk_fma_f32 v[40:41], v[58:59], v[68:69], v[40:41] op_sel_hi:[1,0,1]
	v_pk_fma_f32 v[20:21], v[60:61], v[68:69], v[20:21] op_sel_hi:[1,0,1]
	v_pk_fma_f32 v[40:41], v[58:59], v[54:55], v[40:41] op_sel:[1,0,0] op_sel_hi:[0,0,1] neg_lo:[1,0,0]
	v_pk_fma_f32 v[20:21], v[48:49], v[54:55], v[20:21] op_sel_hi:[1,0,1]
	;; [unrolled: 10-line block ×3, first 2 shown]
	s_waitcnt vmcnt(1)
	v_pk_fma_f32 v[8:9], v[26:27], v[16:17], v[8:9] op_sel_hi:[1,0,1]
	v_pk_fma_f32 v[10:11], v[28:29], v[16:17], v[10:11] op_sel_hi:[1,0,1]
	v_pk_fma_f32 v[8:9], v[26:27], v[16:17], v[8:9] op_sel:[1,1,0] op_sel_hi:[0,1,1] neg_lo:[1,0,0]
	v_pk_fma_f32 v[10:11], v[76:77], v[16:17], v[10:11] op_sel:[0,1,0]
	s_waitcnt vmcnt(0)
	v_xor_b32_e32 v22, 0x80000000, v37
	v_mov_b32_e32 v23, v36
	v_mov_b32_e32 v38, v19
	v_pk_fma_f32 v[8:9], v[34:35], v[18:19], v[8:9] op_sel_hi:[1,0,1]
	v_pk_fma_f32 v[16:17], v[36:37], v[18:19], v[10:11] op_sel_hi:[1,0,1]
	v_pk_fma_f32 v[10:11], v[34:35], v[38:39], v[8:9] op_sel:[1,0,0] op_sel_hi:[0,0,1] neg_lo:[1,0,0]
	v_pk_fma_f32 v[8:9], v[22:23], v[38:39], v[16:17] op_sel_hi:[1,0,1]
	s_andn2_b64 exec, exec, s[14:15]
	s_cbranch_execnz .LBB214_13
; %bb.14:
	s_or_b64 exec, exec, s[14:15]
.LBB214_15:
	s_or_b64 exec, exec, s[4:5]
	s_cbranch_execz .LBB214_19
	s_branch .LBB214_24
.LBB214_16:
	v_mov_b64_e32 v[4:5], s[8:9]
	flat_load_dword v3, v[4:5] offset:4
	s_and_b64 vcc, exec, s[4:5]
	v_mov_b32_e32 v4, s6
	s_cbranch_vccnz .LBB214_4
.LBB214_17:
	v_mov_b64_e32 v[4:5], s[6:7]
	flat_load_dword v4, v[4:5]
	s_and_b64 vcc, exec, s[4:5]
	v_mov_b32_e32 v5, s7
	s_cbranch_vccz .LBB214_5
	s_branch .LBB214_6
.LBB214_18:
                                        ; implicit-def: $vgpr11
                                        ; implicit-def: $vgpr9
.LBB214_19:
	v_mov_b32_e32 v11, 0
	v_mov_b32_e32 v10, v11
	;; [unrolled: 1-line block ×4, first 2 shown]
	s_and_saveexec_b64 s[4:5], s[2:3]
	s_cbranch_execz .LBB214_23
; %bb.20:
	v_mad_u64_u32 v[12:13], s[2:3], v0, 28, 27
	v_mov_b32_e32 v15, 0
	s_mov_b64 s[2:3], 0
	v_mov_b32_e32 v8, v15
	v_mov_b32_e32 v9, v15
	;; [unrolled: 1-line block ×4, first 2 shown]
.LBB214_21:                             ; =>This Inner Loop Header: Depth=1
	v_ashrrev_i32_e32 v1, 31, v0
	v_subrev_u32_e32 v14, 27, v12
	v_add_u32_e32 v18, -13, v12
	v_mov_b32_e32 v19, v15
	v_lshl_add_u64 v[22:23], v[0:1], 2, s[6:7]
	v_lshl_add_u64 v[30:31], v[14:15], 3, s[8:9]
	;; [unrolled: 1-line block ×3, first 2 shown]
	global_load_dword v1, v[22:23], off
	global_load_dwordx4 v[18:21], v[30:31], off
	global_load_dwordx4 v[26:29], v[30:31], off offset:16
	v_mov_b32_e32 v17, v15
	v_add_u32_e32 v14, -12, v12
	v_lshl_add_u64 v[22:23], v[14:15], 3, s[8:9]
	global_load_dwordx2 v[40:41], v[32:33], off
	global_load_dwordx2 v[42:43], v[22:23], off
	v_mov_b32_e32 v13, v15
	v_lshl_add_u64 v[38:39], v[12:13], 3, s[8:9]
	v_add_u32_e32 v0, 16, v0
	v_cmp_ge_i32_e32 vcc, v0, v24
	s_or_b64 s[2:3], vcc, s[2:3]
	s_waitcnt vmcnt(4)
	v_subrev_u32_e32 v1, s12, v1
	v_mul_lo_u32 v16, v1, 14
	v_lshl_add_u64 v[30:31], v[16:17], 3, s[10:11]
	global_load_dwordx4 v[30:33], v[30:31], off
	v_add_u32_e32 v14, 2, v16
	v_lshl_add_u64 v[34:35], v[14:15], 3, s[10:11]
	global_load_dwordx4 v[34:37], v[34:35], off
	v_add_u32_e32 v14, -11, v12
	v_lshl_add_u64 v[46:47], v[14:15], 3, s[8:9]
	global_load_dwordx2 v[46:47], v[46:47], off
	v_add_u32_e32 v14, -10, v12
	v_lshl_add_u64 v[48:49], v[14:15], 3, s[8:9]
	global_load_dwordx2 v[48:49], v[48:49], off
	v_subrev_u32_e32 v14, 23, v12
	v_lshl_add_u64 v[50:51], v[14:15], 3, s[8:9]
	global_load_dwordx2 v[50:51], v[50:51], off
	v_add_u32_e32 v14, 4, v16
	s_waitcnt vmcnt(8)
	v_xor_b32_e32 v22, 0x80000000, v21
	v_mov_b32_e32 v23, v20
	v_lshl_add_u64 v[52:53], v[14:15], 3, s[10:11]
	v_add_u32_e32 v14, -9, v12
	v_lshl_add_u64 v[54:55], v[14:15], 3, s[8:9]
	v_subrev_u32_e32 v14, 22, v12
	v_lshl_add_u64 v[56:57], v[14:15], 3, s[8:9]
	v_add_u32_e32 v14, -8, v12
	v_lshl_add_u64 v[58:59], v[14:15], 3, s[8:9]
	v_subrev_u32_e32 v14, 21, v12
	v_lshl_add_u64 v[60:61], v[14:15], 3, s[8:9]
	v_add_u32_e32 v14, 6, v16
	v_lshl_add_u64 v[62:63], v[14:15], 3, s[10:11]
	v_add_u32_e32 v14, -7, v12
	v_lshl_add_u64 v[64:65], v[14:15], 3, s[8:9]
	v_subrev_u32_e32 v14, 20, v12
	v_lshl_add_u64 v[66:67], v[14:15], 3, s[8:9]
	v_add_u32_e32 v14, -6, v12
	v_lshl_add_u64 v[68:69], v[14:15], 3, s[8:9]
	v_subrev_u32_e32 v14, 19, v12
	v_lshl_add_u64 v[70:71], v[14:15], 3, s[8:9]
	v_add_u32_e32 v14, 8, v16
	v_lshl_add_u64 v[72:73], v[14:15], 3, s[10:11]
	v_add_u32_e32 v14, -5, v12
	v_lshl_add_u64 v[74:75], v[14:15], 3, s[8:9]
	v_subrev_u32_e32 v14, 18, v12
	v_lshl_add_u64 v[76:77], v[14:15], 3, s[8:9]
	v_add_u32_e32 v14, -4, v12
	s_waitcnt vmcnt(7)
	v_xor_b32_e32 v44, 0x80000000, v29
	v_mov_b32_e32 v45, v28
	s_waitcnt vmcnt(4)
	v_pk_fma_f32 v[10:11], v[18:19], v[30:31], v[10:11] op_sel_hi:[1,0,1]
	s_nop 0
	v_pk_fma_f32 v[10:11], v[18:19], v[30:31], v[10:11] op_sel:[1,1,0] op_sel_hi:[0,1,1] neg_lo:[1,0,0]
	v_pk_fma_f32 v[8:9], v[40:41], v[30:31], v[8:9] op_sel_hi:[1,0,1]
	v_pk_fma_f32 v[10:11], v[20:21], v[32:33], v[10:11] op_sel_hi:[1,0,1]
	v_pk_fma_f32 v[8:9], v[40:41], v[30:31], v[8:9] op_sel:[1,1,0] op_sel_hi:[0,1,1] neg_lo:[1,0,0]
	v_mov_b32_e32 v18, v33
	v_pk_fma_f32 v[8:9], v[42:43], v[32:33], v[8:9] op_sel_hi:[1,0,1]
	v_pk_fma_f32 v[10:11], v[22:23], v[18:19], v[10:11] op_sel_hi:[1,0,1]
	v_pk_fma_f32 v[18:19], v[42:43], v[18:19], v[8:9] op_sel:[1,0,0] op_sel_hi:[0,0,1] neg_lo:[1,0,0]
	s_waitcnt vmcnt(3)
	v_pk_fma_f32 v[8:9], v[26:27], v[34:35], v[10:11] op_sel_hi:[1,0,1]
	v_lshl_add_u64 v[30:31], v[14:15], 3, s[8:9]
	v_pk_fma_f32 v[8:9], v[26:27], v[34:35], v[8:9] op_sel:[1,1,0] op_sel_hi:[0,1,1] neg_lo:[1,0,0]
	v_pk_fma_f32 v[26:27], v[28:29], v[36:37], v[8:9] op_sel_hi:[1,0,1]
	global_load_dwordx4 v[8:11], v[52:53], off
	global_load_dwordx2 v[84:85], v[54:55], off
	global_load_dwordx2 v[86:87], v[56:57], off
	;; [unrolled: 1-line block ×4, first 2 shown]
	v_subrev_u32_e32 v14, 17, v12
	v_lshl_add_u64 v[32:33], v[14:15], 3, s[8:9]
	v_add_u32_e32 v14, 10, v16
	v_lshl_add_u64 v[40:41], v[14:15], 3, s[10:11]
	v_add_u32_e32 v14, -3, v12
	v_lshl_add_u64 v[42:43], v[14:15], 3, s[8:9]
	v_add_u32_e32 v14, -16, v12
	;; [unrolled: 2-line block ×4, first 2 shown]
	v_lshl_add_u64 v[82:83], v[14:15], 3, s[8:9]
	v_add_u32_e32 v14, 12, v16
	s_waitcnt vmcnt(7)
	v_pk_fma_f32 v[16:17], v[46:47], v[34:35], v[18:19] op_sel_hi:[1,0,1]
	s_nop 0
	v_pk_fma_f32 v[20:21], v[46:47], v[34:35], v[16:17] op_sel:[1,1,0] op_sel_hi:[0,1,1] neg_lo:[1,0,0]
	global_load_dwordx4 v[16:19], v[62:63], off
	global_load_dwordx2 v[34:35], v[64:65], off
	global_load_dwordx2 v[46:47], v[66:67], off
	;; [unrolled: 1-line block ×4, first 2 shown]
	s_waitcnt vmcnt(11)
	v_pk_fma_f32 v[56:57], v[48:49], v[36:37], v[20:21] op_sel_hi:[1,0,1]
	global_load_dwordx4 v[20:23], v[72:73], off
	global_load_dwordx2 v[58:59], v[74:75], off
	global_load_dwordx2 v[60:61], v[76:77], off
	;; [unrolled: 1-line block ×4, first 2 shown]
	v_mov_b32_e32 v36, v37
	v_pk_fma_f32 v[44:45], v[44:45], v[36:37], v[26:27] op_sel_hi:[1,0,1]
	global_load_dwordx4 v[26:29], v[40:41], off
	global_load_dwordx2 v[66:67], v[42:43], off
	global_load_dwordx2 v[68:69], v[78:79], off
	;; [unrolled: 1-line block ×3, first 2 shown]
	v_lshl_add_u64 v[30:31], v[14:15], 3, s[10:11]
	v_add_u32_e32 v14, -1, v12
	v_pk_fma_f32 v[36:37], v[48:49], v[36:37], v[56:57] op_sel:[1,0,0] op_sel_hi:[0,0,1] neg_lo:[1,0,0]
	global_load_dwordx2 v[40:41], v[82:83], off
	s_waitcnt vmcnt(19)
	v_pk_fma_f32 v[42:43], v[50:51], v[8:9], v[44:45] op_sel_hi:[1,0,1]
	v_lshl_add_u64 v[44:45], v[14:15], 3, s[8:9]
	global_load_dwordx2 v[44:45], v[44:45], off
	v_add_u32_e32 v14, -14, v12
	global_load_dwordx4 v[30:33], v[30:31], off
	s_waitcnt vmcnt(20)
	v_pk_fma_f32 v[36:37], v[84:85], v[8:9], v[36:37] op_sel_hi:[1,0,1]
	v_pk_fma_f32 v[42:43], v[50:51], v[8:9], v[42:43] op_sel:[1,1,0] op_sel_hi:[0,1,1] neg_lo:[1,0,0]
	v_pk_fma_f32 v[8:9], v[84:85], v[8:9], v[36:37] op_sel:[1,1,0] op_sel_hi:[0,1,1] neg_lo:[1,0,0]
	v_lshl_add_u64 v[36:37], v[14:15], 3, s[8:9]
	global_load_dwordx2 v[48:49], v[36:37], off
	global_load_dwordx2 v[50:51], v[38:39], off
	s_waitcnt vmcnt(21)
	v_pk_fma_f32 v[36:37], v[86:87], v[10:11], v[42:43] op_sel_hi:[1,0,1]
	s_waitcnt vmcnt(20)
	v_pk_fma_f32 v[8:9], v[88:89], v[10:11], v[8:9] op_sel_hi:[1,0,1]
	v_mov_b32_e32 v10, v11
	v_pk_fma_f32 v[36:37], v[86:87], v[10:11], v[36:37] op_sel:[1,0,0] op_sel_hi:[0,0,1] neg_lo:[1,0,0]
	v_pk_fma_f32 v[8:9], v[88:89], v[10:11], v[8:9] op_sel:[1,0,0] op_sel_hi:[0,0,1] neg_lo:[1,0,0]
	v_add_u32_e32 v12, 0x1c0, v12
	s_waitcnt vmcnt(18)
	v_pk_fma_f32 v[10:11], v[90:91], v[16:17], v[36:37] op_sel_hi:[1,0,1]
	s_waitcnt vmcnt(17)
	v_pk_fma_f32 v[8:9], v[34:35], v[16:17], v[8:9] op_sel_hi:[1,0,1]
	v_pk_fma_f32 v[10:11], v[90:91], v[16:17], v[10:11] op_sel:[1,1,0] op_sel_hi:[0,1,1] neg_lo:[1,0,0]
	v_pk_fma_f32 v[8:9], v[34:35], v[16:17], v[8:9] op_sel:[1,1,0] op_sel_hi:[0,1,1] neg_lo:[1,0,0]
	v_mov_b32_e32 v14, v19
	s_waitcnt vmcnt(16)
	v_pk_fma_f32 v[10:11], v[46:47], v[18:19], v[10:11] op_sel_hi:[1,0,1]
	s_waitcnt vmcnt(15)
	v_pk_fma_f32 v[8:9], v[52:53], v[18:19], v[8:9] op_sel_hi:[1,0,1]
	v_pk_fma_f32 v[10:11], v[46:47], v[14:15], v[10:11] op_sel:[1,0,0] op_sel_hi:[0,0,1] neg_lo:[1,0,0]
	v_pk_fma_f32 v[8:9], v[52:53], v[14:15], v[8:9] op_sel:[1,0,0] op_sel_hi:[0,0,1] neg_lo:[1,0,0]
	s_waitcnt vmcnt(13)
	v_pk_fma_f32 v[10:11], v[54:55], v[20:21], v[10:11] op_sel_hi:[1,0,1]
	s_waitcnt vmcnt(12)
	v_pk_fma_f32 v[8:9], v[58:59], v[20:21], v[8:9] op_sel_hi:[1,0,1]
	v_pk_fma_f32 v[10:11], v[54:55], v[20:21], v[10:11] op_sel:[1,1,0] op_sel_hi:[0,1,1] neg_lo:[1,0,0]
	v_pk_fma_f32 v[8:9], v[58:59], v[20:21], v[8:9] op_sel:[1,1,0] op_sel_hi:[0,1,1] neg_lo:[1,0,0]
	v_mov_b32_e32 v14, v23
	s_waitcnt vmcnt(11)
	v_pk_fma_f32 v[10:11], v[60:61], v[22:23], v[10:11] op_sel_hi:[1,0,1]
	s_waitcnt vmcnt(10)
	v_pk_fma_f32 v[8:9], v[62:63], v[22:23], v[8:9] op_sel_hi:[1,0,1]
	v_pk_fma_f32 v[10:11], v[60:61], v[14:15], v[10:11] op_sel:[1,0,0] op_sel_hi:[0,0,1] neg_lo:[1,0,0]
	v_pk_fma_f32 v[8:9], v[62:63], v[14:15], v[8:9] op_sel:[1,0,0] op_sel_hi:[0,0,1] neg_lo:[1,0,0]
	;; [unrolled: 13-line block ×3, first 2 shown]
	s_waitcnt vmcnt(2)
	v_pk_fma_f32 v[10:11], v[40:41], v[30:31], v[10:11] op_sel_hi:[1,0,1]
	v_pk_fma_f32 v[8:9], v[44:45], v[30:31], v[8:9] op_sel_hi:[1,0,1]
	v_pk_fma_f32 v[10:11], v[40:41], v[30:31], v[10:11] op_sel:[1,1,0] op_sel_hi:[0,1,1] neg_lo:[1,0,0]
	v_pk_fma_f32 v[8:9], v[44:45], v[30:31], v[8:9] op_sel:[1,1,0] op_sel_hi:[0,1,1] neg_lo:[1,0,0]
	v_mov_b32_e32 v14, v33
	s_waitcnt vmcnt(1)
	v_pk_fma_f32 v[10:11], v[48:49], v[32:33], v[10:11] op_sel_hi:[1,0,1]
	s_waitcnt vmcnt(0)
	v_pk_fma_f32 v[8:9], v[50:51], v[32:33], v[8:9] op_sel_hi:[1,0,1]
	v_pk_fma_f32 v[10:11], v[48:49], v[14:15], v[10:11] op_sel:[1,0,0] op_sel_hi:[0,0,1] neg_lo:[1,0,0]
	v_pk_fma_f32 v[8:9], v[50:51], v[14:15], v[8:9] op_sel:[1,0,0] op_sel_hi:[0,0,1] neg_lo:[1,0,0]
	s_andn2_b64 exec, exec, s[2:3]
	s_cbranch_execnz .LBB214_21
; %bb.22:
	s_or_b64 exec, exec, s[2:3]
.LBB214_23:
	s_or_b64 exec, exec, s[4:5]
.LBB214_24:
	v_mov_b32_dpp v12, v8 row_shr:1 row_mask:0xf bank_mask:0xf
	v_add_f32_e32 v8, v8, v12
	v_mov_b32_dpp v0, v10 row_shr:1 row_mask:0xf bank_mask:0xf
	v_add_f32_e32 v0, v10, v0
	;; [unrolled: 2-line block ×6, first 2 shown]
	v_mov_b32_dpp v1, v0 row_shr:2 row_mask:0xf bank_mask:0xf
	v_mov_b32_dpp v11, v10 row_shr:2 row_mask:0xf bank_mask:0xf
	;; [unrolled: 1-line block ×3, first 2 shown]
	v_add_f32_e32 v0, v0, v1
	v_add_f32_e32 v10, v10, v11
	;; [unrolled: 1-line block ×3, first 2 shown]
	v_mov_b32_dpp v1, v0 row_shr:4 row_mask:0xf bank_mask:0xe
	v_mov_b32_dpp v11, v10 row_shr:4 row_mask:0xf bank_mask:0xe
	;; [unrolled: 1-line block ×3, first 2 shown]
	v_add_f32_e32 v0, v0, v1
	v_add_f32_e32 v10, v10, v11
	;; [unrolled: 1-line block ×3, first 2 shown]
	v_mov_b32_dpp v1, v0 row_shr:8 row_mask:0xf bank_mask:0xc
	v_mov_b32_dpp v11, v10 row_shr:8 row_mask:0xf bank_mask:0xc
	;; [unrolled: 1-line block ×4, first 2 shown]
	v_cmp_eq_u32_e32 vcc, 15, v7
	s_and_b64 exec, exec, vcc
	s_cbranch_execz .LBB214_29
; %bb.25:
	s_load_dwordx2 s[2:3], s[0:1], 0x38
	v_add_f32_e32 v8, v0, v1
	v_and_b32_e32 v1, 0x7fffffff, v4
	v_cmp_eq_u32_e32 vcc, 0, v1
	v_cmp_eq_f32_e64 s[0:1], 0, v5
	v_add_f32_e32 v12, v10, v11
	v_add_f32_e32 v0, v13, v14
	v_add_f32_e32 v10, v9, v15
	s_and_b64 s[0:1], vcc, s[0:1]
	s_and_saveexec_b64 s[4:5], s[0:1]
	s_xor_b64 s[0:1], exec, s[4:5]
	s_cbranch_execz .LBB214_27
; %bb.26:
	v_lshlrev_b32_e32 v4, 1, v6
	v_xor_b32_e32 v14, 0x80000000, v3
	v_ashrrev_i32_e32 v5, 31, v4
	v_mov_b32_e32 v15, v2
	s_waitcnt lgkmcnt(0)
	v_lshl_add_u64 v[16:17], v[4:5], 3, s[2:3]
	v_pk_mul_f32 v[4:5], v[12:13], v[14:15] op_sel_hi:[0,1]
	v_pk_mul_f32 v[6:7], v[10:11], v[14:15] op_sel_hi:[0,1]
	v_pk_fma_f32 v[4:5], v[2:3], v[8:9], v[4:5] op_sel_hi:[1,0,1]
	v_pk_fma_f32 v[6:7], v[2:3], v[0:1], v[6:7] op_sel_hi:[1,0,1]
	global_store_dwordx4 v[16:17], v[4:7], off
                                        ; implicit-def: $vgpr3
                                        ; implicit-def: $vgpr4
                                        ; implicit-def: $vgpr6
                                        ; implicit-def: $vgpr8
                                        ; implicit-def: $vgpr12
                                        ; implicit-def: $vgpr0
                                        ; implicit-def: $vgpr10
.LBB214_27:
	s_andn2_saveexec_b64 s[0:1], s[0:1]
	s_cbranch_execz .LBB214_29
; %bb.28:
	v_lshlrev_b32_e32 v6, 1, v6
	v_ashrrev_i32_e32 v7, 31, v6
	s_waitcnt lgkmcnt(0)
	v_lshl_add_u64 v[6:7], v[6:7], 3, s[2:3]
	global_load_dwordx4 v[14:17], v[6:7], off
	v_xor_b32_e32 v18, 0x80000000, v3
	v_mov_b32_e32 v19, v2
	v_pk_mul_f32 v[12:13], v[12:13], v[18:19] op_sel_hi:[0,1]
	v_pk_mul_f32 v[10:11], v[10:11], v[18:19] op_sel_hi:[0,1]
	v_pk_fma_f32 v[8:9], v[2:3], v[8:9], v[12:13] op_sel_hi:[1,0,1]
	v_pk_fma_f32 v[0:1], v[2:3], v[0:1], v[10:11] op_sel_hi:[1,0,1]
	v_xor_b32_e32 v20, 0x80000000, v5
	v_mov_b32_e32 v21, v4
	s_waitcnt vmcnt(0)
	v_pk_fma_f32 v[2:3], v[4:5], v[14:15], v[8:9] op_sel_hi:[1,0,1]
	v_pk_fma_f32 v[4:5], v[4:5], v[16:17], v[0:1] op_sel_hi:[1,0,1]
	v_mov_b32_e32 v8, v17
	v_pk_fma_f32 v[0:1], v[20:21], v[14:15], v[2:3] op_sel:[0,1,0]
	v_pk_fma_f32 v[2:3], v[20:21], v[8:9], v[4:5] op_sel_hi:[1,0,1]
	global_store_dwordx4 v[6:7], v[0:3], off
.LBB214_29:
	s_endpgm
	.section	.rodata,"a",@progbits
	.p2align	6, 0x0
	.amdhsa_kernel _ZN9rocsparseL19gebsrmvn_2xn_kernelILj128ELj14ELj16E21rocsparse_complex_numIfEEEvi20rocsparse_direction_NS_24const_host_device_scalarIT2_EEPKiS8_PKS5_SA_S6_PS5_21rocsparse_index_base_b
		.amdhsa_group_segment_fixed_size 0
		.amdhsa_private_segment_fixed_size 0
		.amdhsa_kernarg_size 72
		.amdhsa_user_sgpr_count 2
		.amdhsa_user_sgpr_dispatch_ptr 0
		.amdhsa_user_sgpr_queue_ptr 0
		.amdhsa_user_sgpr_kernarg_segment_ptr 1
		.amdhsa_user_sgpr_dispatch_id 0
		.amdhsa_user_sgpr_kernarg_preload_length 0
		.amdhsa_user_sgpr_kernarg_preload_offset 0
		.amdhsa_user_sgpr_private_segment_size 0
		.amdhsa_uses_dynamic_stack 0
		.amdhsa_enable_private_segment 0
		.amdhsa_system_sgpr_workgroup_id_x 1
		.amdhsa_system_sgpr_workgroup_id_y 0
		.amdhsa_system_sgpr_workgroup_id_z 0
		.amdhsa_system_sgpr_workgroup_info 0
		.amdhsa_system_vgpr_workitem_id 0
		.amdhsa_next_free_vgpr 92
		.amdhsa_next_free_sgpr 16
		.amdhsa_accum_offset 92
		.amdhsa_reserve_vcc 1
		.amdhsa_float_round_mode_32 0
		.amdhsa_float_round_mode_16_64 0
		.amdhsa_float_denorm_mode_32 3
		.amdhsa_float_denorm_mode_16_64 3
		.amdhsa_dx10_clamp 1
		.amdhsa_ieee_mode 1
		.amdhsa_fp16_overflow 0
		.amdhsa_tg_split 0
		.amdhsa_exception_fp_ieee_invalid_op 0
		.amdhsa_exception_fp_denorm_src 0
		.amdhsa_exception_fp_ieee_div_zero 0
		.amdhsa_exception_fp_ieee_overflow 0
		.amdhsa_exception_fp_ieee_underflow 0
		.amdhsa_exception_fp_ieee_inexact 0
		.amdhsa_exception_int_div_zero 0
	.end_amdhsa_kernel
	.section	.text._ZN9rocsparseL19gebsrmvn_2xn_kernelILj128ELj14ELj16E21rocsparse_complex_numIfEEEvi20rocsparse_direction_NS_24const_host_device_scalarIT2_EEPKiS8_PKS5_SA_S6_PS5_21rocsparse_index_base_b,"axG",@progbits,_ZN9rocsparseL19gebsrmvn_2xn_kernelILj128ELj14ELj16E21rocsparse_complex_numIfEEEvi20rocsparse_direction_NS_24const_host_device_scalarIT2_EEPKiS8_PKS5_SA_S6_PS5_21rocsparse_index_base_b,comdat
.Lfunc_end214:
	.size	_ZN9rocsparseL19gebsrmvn_2xn_kernelILj128ELj14ELj16E21rocsparse_complex_numIfEEEvi20rocsparse_direction_NS_24const_host_device_scalarIT2_EEPKiS8_PKS5_SA_S6_PS5_21rocsparse_index_base_b, .Lfunc_end214-_ZN9rocsparseL19gebsrmvn_2xn_kernelILj128ELj14ELj16E21rocsparse_complex_numIfEEEvi20rocsparse_direction_NS_24const_host_device_scalarIT2_EEPKiS8_PKS5_SA_S6_PS5_21rocsparse_index_base_b
                                        ; -- End function
	.section	.AMDGPU.csdata,"",@progbits
; Kernel info:
; codeLenInByte = 3408
; NumSgprs: 22
; NumVgprs: 92
; NumAgprs: 0
; TotalNumVgprs: 92
; ScratchSize: 0
; MemoryBound: 0
; FloatMode: 240
; IeeeMode: 1
; LDSByteSize: 0 bytes/workgroup (compile time only)
; SGPRBlocks: 2
; VGPRBlocks: 11
; NumSGPRsForWavesPerEU: 22
; NumVGPRsForWavesPerEU: 92
; AccumOffset: 92
; Occupancy: 5
; WaveLimiterHint : 1
; COMPUTE_PGM_RSRC2:SCRATCH_EN: 0
; COMPUTE_PGM_RSRC2:USER_SGPR: 2
; COMPUTE_PGM_RSRC2:TRAP_HANDLER: 0
; COMPUTE_PGM_RSRC2:TGID_X_EN: 1
; COMPUTE_PGM_RSRC2:TGID_Y_EN: 0
; COMPUTE_PGM_RSRC2:TGID_Z_EN: 0
; COMPUTE_PGM_RSRC2:TIDIG_COMP_CNT: 0
; COMPUTE_PGM_RSRC3_GFX90A:ACCUM_OFFSET: 22
; COMPUTE_PGM_RSRC3_GFX90A:TG_SPLIT: 0
	.section	.text._ZN9rocsparseL19gebsrmvn_2xn_kernelILj128ELj14ELj32E21rocsparse_complex_numIfEEEvi20rocsparse_direction_NS_24const_host_device_scalarIT2_EEPKiS8_PKS5_SA_S6_PS5_21rocsparse_index_base_b,"axG",@progbits,_ZN9rocsparseL19gebsrmvn_2xn_kernelILj128ELj14ELj32E21rocsparse_complex_numIfEEEvi20rocsparse_direction_NS_24const_host_device_scalarIT2_EEPKiS8_PKS5_SA_S6_PS5_21rocsparse_index_base_b,comdat
	.globl	_ZN9rocsparseL19gebsrmvn_2xn_kernelILj128ELj14ELj32E21rocsparse_complex_numIfEEEvi20rocsparse_direction_NS_24const_host_device_scalarIT2_EEPKiS8_PKS5_SA_S6_PS5_21rocsparse_index_base_b ; -- Begin function _ZN9rocsparseL19gebsrmvn_2xn_kernelILj128ELj14ELj32E21rocsparse_complex_numIfEEEvi20rocsparse_direction_NS_24const_host_device_scalarIT2_EEPKiS8_PKS5_SA_S6_PS5_21rocsparse_index_base_b
	.p2align	8
	.type	_ZN9rocsparseL19gebsrmvn_2xn_kernelILj128ELj14ELj32E21rocsparse_complex_numIfEEEvi20rocsparse_direction_NS_24const_host_device_scalarIT2_EEPKiS8_PKS5_SA_S6_PS5_21rocsparse_index_base_b,@function
_ZN9rocsparseL19gebsrmvn_2xn_kernelILj128ELj14ELj32E21rocsparse_complex_numIfEEEvi20rocsparse_direction_NS_24const_host_device_scalarIT2_EEPKiS8_PKS5_SA_S6_PS5_21rocsparse_index_base_b: ; @_ZN9rocsparseL19gebsrmvn_2xn_kernelILj128ELj14ELj32E21rocsparse_complex_numIfEEEvi20rocsparse_direction_NS_24const_host_device_scalarIT2_EEPKiS8_PKS5_SA_S6_PS5_21rocsparse_index_base_b
; %bb.0:
	s_load_dwordx2 s[12:13], s[0:1], 0x40
	s_load_dwordx2 s[8:9], s[0:1], 0x8
	;; [unrolled: 1-line block ×3, first 2 shown]
	s_waitcnt lgkmcnt(0)
	s_bitcmp1_b32 s13, 0
	s_cselect_b64 s[4:5], -1, 0
	s_xor_b64 s[10:11], s[4:5], -1
	s_and_b64 vcc, exec, s[4:5]
	v_mov_b32_e32 v2, s8
	s_cbranch_vccnz .LBB215_2
; %bb.1:
	v_mov_b64_e32 v[2:3], s[8:9]
	flat_load_dword v2, v[2:3]
.LBB215_2:
	v_cndmask_b32_e64 v1, 0, 1, s[10:11]
	v_cmp_ne_u32_e64 s[4:5], 1, v1
	s_andn2_b64 vcc, exec, s[10:11]
	v_mov_b32_e32 v3, s9
	s_cbranch_vccz .LBB215_16
; %bb.3:
	s_and_b64 vcc, exec, s[4:5]
	v_mov_b32_e32 v4, s6
	s_cbranch_vccz .LBB215_17
.LBB215_4:
	s_and_b64 vcc, exec, s[4:5]
	v_mov_b32_e32 v5, s7
	s_cbranch_vccnz .LBB215_6
.LBB215_5:
	v_mov_b64_e32 v[6:7], s[6:7]
	flat_load_dword v5, v[6:7] offset:4
.LBB215_6:
	s_waitcnt vmcnt(0) lgkmcnt(0)
	v_and_b32_e32 v1, 0x7fffffff, v2
	v_cmp_eq_u32_e32 vcc, 0, v1
	v_cmp_eq_f32_e64 s[4:5], 0, v3
	s_and_b64 s[8:9], vcc, s[4:5]
	s_mov_b64 s[4:5], -1
	s_and_saveexec_b64 s[6:7], s[8:9]
; %bb.7:
	v_and_b32_e32 v1, 0x7fffffff, v5
	v_cmp_neq_f32_e32 vcc, 1.0, v4
	v_cmp_ne_u32_e64 s[4:5], 0, v1
	s_or_b64 s[4:5], vcc, s[4:5]
	s_orn2_b64 s[4:5], s[4:5], exec
; %bb.8:
	s_or_b64 exec, exec, s[6:7]
	s_and_saveexec_b64 s[6:7], s[4:5]
	s_cbranch_execz .LBB215_29
; %bb.9:
	s_load_dwordx2 s[14:15], s[0:1], 0x0
	v_lshrrev_b32_e32 v1, 5, v0
	v_lshl_or_b32 v6, s2, 2, v1
	s_waitcnt lgkmcnt(0)
	v_cmp_gt_i32_e32 vcc, s14, v6
	s_and_b64 exec, exec, vcc
	s_cbranch_execz .LBB215_29
; %bb.10:
	s_load_dwordx8 s[4:11], s[0:1], 0x10
	v_ashrrev_i32_e32 v7, 31, v6
	s_cmp_lg_u32 s15, 0
	s_waitcnt lgkmcnt(0)
	v_lshl_add_u64 v[8:9], v[6:7], 2, s[4:5]
	global_load_dwordx2 v[8:9], v[8:9], off
	v_and_b32_e32 v7, 31, v0
	s_waitcnt vmcnt(0)
	v_subrev_u32_e32 v0, s12, v8
	v_subrev_u32_e32 v24, s12, v9
	v_add_u32_e32 v0, v0, v7
	v_cmp_lt_i32_e64 s[2:3], v0, v24
	s_cbranch_scc0 .LBB215_18
; %bb.11:
	v_mov_b32_e32 v11, 0
	v_mov_b32_e32 v10, v11
	;; [unrolled: 1-line block ×4, first 2 shown]
	s_and_saveexec_b64 s[4:5], s[2:3]
	s_cbranch_execz .LBB215_15
; %bb.12:
	v_mov_b32_e32 v13, 0
	v_mul_lo_u32 v12, v0, 28
	s_mov_b64 s[14:15], 0
	v_mov_b32_e32 v14, v0
	v_mov_b32_e32 v8, v13
	;; [unrolled: 1-line block ×5, first 2 shown]
.LBB215_13:                             ; =>This Inner Loop Header: Depth=1
	v_ashrrev_i32_e32 v15, 31, v14
	v_lshl_add_u64 v[34:35], v[12:13], 3, s[8:9]
	v_add_u32_e32 v36, 4, v12
	v_mov_b32_e32 v37, v13
	v_add_u32_e32 v38, 8, v12
	v_mov_b32_e32 v39, v13
	;; [unrolled: 2-line block ×6, first 2 shown]
	v_lshl_add_u64 v[66:67], v[14:15], 2, s[6:7]
	global_load_dwordx4 v[26:29], v[34:35], off offset:16
	global_load_dwordx4 v[30:33], v[34:35], off
	v_lshl_add_u64 v[68:69], v[36:37], 3, s[8:9]
	v_lshl_add_u64 v[76:77], v[38:39], 3, s[8:9]
	;; [unrolled: 1-line block ×6, first 2 shown]
	global_load_dword v1, v[66:67], off
	global_load_dwordx4 v[34:37], v[68:69], off offset:16
	global_load_dwordx4 v[38:41], v[68:69], off
	global_load_dwordx4 v[42:45], v[76:77], off offset:16
	global_load_dwordx4 v[46:49], v[76:77], off
	;; [unrolled: 2-line block ×4, first 2 shown]
	v_mov_b32_e32 v17, v13
	v_mov_b32_e32 v19, v13
	;; [unrolled: 1-line block ×7, first 2 shown]
	v_add_u32_e32 v14, 32, v14
	v_cmp_ge_i32_e32 vcc, v14, v24
	v_add_u32_e32 v12, 0x380, v12
	s_or_b64 s[14:15], vcc, s[14:15]
	s_waitcnt vmcnt(8)
	v_subrev_u32_e32 v1, s12, v1
	v_mul_lo_u32 v16, v1, 14
	v_lshl_add_u64 v[66:67], v[16:17], 3, s[10:11]
	global_load_dwordx4 v[66:69], v[66:67], off
	v_xor_b32_e32 v76, 0x80000000, v33
	v_mov_b32_e32 v77, v32
	v_add_u32_e32 v18, 2, v16
	v_add_u32_e32 v20, 4, v16
	;; [unrolled: 1-line block ×3, first 2 shown]
	v_lshl_add_u64 v[86:87], v[18:19], 3, s[10:11]
	v_add_u32_e32 v70, 8, v16
	v_add_u32_e32 v72, 10, v16
	;; [unrolled: 1-line block ×3, first 2 shown]
	v_lshl_add_u64 v[88:89], v[20:21], 3, s[10:11]
	v_lshl_add_u64 v[90:91], v[22:23], 3, s[10:11]
	;; [unrolled: 1-line block ×5, first 2 shown]
	s_waitcnt vmcnt(0)
	v_pk_fma_f32 v[10:11], v[30:31], v[66:67], v[10:11] op_sel_hi:[1,0,1]
	v_pk_fma_f32 v[78:79], v[32:33], v[66:67], v[8:9] op_sel_hi:[1,0,1]
	v_pk_fma_f32 v[80:81], v[30:31], v[66:67], v[10:11] op_sel:[1,1,0] op_sel_hi:[0,1,1] neg_lo:[1,0,0]
	v_pk_fma_f32 v[66:67], v[76:77], v[66:67], v[78:79] op_sel:[0,1,0]
	v_pk_fma_f32 v[78:79], v[26:27], v[68:69], v[80:81] op_sel_hi:[1,0,1]
	v_pk_fma_f32 v[66:67], v[28:29], v[68:69], v[66:67] op_sel_hi:[1,0,1]
	v_mov_b32_e32 v68, v69
	global_load_dwordx4 v[8:11], v[82:83], off offset:16
	global_load_dwordx4 v[30:33], v[82:83], off
	v_xor_b32_e32 v76, 0x80000000, v29
	v_mov_b32_e32 v77, v28
	v_pk_fma_f32 v[78:79], v[26:27], v[68:69], v[78:79] op_sel:[1,0,0] op_sel_hi:[0,0,1] neg_lo:[1,0,0]
	global_load_dwordx4 v[26:29], v[84:85], off
	global_load_dwordx4 v[16:19], v[86:87], off
	;; [unrolled: 1-line block ×3, first 2 shown]
	v_pk_fma_f32 v[66:67], v[76:77], v[68:69], v[66:67] op_sel_hi:[1,0,1]
	v_xor_b32_e32 v80, 0x80000000, v41
	v_mov_b32_e32 v81, v40
	v_xor_b32_e32 v82, 0x80000000, v37
	v_mov_b32_e32 v83, v36
	s_waitcnt vmcnt(1)
	v_pk_fma_f32 v[68:69], v[38:39], v[16:17], v[78:79] op_sel_hi:[1,0,1]
	v_pk_fma_f32 v[76:77], v[40:41], v[16:17], v[66:67] op_sel_hi:[1,0,1]
	v_pk_fma_f32 v[78:79], v[38:39], v[16:17], v[68:69] op_sel:[1,1,0] op_sel_hi:[0,1,1] neg_lo:[1,0,0]
	global_load_dwordx4 v[38:41], v[90:91], off
	global_load_dwordx4 v[66:69], v[70:71], off
	v_pk_fma_f32 v[16:17], v[80:81], v[16:17], v[76:77] op_sel:[0,1,0]
	global_load_dwordx4 v[70:73], v[72:73], off
	v_pk_fma_f32 v[76:77], v[34:35], v[18:19], v[78:79] op_sel_hi:[1,0,1]
	v_pk_fma_f32 v[78:79], v[36:37], v[18:19], v[16:17] op_sel_hi:[1,0,1]
	v_mov_b32_e32 v80, v19
	global_load_dwordx4 v[16:19], v[74:75], off
	v_pk_fma_f32 v[74:75], v[34:35], v[80:81], v[76:77] op_sel:[1,0,0] op_sel_hi:[0,0,1] neg_lo:[1,0,0]
	global_load_dwordx4 v[34:37], v[84:85], off offset:16
	v_pk_fma_f32 v[78:79], v[82:83], v[80:81], v[78:79] op_sel_hi:[1,0,1]
	v_xor_b32_e32 v76, 0x80000000, v49
	v_mov_b32_e32 v77, v48
	s_waitcnt vmcnt(5)
	v_pk_fma_f32 v[74:75], v[46:47], v[20:21], v[74:75] op_sel_hi:[1,0,1]
	v_pk_fma_f32 v[48:49], v[48:49], v[20:21], v[78:79] op_sel_hi:[1,0,1]
	v_pk_fma_f32 v[46:47], v[46:47], v[20:21], v[74:75] op_sel:[1,1,0] op_sel_hi:[0,1,1] neg_lo:[1,0,0]
	v_pk_fma_f32 v[20:21], v[76:77], v[20:21], v[48:49] op_sel:[0,1,0]
	v_xor_b32_e32 v80, 0x80000000, v45
	v_mov_b32_e32 v81, v44
	v_pk_fma_f32 v[46:47], v[42:43], v[22:23], v[46:47] op_sel_hi:[1,0,1]
	v_pk_fma_f32 v[20:21], v[44:45], v[22:23], v[20:21] op_sel_hi:[1,0,1]
	v_mov_b32_e32 v22, v23
	v_pk_fma_f32 v[42:43], v[42:43], v[22:23], v[46:47] op_sel:[1,0,0] op_sel_hi:[0,0,1] neg_lo:[1,0,0]
	v_pk_fma_f32 v[20:21], v[80:81], v[22:23], v[20:21] op_sel_hi:[1,0,1]
	v_xor_b32_e32 v82, 0x80000000, v57
	v_mov_b32_e32 v83, v56
	v_xor_b32_e32 v74, 0x80000000, v53
	v_mov_b32_e32 v75, v52
	;; [unrolled: 2-line block ×7, first 2 shown]
	s_waitcnt vmcnt(4)
	v_pk_fma_f32 v[42:43], v[54:55], v[38:39], v[42:43] op_sel_hi:[1,0,1]
	v_pk_fma_f32 v[20:21], v[56:57], v[38:39], v[20:21] op_sel_hi:[1,0,1]
	v_pk_fma_f32 v[42:43], v[54:55], v[38:39], v[42:43] op_sel:[1,1,0] op_sel_hi:[0,1,1] neg_lo:[1,0,0]
	v_pk_fma_f32 v[20:21], v[82:83], v[38:39], v[20:21] op_sel:[0,1,0]
	v_mov_b32_e32 v80, v41
	v_pk_fma_f32 v[42:43], v[50:51], v[40:41], v[42:43] op_sel_hi:[1,0,1]
	v_pk_fma_f32 v[20:21], v[52:53], v[40:41], v[20:21] op_sel_hi:[1,0,1]
	v_pk_fma_f32 v[40:41], v[50:51], v[80:81], v[42:43] op_sel:[1,0,0] op_sel_hi:[0,0,1] neg_lo:[1,0,0]
	v_pk_fma_f32 v[20:21], v[74:75], v[80:81], v[20:21] op_sel_hi:[1,0,1]
	s_waitcnt vmcnt(3)
	v_pk_fma_f32 v[40:41], v[62:63], v[66:67], v[40:41] op_sel_hi:[1,0,1]
	v_pk_fma_f32 v[20:21], v[64:65], v[66:67], v[20:21] op_sel_hi:[1,0,1]
	v_pk_fma_f32 v[40:41], v[62:63], v[66:67], v[40:41] op_sel:[1,1,0] op_sel_hi:[0,1,1] neg_lo:[1,0,0]
	v_pk_fma_f32 v[20:21], v[78:79], v[66:67], v[20:21] op_sel:[0,1,0]
	v_mov_b32_e32 v54, v69
	v_pk_fma_f32 v[40:41], v[58:59], v[68:69], v[40:41] op_sel_hi:[1,0,1]
	v_pk_fma_f32 v[20:21], v[60:61], v[68:69], v[20:21] op_sel_hi:[1,0,1]
	v_pk_fma_f32 v[40:41], v[58:59], v[54:55], v[40:41] op_sel:[1,0,0] op_sel_hi:[0,0,1] neg_lo:[1,0,0]
	v_pk_fma_f32 v[20:21], v[48:49], v[54:55], v[20:21] op_sel_hi:[1,0,1]
	s_waitcnt vmcnt(2)
	v_pk_fma_f32 v[40:41], v[30:31], v[70:71], v[40:41] op_sel_hi:[1,0,1]
	v_pk_fma_f32 v[20:21], v[32:33], v[70:71], v[20:21] op_sel_hi:[1,0,1]
	v_pk_fma_f32 v[30:31], v[30:31], v[70:71], v[40:41] op_sel:[1,1,0] op_sel_hi:[0,1,1] neg_lo:[1,0,0]
	v_pk_fma_f32 v[20:21], v[44:45], v[70:71], v[20:21] op_sel:[0,1,0]
	v_mov_b32_e32 v56, v73
	v_pk_fma_f32 v[30:31], v[8:9], v[72:73], v[30:31] op_sel_hi:[1,0,1]
	v_pk_fma_f32 v[10:11], v[10:11], v[72:73], v[20:21] op_sel_hi:[1,0,1]
	v_pk_fma_f32 v[8:9], v[8:9], v[56:57], v[30:31] op_sel:[1,0,0] op_sel_hi:[0,0,1] neg_lo:[1,0,0]
	v_pk_fma_f32 v[10:11], v[46:47], v[56:57], v[10:11] op_sel_hi:[1,0,1]
	s_waitcnt vmcnt(1)
	v_pk_fma_f32 v[8:9], v[26:27], v[16:17], v[8:9] op_sel_hi:[1,0,1]
	v_pk_fma_f32 v[10:11], v[28:29], v[16:17], v[10:11] op_sel_hi:[1,0,1]
	v_pk_fma_f32 v[8:9], v[26:27], v[16:17], v[8:9] op_sel:[1,1,0] op_sel_hi:[0,1,1] neg_lo:[1,0,0]
	v_pk_fma_f32 v[10:11], v[76:77], v[16:17], v[10:11] op_sel:[0,1,0]
	s_waitcnt vmcnt(0)
	v_xor_b32_e32 v22, 0x80000000, v37
	v_mov_b32_e32 v23, v36
	v_mov_b32_e32 v38, v19
	v_pk_fma_f32 v[8:9], v[34:35], v[18:19], v[8:9] op_sel_hi:[1,0,1]
	v_pk_fma_f32 v[16:17], v[36:37], v[18:19], v[10:11] op_sel_hi:[1,0,1]
	v_pk_fma_f32 v[10:11], v[34:35], v[38:39], v[8:9] op_sel:[1,0,0] op_sel_hi:[0,0,1] neg_lo:[1,0,0]
	v_pk_fma_f32 v[8:9], v[22:23], v[38:39], v[16:17] op_sel_hi:[1,0,1]
	s_andn2_b64 exec, exec, s[14:15]
	s_cbranch_execnz .LBB215_13
; %bb.14:
	s_or_b64 exec, exec, s[14:15]
.LBB215_15:
	s_or_b64 exec, exec, s[4:5]
	s_cbranch_execz .LBB215_19
	s_branch .LBB215_24
.LBB215_16:
	v_mov_b64_e32 v[4:5], s[8:9]
	flat_load_dword v3, v[4:5] offset:4
	s_and_b64 vcc, exec, s[4:5]
	v_mov_b32_e32 v4, s6
	s_cbranch_vccnz .LBB215_4
.LBB215_17:
	v_mov_b64_e32 v[4:5], s[6:7]
	flat_load_dword v4, v[4:5]
	s_and_b64 vcc, exec, s[4:5]
	v_mov_b32_e32 v5, s7
	s_cbranch_vccz .LBB215_5
	s_branch .LBB215_6
.LBB215_18:
                                        ; implicit-def: $vgpr11
                                        ; implicit-def: $vgpr9
.LBB215_19:
	v_mov_b32_e32 v11, 0
	v_mov_b32_e32 v10, v11
	;; [unrolled: 1-line block ×4, first 2 shown]
	s_and_saveexec_b64 s[4:5], s[2:3]
	s_cbranch_execz .LBB215_23
; %bb.20:
	v_mad_u64_u32 v[12:13], s[2:3], v0, 28, 27
	v_mov_b32_e32 v15, 0
	s_mov_b64 s[2:3], 0
	v_mov_b32_e32 v8, v15
	v_mov_b32_e32 v9, v15
	v_mov_b32_e32 v10, v15
	v_mov_b32_e32 v11, v15
.LBB215_21:                             ; =>This Inner Loop Header: Depth=1
	v_ashrrev_i32_e32 v1, 31, v0
	v_subrev_u32_e32 v14, 27, v12
	v_add_u32_e32 v18, -13, v12
	v_mov_b32_e32 v19, v15
	v_lshl_add_u64 v[22:23], v[0:1], 2, s[6:7]
	v_lshl_add_u64 v[30:31], v[14:15], 3, s[8:9]
	;; [unrolled: 1-line block ×3, first 2 shown]
	global_load_dword v1, v[22:23], off
	global_load_dwordx4 v[18:21], v[30:31], off
	global_load_dwordx4 v[26:29], v[30:31], off offset:16
	v_mov_b32_e32 v17, v15
	v_add_u32_e32 v14, -12, v12
	v_lshl_add_u64 v[22:23], v[14:15], 3, s[8:9]
	global_load_dwordx2 v[40:41], v[32:33], off
	global_load_dwordx2 v[42:43], v[22:23], off
	v_mov_b32_e32 v13, v15
	v_lshl_add_u64 v[38:39], v[12:13], 3, s[8:9]
	v_add_u32_e32 v0, 32, v0
	v_cmp_ge_i32_e32 vcc, v0, v24
	s_or_b64 s[2:3], vcc, s[2:3]
	s_waitcnt vmcnt(4)
	v_subrev_u32_e32 v1, s12, v1
	v_mul_lo_u32 v16, v1, 14
	v_lshl_add_u64 v[30:31], v[16:17], 3, s[10:11]
	global_load_dwordx4 v[30:33], v[30:31], off
	v_add_u32_e32 v14, 2, v16
	v_lshl_add_u64 v[34:35], v[14:15], 3, s[10:11]
	global_load_dwordx4 v[34:37], v[34:35], off
	v_add_u32_e32 v14, -11, v12
	v_lshl_add_u64 v[46:47], v[14:15], 3, s[8:9]
	global_load_dwordx2 v[46:47], v[46:47], off
	v_add_u32_e32 v14, -10, v12
	v_lshl_add_u64 v[48:49], v[14:15], 3, s[8:9]
	global_load_dwordx2 v[48:49], v[48:49], off
	v_subrev_u32_e32 v14, 23, v12
	v_lshl_add_u64 v[50:51], v[14:15], 3, s[8:9]
	global_load_dwordx2 v[50:51], v[50:51], off
	v_add_u32_e32 v14, 4, v16
	s_waitcnt vmcnt(8)
	v_xor_b32_e32 v22, 0x80000000, v21
	v_mov_b32_e32 v23, v20
	v_lshl_add_u64 v[52:53], v[14:15], 3, s[10:11]
	v_add_u32_e32 v14, -9, v12
	v_lshl_add_u64 v[54:55], v[14:15], 3, s[8:9]
	v_subrev_u32_e32 v14, 22, v12
	v_lshl_add_u64 v[56:57], v[14:15], 3, s[8:9]
	v_add_u32_e32 v14, -8, v12
	v_lshl_add_u64 v[58:59], v[14:15], 3, s[8:9]
	v_subrev_u32_e32 v14, 21, v12
	v_lshl_add_u64 v[60:61], v[14:15], 3, s[8:9]
	v_add_u32_e32 v14, 6, v16
	v_lshl_add_u64 v[62:63], v[14:15], 3, s[10:11]
	v_add_u32_e32 v14, -7, v12
	v_lshl_add_u64 v[64:65], v[14:15], 3, s[8:9]
	v_subrev_u32_e32 v14, 20, v12
	v_lshl_add_u64 v[66:67], v[14:15], 3, s[8:9]
	v_add_u32_e32 v14, -6, v12
	v_lshl_add_u64 v[68:69], v[14:15], 3, s[8:9]
	v_subrev_u32_e32 v14, 19, v12
	v_lshl_add_u64 v[70:71], v[14:15], 3, s[8:9]
	v_add_u32_e32 v14, 8, v16
	v_lshl_add_u64 v[72:73], v[14:15], 3, s[10:11]
	v_add_u32_e32 v14, -5, v12
	v_lshl_add_u64 v[74:75], v[14:15], 3, s[8:9]
	v_subrev_u32_e32 v14, 18, v12
	v_lshl_add_u64 v[76:77], v[14:15], 3, s[8:9]
	v_add_u32_e32 v14, -4, v12
	s_waitcnt vmcnt(7)
	v_xor_b32_e32 v44, 0x80000000, v29
	v_mov_b32_e32 v45, v28
	s_waitcnt vmcnt(4)
	v_pk_fma_f32 v[10:11], v[18:19], v[30:31], v[10:11] op_sel_hi:[1,0,1]
	s_nop 0
	v_pk_fma_f32 v[10:11], v[18:19], v[30:31], v[10:11] op_sel:[1,1,0] op_sel_hi:[0,1,1] neg_lo:[1,0,0]
	v_pk_fma_f32 v[8:9], v[40:41], v[30:31], v[8:9] op_sel_hi:[1,0,1]
	v_pk_fma_f32 v[10:11], v[20:21], v[32:33], v[10:11] op_sel_hi:[1,0,1]
	v_pk_fma_f32 v[8:9], v[40:41], v[30:31], v[8:9] op_sel:[1,1,0] op_sel_hi:[0,1,1] neg_lo:[1,0,0]
	v_mov_b32_e32 v18, v33
	v_pk_fma_f32 v[8:9], v[42:43], v[32:33], v[8:9] op_sel_hi:[1,0,1]
	v_pk_fma_f32 v[10:11], v[22:23], v[18:19], v[10:11] op_sel_hi:[1,0,1]
	v_pk_fma_f32 v[18:19], v[42:43], v[18:19], v[8:9] op_sel:[1,0,0] op_sel_hi:[0,0,1] neg_lo:[1,0,0]
	s_waitcnt vmcnt(3)
	v_pk_fma_f32 v[8:9], v[26:27], v[34:35], v[10:11] op_sel_hi:[1,0,1]
	v_lshl_add_u64 v[30:31], v[14:15], 3, s[8:9]
	v_pk_fma_f32 v[8:9], v[26:27], v[34:35], v[8:9] op_sel:[1,1,0] op_sel_hi:[0,1,1] neg_lo:[1,0,0]
	v_pk_fma_f32 v[26:27], v[28:29], v[36:37], v[8:9] op_sel_hi:[1,0,1]
	global_load_dwordx4 v[8:11], v[52:53], off
	global_load_dwordx2 v[84:85], v[54:55], off
	global_load_dwordx2 v[86:87], v[56:57], off
	;; [unrolled: 1-line block ×4, first 2 shown]
	v_subrev_u32_e32 v14, 17, v12
	v_lshl_add_u64 v[32:33], v[14:15], 3, s[8:9]
	v_add_u32_e32 v14, 10, v16
	v_lshl_add_u64 v[40:41], v[14:15], 3, s[10:11]
	v_add_u32_e32 v14, -3, v12
	v_lshl_add_u64 v[42:43], v[14:15], 3, s[8:9]
	v_add_u32_e32 v14, -16, v12
	;; [unrolled: 2-line block ×4, first 2 shown]
	v_lshl_add_u64 v[82:83], v[14:15], 3, s[8:9]
	v_add_u32_e32 v14, 12, v16
	s_waitcnt vmcnt(7)
	v_pk_fma_f32 v[16:17], v[46:47], v[34:35], v[18:19] op_sel_hi:[1,0,1]
	s_nop 0
	v_pk_fma_f32 v[20:21], v[46:47], v[34:35], v[16:17] op_sel:[1,1,0] op_sel_hi:[0,1,1] neg_lo:[1,0,0]
	global_load_dwordx4 v[16:19], v[62:63], off
	global_load_dwordx2 v[34:35], v[64:65], off
	global_load_dwordx2 v[46:47], v[66:67], off
	;; [unrolled: 1-line block ×4, first 2 shown]
	s_waitcnt vmcnt(11)
	v_pk_fma_f32 v[56:57], v[48:49], v[36:37], v[20:21] op_sel_hi:[1,0,1]
	global_load_dwordx4 v[20:23], v[72:73], off
	global_load_dwordx2 v[58:59], v[74:75], off
	global_load_dwordx2 v[60:61], v[76:77], off
	;; [unrolled: 1-line block ×4, first 2 shown]
	v_mov_b32_e32 v36, v37
	v_pk_fma_f32 v[44:45], v[44:45], v[36:37], v[26:27] op_sel_hi:[1,0,1]
	global_load_dwordx4 v[26:29], v[40:41], off
	global_load_dwordx2 v[66:67], v[42:43], off
	global_load_dwordx2 v[68:69], v[78:79], off
	;; [unrolled: 1-line block ×3, first 2 shown]
	v_lshl_add_u64 v[30:31], v[14:15], 3, s[10:11]
	v_add_u32_e32 v14, -1, v12
	v_pk_fma_f32 v[36:37], v[48:49], v[36:37], v[56:57] op_sel:[1,0,0] op_sel_hi:[0,0,1] neg_lo:[1,0,0]
	global_load_dwordx2 v[40:41], v[82:83], off
	s_waitcnt vmcnt(19)
	v_pk_fma_f32 v[42:43], v[50:51], v[8:9], v[44:45] op_sel_hi:[1,0,1]
	v_lshl_add_u64 v[44:45], v[14:15], 3, s[8:9]
	global_load_dwordx2 v[44:45], v[44:45], off
	v_add_u32_e32 v14, -14, v12
	global_load_dwordx4 v[30:33], v[30:31], off
	s_waitcnt vmcnt(20)
	v_pk_fma_f32 v[36:37], v[84:85], v[8:9], v[36:37] op_sel_hi:[1,0,1]
	v_pk_fma_f32 v[42:43], v[50:51], v[8:9], v[42:43] op_sel:[1,1,0] op_sel_hi:[0,1,1] neg_lo:[1,0,0]
	v_pk_fma_f32 v[8:9], v[84:85], v[8:9], v[36:37] op_sel:[1,1,0] op_sel_hi:[0,1,1] neg_lo:[1,0,0]
	v_lshl_add_u64 v[36:37], v[14:15], 3, s[8:9]
	global_load_dwordx2 v[48:49], v[36:37], off
	global_load_dwordx2 v[50:51], v[38:39], off
	s_waitcnt vmcnt(21)
	v_pk_fma_f32 v[36:37], v[86:87], v[10:11], v[42:43] op_sel_hi:[1,0,1]
	s_waitcnt vmcnt(20)
	v_pk_fma_f32 v[8:9], v[88:89], v[10:11], v[8:9] op_sel_hi:[1,0,1]
	v_mov_b32_e32 v10, v11
	v_pk_fma_f32 v[36:37], v[86:87], v[10:11], v[36:37] op_sel:[1,0,0] op_sel_hi:[0,0,1] neg_lo:[1,0,0]
	v_pk_fma_f32 v[8:9], v[88:89], v[10:11], v[8:9] op_sel:[1,0,0] op_sel_hi:[0,0,1] neg_lo:[1,0,0]
	v_add_u32_e32 v12, 0x380, v12
	s_waitcnt vmcnt(18)
	v_pk_fma_f32 v[10:11], v[90:91], v[16:17], v[36:37] op_sel_hi:[1,0,1]
	s_waitcnt vmcnt(17)
	v_pk_fma_f32 v[8:9], v[34:35], v[16:17], v[8:9] op_sel_hi:[1,0,1]
	v_pk_fma_f32 v[10:11], v[90:91], v[16:17], v[10:11] op_sel:[1,1,0] op_sel_hi:[0,1,1] neg_lo:[1,0,0]
	v_pk_fma_f32 v[8:9], v[34:35], v[16:17], v[8:9] op_sel:[1,1,0] op_sel_hi:[0,1,1] neg_lo:[1,0,0]
	v_mov_b32_e32 v14, v19
	s_waitcnt vmcnt(16)
	v_pk_fma_f32 v[10:11], v[46:47], v[18:19], v[10:11] op_sel_hi:[1,0,1]
	s_waitcnt vmcnt(15)
	v_pk_fma_f32 v[8:9], v[52:53], v[18:19], v[8:9] op_sel_hi:[1,0,1]
	v_pk_fma_f32 v[10:11], v[46:47], v[14:15], v[10:11] op_sel:[1,0,0] op_sel_hi:[0,0,1] neg_lo:[1,0,0]
	v_pk_fma_f32 v[8:9], v[52:53], v[14:15], v[8:9] op_sel:[1,0,0] op_sel_hi:[0,0,1] neg_lo:[1,0,0]
	s_waitcnt vmcnt(13)
	v_pk_fma_f32 v[10:11], v[54:55], v[20:21], v[10:11] op_sel_hi:[1,0,1]
	s_waitcnt vmcnt(12)
	v_pk_fma_f32 v[8:9], v[58:59], v[20:21], v[8:9] op_sel_hi:[1,0,1]
	v_pk_fma_f32 v[10:11], v[54:55], v[20:21], v[10:11] op_sel:[1,1,0] op_sel_hi:[0,1,1] neg_lo:[1,0,0]
	v_pk_fma_f32 v[8:9], v[58:59], v[20:21], v[8:9] op_sel:[1,1,0] op_sel_hi:[0,1,1] neg_lo:[1,0,0]
	v_mov_b32_e32 v14, v23
	s_waitcnt vmcnt(11)
	v_pk_fma_f32 v[10:11], v[60:61], v[22:23], v[10:11] op_sel_hi:[1,0,1]
	s_waitcnt vmcnt(10)
	v_pk_fma_f32 v[8:9], v[62:63], v[22:23], v[8:9] op_sel_hi:[1,0,1]
	v_pk_fma_f32 v[10:11], v[60:61], v[14:15], v[10:11] op_sel:[1,0,0] op_sel_hi:[0,0,1] neg_lo:[1,0,0]
	v_pk_fma_f32 v[8:9], v[62:63], v[14:15], v[8:9] op_sel:[1,0,0] op_sel_hi:[0,0,1] neg_lo:[1,0,0]
	;; [unrolled: 13-line block ×3, first 2 shown]
	s_waitcnt vmcnt(2)
	v_pk_fma_f32 v[10:11], v[40:41], v[30:31], v[10:11] op_sel_hi:[1,0,1]
	v_pk_fma_f32 v[8:9], v[44:45], v[30:31], v[8:9] op_sel_hi:[1,0,1]
	v_pk_fma_f32 v[10:11], v[40:41], v[30:31], v[10:11] op_sel:[1,1,0] op_sel_hi:[0,1,1] neg_lo:[1,0,0]
	v_pk_fma_f32 v[8:9], v[44:45], v[30:31], v[8:9] op_sel:[1,1,0] op_sel_hi:[0,1,1] neg_lo:[1,0,0]
	v_mov_b32_e32 v14, v33
	s_waitcnt vmcnt(1)
	v_pk_fma_f32 v[10:11], v[48:49], v[32:33], v[10:11] op_sel_hi:[1,0,1]
	s_waitcnt vmcnt(0)
	v_pk_fma_f32 v[8:9], v[50:51], v[32:33], v[8:9] op_sel_hi:[1,0,1]
	v_pk_fma_f32 v[10:11], v[48:49], v[14:15], v[10:11] op_sel:[1,0,0] op_sel_hi:[0,0,1] neg_lo:[1,0,0]
	v_pk_fma_f32 v[8:9], v[50:51], v[14:15], v[8:9] op_sel:[1,0,0] op_sel_hi:[0,0,1] neg_lo:[1,0,0]
	s_andn2_b64 exec, exec, s[2:3]
	s_cbranch_execnz .LBB215_21
; %bb.22:
	s_or_b64 exec, exec, s[2:3]
.LBB215_23:
	s_or_b64 exec, exec, s[4:5]
.LBB215_24:
	v_mov_b32_dpp v12, v8 row_shr:1 row_mask:0xf bank_mask:0xf
	v_add_f32_e32 v8, v8, v12
	v_mov_b32_dpp v0, v10 row_shr:1 row_mask:0xf bank_mask:0xf
	v_add_f32_e32 v0, v10, v0
	;; [unrolled: 2-line block ×5, first 2 shown]
	v_mov_b32_dpp v1, v0 row_shr:2 row_mask:0xf bank_mask:0xf
	v_mov_b32_dpp v11, v10 row_shr:2 row_mask:0xf bank_mask:0xf
	;; [unrolled: 1-line block ×3, first 2 shown]
	v_add_f32_e32 v13, v8, v12
	v_mov_b32_dpp v8, v9 row_shr:1 row_mask:0xf bank_mask:0xf
	v_add_f32_e32 v8, v9, v8
	v_add_f32_e32 v0, v0, v1
	v_add_f32_e32 v10, v10, v11
	v_mov_b32_dpp v9, v8 row_shr:2 row_mask:0xf bank_mask:0xf
	v_add_f32_e32 v8, v8, v9
	v_mov_b32_dpp v1, v0 row_shr:4 row_mask:0xf bank_mask:0xe
	v_mov_b32_dpp v11, v10 row_shr:4 row_mask:0xf bank_mask:0xe
	;; [unrolled: 1-line block ×3, first 2 shown]
	v_add_f32_e32 v0, v0, v1
	v_add_f32_e32 v10, v10, v11
	;; [unrolled: 1-line block ×3, first 2 shown]
	v_mov_b32_dpp v1, v0 row_shr:8 row_mask:0xf bank_mask:0xc
	v_mov_b32_dpp v11, v10 row_shr:8 row_mask:0xf bank_mask:0xc
	;; [unrolled: 1-line block ×3, first 2 shown]
	v_add_f32_e32 v0, v0, v1
	v_add_f32_e32 v10, v10, v11
	;; [unrolled: 1-line block ×3, first 2 shown]
	v_mov_b32_dpp v1, v0 row_bcast:15 row_mask:0xa bank_mask:0xf
	v_mov_b32_dpp v11, v10 row_bcast:15 row_mask:0xa bank_mask:0xf
	;; [unrolled: 1-line block ×4, first 2 shown]
	v_cmp_eq_u32_e32 vcc, 31, v7
	s_and_b64 exec, exec, vcc
	s_cbranch_execz .LBB215_29
; %bb.25:
	s_load_dwordx2 s[2:3], s[0:1], 0x38
	v_add_f32_e32 v8, v0, v1
	v_and_b32_e32 v1, 0x7fffffff, v4
	v_cmp_eq_u32_e32 vcc, 0, v1
	v_cmp_eq_f32_e64 s[0:1], 0, v5
	v_add_f32_e32 v12, v10, v11
	v_add_f32_e32 v0, v13, v14
	;; [unrolled: 1-line block ×3, first 2 shown]
	s_and_b64 s[0:1], vcc, s[0:1]
	s_and_saveexec_b64 s[4:5], s[0:1]
	s_xor_b64 s[0:1], exec, s[4:5]
	s_cbranch_execz .LBB215_27
; %bb.26:
	v_lshlrev_b32_e32 v4, 1, v6
	v_xor_b32_e32 v14, 0x80000000, v3
	v_ashrrev_i32_e32 v5, 31, v4
	v_mov_b32_e32 v15, v2
	s_waitcnt lgkmcnt(0)
	v_lshl_add_u64 v[16:17], v[4:5], 3, s[2:3]
	v_pk_mul_f32 v[4:5], v[12:13], v[14:15] op_sel_hi:[0,1]
	v_pk_mul_f32 v[6:7], v[10:11], v[14:15] op_sel_hi:[0,1]
	v_pk_fma_f32 v[4:5], v[2:3], v[8:9], v[4:5] op_sel_hi:[1,0,1]
	v_pk_fma_f32 v[6:7], v[2:3], v[0:1], v[6:7] op_sel_hi:[1,0,1]
	global_store_dwordx4 v[16:17], v[4:7], off
                                        ; implicit-def: $vgpr3
                                        ; implicit-def: $vgpr4
                                        ; implicit-def: $vgpr6
                                        ; implicit-def: $vgpr8
                                        ; implicit-def: $vgpr12
                                        ; implicit-def: $vgpr0
                                        ; implicit-def: $vgpr10
.LBB215_27:
	s_andn2_saveexec_b64 s[0:1], s[0:1]
	s_cbranch_execz .LBB215_29
; %bb.28:
	v_lshlrev_b32_e32 v6, 1, v6
	v_ashrrev_i32_e32 v7, 31, v6
	s_waitcnt lgkmcnt(0)
	v_lshl_add_u64 v[6:7], v[6:7], 3, s[2:3]
	global_load_dwordx4 v[14:17], v[6:7], off
	v_xor_b32_e32 v18, 0x80000000, v3
	v_mov_b32_e32 v19, v2
	v_pk_mul_f32 v[12:13], v[12:13], v[18:19] op_sel_hi:[0,1]
	v_pk_mul_f32 v[10:11], v[10:11], v[18:19] op_sel_hi:[0,1]
	v_pk_fma_f32 v[8:9], v[2:3], v[8:9], v[12:13] op_sel_hi:[1,0,1]
	v_pk_fma_f32 v[0:1], v[2:3], v[0:1], v[10:11] op_sel_hi:[1,0,1]
	v_xor_b32_e32 v20, 0x80000000, v5
	v_mov_b32_e32 v21, v4
	s_waitcnt vmcnt(0)
	v_pk_fma_f32 v[2:3], v[4:5], v[14:15], v[8:9] op_sel_hi:[1,0,1]
	v_pk_fma_f32 v[4:5], v[4:5], v[16:17], v[0:1] op_sel_hi:[1,0,1]
	v_mov_b32_e32 v8, v17
	v_pk_fma_f32 v[0:1], v[20:21], v[14:15], v[2:3] op_sel:[0,1,0]
	v_pk_fma_f32 v[2:3], v[20:21], v[8:9], v[4:5] op_sel_hi:[1,0,1]
	global_store_dwordx4 v[6:7], v[0:3], off
.LBB215_29:
	s_endpgm
	.section	.rodata,"a",@progbits
	.p2align	6, 0x0
	.amdhsa_kernel _ZN9rocsparseL19gebsrmvn_2xn_kernelILj128ELj14ELj32E21rocsparse_complex_numIfEEEvi20rocsparse_direction_NS_24const_host_device_scalarIT2_EEPKiS8_PKS5_SA_S6_PS5_21rocsparse_index_base_b
		.amdhsa_group_segment_fixed_size 0
		.amdhsa_private_segment_fixed_size 0
		.amdhsa_kernarg_size 72
		.amdhsa_user_sgpr_count 2
		.amdhsa_user_sgpr_dispatch_ptr 0
		.amdhsa_user_sgpr_queue_ptr 0
		.amdhsa_user_sgpr_kernarg_segment_ptr 1
		.amdhsa_user_sgpr_dispatch_id 0
		.amdhsa_user_sgpr_kernarg_preload_length 0
		.amdhsa_user_sgpr_kernarg_preload_offset 0
		.amdhsa_user_sgpr_private_segment_size 0
		.amdhsa_uses_dynamic_stack 0
		.amdhsa_enable_private_segment 0
		.amdhsa_system_sgpr_workgroup_id_x 1
		.amdhsa_system_sgpr_workgroup_id_y 0
		.amdhsa_system_sgpr_workgroup_id_z 0
		.amdhsa_system_sgpr_workgroup_info 0
		.amdhsa_system_vgpr_workitem_id 0
		.amdhsa_next_free_vgpr 92
		.amdhsa_next_free_sgpr 16
		.amdhsa_accum_offset 92
		.amdhsa_reserve_vcc 1
		.amdhsa_float_round_mode_32 0
		.amdhsa_float_round_mode_16_64 0
		.amdhsa_float_denorm_mode_32 3
		.amdhsa_float_denorm_mode_16_64 3
		.amdhsa_dx10_clamp 1
		.amdhsa_ieee_mode 1
		.amdhsa_fp16_overflow 0
		.amdhsa_tg_split 0
		.amdhsa_exception_fp_ieee_invalid_op 0
		.amdhsa_exception_fp_denorm_src 0
		.amdhsa_exception_fp_ieee_div_zero 0
		.amdhsa_exception_fp_ieee_overflow 0
		.amdhsa_exception_fp_ieee_underflow 0
		.amdhsa_exception_fp_ieee_inexact 0
		.amdhsa_exception_int_div_zero 0
	.end_amdhsa_kernel
	.section	.text._ZN9rocsparseL19gebsrmvn_2xn_kernelILj128ELj14ELj32E21rocsparse_complex_numIfEEEvi20rocsparse_direction_NS_24const_host_device_scalarIT2_EEPKiS8_PKS5_SA_S6_PS5_21rocsparse_index_base_b,"axG",@progbits,_ZN9rocsparseL19gebsrmvn_2xn_kernelILj128ELj14ELj32E21rocsparse_complex_numIfEEEvi20rocsparse_direction_NS_24const_host_device_scalarIT2_EEPKiS8_PKS5_SA_S6_PS5_21rocsparse_index_base_b,comdat
.Lfunc_end215:
	.size	_ZN9rocsparseL19gebsrmvn_2xn_kernelILj128ELj14ELj32E21rocsparse_complex_numIfEEEvi20rocsparse_direction_NS_24const_host_device_scalarIT2_EEPKiS8_PKS5_SA_S6_PS5_21rocsparse_index_base_b, .Lfunc_end215-_ZN9rocsparseL19gebsrmvn_2xn_kernelILj128ELj14ELj32E21rocsparse_complex_numIfEEEvi20rocsparse_direction_NS_24const_host_device_scalarIT2_EEPKiS8_PKS5_SA_S6_PS5_21rocsparse_index_base_b
                                        ; -- End function
	.section	.AMDGPU.csdata,"",@progbits
; Kernel info:
; codeLenInByte = 3456
; NumSgprs: 22
; NumVgprs: 92
; NumAgprs: 0
; TotalNumVgprs: 92
; ScratchSize: 0
; MemoryBound: 0
; FloatMode: 240
; IeeeMode: 1
; LDSByteSize: 0 bytes/workgroup (compile time only)
; SGPRBlocks: 2
; VGPRBlocks: 11
; NumSGPRsForWavesPerEU: 22
; NumVGPRsForWavesPerEU: 92
; AccumOffset: 92
; Occupancy: 5
; WaveLimiterHint : 1
; COMPUTE_PGM_RSRC2:SCRATCH_EN: 0
; COMPUTE_PGM_RSRC2:USER_SGPR: 2
; COMPUTE_PGM_RSRC2:TRAP_HANDLER: 0
; COMPUTE_PGM_RSRC2:TGID_X_EN: 1
; COMPUTE_PGM_RSRC2:TGID_Y_EN: 0
; COMPUTE_PGM_RSRC2:TGID_Z_EN: 0
; COMPUTE_PGM_RSRC2:TIDIG_COMP_CNT: 0
; COMPUTE_PGM_RSRC3_GFX90A:ACCUM_OFFSET: 22
; COMPUTE_PGM_RSRC3_GFX90A:TG_SPLIT: 0
	.section	.text._ZN9rocsparseL19gebsrmvn_2xn_kernelILj128ELj14ELj64E21rocsparse_complex_numIfEEEvi20rocsparse_direction_NS_24const_host_device_scalarIT2_EEPKiS8_PKS5_SA_S6_PS5_21rocsparse_index_base_b,"axG",@progbits,_ZN9rocsparseL19gebsrmvn_2xn_kernelILj128ELj14ELj64E21rocsparse_complex_numIfEEEvi20rocsparse_direction_NS_24const_host_device_scalarIT2_EEPKiS8_PKS5_SA_S6_PS5_21rocsparse_index_base_b,comdat
	.globl	_ZN9rocsparseL19gebsrmvn_2xn_kernelILj128ELj14ELj64E21rocsparse_complex_numIfEEEvi20rocsparse_direction_NS_24const_host_device_scalarIT2_EEPKiS8_PKS5_SA_S6_PS5_21rocsparse_index_base_b ; -- Begin function _ZN9rocsparseL19gebsrmvn_2xn_kernelILj128ELj14ELj64E21rocsparse_complex_numIfEEEvi20rocsparse_direction_NS_24const_host_device_scalarIT2_EEPKiS8_PKS5_SA_S6_PS5_21rocsparse_index_base_b
	.p2align	8
	.type	_ZN9rocsparseL19gebsrmvn_2xn_kernelILj128ELj14ELj64E21rocsparse_complex_numIfEEEvi20rocsparse_direction_NS_24const_host_device_scalarIT2_EEPKiS8_PKS5_SA_S6_PS5_21rocsparse_index_base_b,@function
_ZN9rocsparseL19gebsrmvn_2xn_kernelILj128ELj14ELj64E21rocsparse_complex_numIfEEEvi20rocsparse_direction_NS_24const_host_device_scalarIT2_EEPKiS8_PKS5_SA_S6_PS5_21rocsparse_index_base_b: ; @_ZN9rocsparseL19gebsrmvn_2xn_kernelILj128ELj14ELj64E21rocsparse_complex_numIfEEEvi20rocsparse_direction_NS_24const_host_device_scalarIT2_EEPKiS8_PKS5_SA_S6_PS5_21rocsparse_index_base_b
; %bb.0:
	s_load_dwordx2 s[12:13], s[0:1], 0x40
	s_load_dwordx2 s[8:9], s[0:1], 0x8
	;; [unrolled: 1-line block ×3, first 2 shown]
	s_waitcnt lgkmcnt(0)
	s_bitcmp1_b32 s13, 0
	s_cselect_b64 s[4:5], -1, 0
	s_xor_b64 s[10:11], s[4:5], -1
	s_and_b64 vcc, exec, s[4:5]
	v_mov_b32_e32 v2, s8
	s_cbranch_vccnz .LBB216_2
; %bb.1:
	v_mov_b64_e32 v[2:3], s[8:9]
	flat_load_dword v2, v[2:3]
.LBB216_2:
	v_cndmask_b32_e64 v1, 0, 1, s[10:11]
	v_cmp_ne_u32_e64 s[4:5], 1, v1
	s_andn2_b64 vcc, exec, s[10:11]
	v_mov_b32_e32 v3, s9
	s_cbranch_vccz .LBB216_16
; %bb.3:
	s_and_b64 vcc, exec, s[4:5]
	v_mov_b32_e32 v4, s6
	s_cbranch_vccz .LBB216_17
.LBB216_4:
	s_and_b64 vcc, exec, s[4:5]
	v_mov_b32_e32 v5, s7
	s_cbranch_vccnz .LBB216_6
.LBB216_5:
	v_mov_b64_e32 v[6:7], s[6:7]
	flat_load_dword v5, v[6:7] offset:4
.LBB216_6:
	s_waitcnt vmcnt(0) lgkmcnt(0)
	v_and_b32_e32 v1, 0x7fffffff, v2
	v_cmp_eq_u32_e32 vcc, 0, v1
	v_cmp_eq_f32_e64 s[4:5], 0, v3
	s_and_b64 s[8:9], vcc, s[4:5]
	s_mov_b64 s[4:5], -1
	s_and_saveexec_b64 s[6:7], s[8:9]
; %bb.7:
	v_and_b32_e32 v1, 0x7fffffff, v5
	v_cmp_neq_f32_e32 vcc, 1.0, v4
	v_cmp_ne_u32_e64 s[4:5], 0, v1
	s_or_b64 s[4:5], vcc, s[4:5]
	s_orn2_b64 s[4:5], s[4:5], exec
; %bb.8:
	s_or_b64 exec, exec, s[6:7]
	s_and_saveexec_b64 s[6:7], s[4:5]
	s_cbranch_execz .LBB216_29
; %bb.9:
	s_load_dwordx2 s[14:15], s[0:1], 0x0
	v_lshrrev_b32_e32 v1, 6, v0
	v_lshl_or_b32 v6, s2, 1, v1
	s_waitcnt lgkmcnt(0)
	v_cmp_gt_i32_e32 vcc, s14, v6
	s_and_b64 exec, exec, vcc
	s_cbranch_execz .LBB216_29
; %bb.10:
	s_load_dwordx8 s[4:11], s[0:1], 0x10
	v_ashrrev_i32_e32 v7, 31, v6
	s_cmp_lg_u32 s15, 0
	s_waitcnt lgkmcnt(0)
	v_lshl_add_u64 v[8:9], v[6:7], 2, s[4:5]
	global_load_dwordx2 v[8:9], v[8:9], off
	v_and_b32_e32 v7, 63, v0
	s_waitcnt vmcnt(0)
	v_subrev_u32_e32 v0, s12, v8
	v_subrev_u32_e32 v24, s12, v9
	v_add_u32_e32 v0, v0, v7
	v_cmp_lt_i32_e64 s[2:3], v0, v24
	s_cbranch_scc0 .LBB216_18
; %bb.11:
	v_mov_b32_e32 v11, 0
	v_mov_b32_e32 v10, v11
	;; [unrolled: 1-line block ×4, first 2 shown]
	s_and_saveexec_b64 s[4:5], s[2:3]
	s_cbranch_execz .LBB216_15
; %bb.12:
	v_mov_b32_e32 v13, 0
	v_mul_lo_u32 v12, v0, 28
	s_mov_b64 s[14:15], 0
	v_mov_b32_e32 v14, v0
	v_mov_b32_e32 v8, v13
	;; [unrolled: 1-line block ×5, first 2 shown]
.LBB216_13:                             ; =>This Inner Loop Header: Depth=1
	v_ashrrev_i32_e32 v15, 31, v14
	v_lshl_add_u64 v[34:35], v[12:13], 3, s[8:9]
	v_add_u32_e32 v36, 4, v12
	v_mov_b32_e32 v37, v13
	v_add_u32_e32 v38, 8, v12
	v_mov_b32_e32 v39, v13
	;; [unrolled: 2-line block ×6, first 2 shown]
	v_lshl_add_u64 v[66:67], v[14:15], 2, s[6:7]
	global_load_dwordx4 v[26:29], v[34:35], off offset:16
	global_load_dwordx4 v[30:33], v[34:35], off
	v_lshl_add_u64 v[68:69], v[36:37], 3, s[8:9]
	v_lshl_add_u64 v[76:77], v[38:39], 3, s[8:9]
	;; [unrolled: 1-line block ×6, first 2 shown]
	global_load_dword v1, v[66:67], off
	global_load_dwordx4 v[34:37], v[68:69], off offset:16
	global_load_dwordx4 v[38:41], v[68:69], off
	global_load_dwordx4 v[42:45], v[76:77], off offset:16
	global_load_dwordx4 v[46:49], v[76:77], off
	;; [unrolled: 2-line block ×4, first 2 shown]
	v_mov_b32_e32 v17, v13
	v_mov_b32_e32 v19, v13
	;; [unrolled: 1-line block ×7, first 2 shown]
	v_add_u32_e32 v14, 64, v14
	v_cmp_ge_i32_e32 vcc, v14, v24
	v_add_u32_e32 v12, 0x700, v12
	s_or_b64 s[14:15], vcc, s[14:15]
	s_waitcnt vmcnt(8)
	v_subrev_u32_e32 v1, s12, v1
	v_mul_lo_u32 v16, v1, 14
	v_lshl_add_u64 v[66:67], v[16:17], 3, s[10:11]
	global_load_dwordx4 v[66:69], v[66:67], off
	v_xor_b32_e32 v76, 0x80000000, v33
	v_mov_b32_e32 v77, v32
	v_add_u32_e32 v18, 2, v16
	v_add_u32_e32 v20, 4, v16
	;; [unrolled: 1-line block ×3, first 2 shown]
	v_lshl_add_u64 v[86:87], v[18:19], 3, s[10:11]
	v_add_u32_e32 v70, 8, v16
	v_add_u32_e32 v72, 10, v16
	;; [unrolled: 1-line block ×3, first 2 shown]
	v_lshl_add_u64 v[88:89], v[20:21], 3, s[10:11]
	v_lshl_add_u64 v[90:91], v[22:23], 3, s[10:11]
	;; [unrolled: 1-line block ×5, first 2 shown]
	s_waitcnt vmcnt(0)
	v_pk_fma_f32 v[10:11], v[30:31], v[66:67], v[10:11] op_sel_hi:[1,0,1]
	v_pk_fma_f32 v[78:79], v[32:33], v[66:67], v[8:9] op_sel_hi:[1,0,1]
	v_pk_fma_f32 v[80:81], v[30:31], v[66:67], v[10:11] op_sel:[1,1,0] op_sel_hi:[0,1,1] neg_lo:[1,0,0]
	v_pk_fma_f32 v[66:67], v[76:77], v[66:67], v[78:79] op_sel:[0,1,0]
	v_pk_fma_f32 v[78:79], v[26:27], v[68:69], v[80:81] op_sel_hi:[1,0,1]
	v_pk_fma_f32 v[66:67], v[28:29], v[68:69], v[66:67] op_sel_hi:[1,0,1]
	v_mov_b32_e32 v68, v69
	global_load_dwordx4 v[8:11], v[82:83], off offset:16
	global_load_dwordx4 v[30:33], v[82:83], off
	v_xor_b32_e32 v76, 0x80000000, v29
	v_mov_b32_e32 v77, v28
	v_pk_fma_f32 v[78:79], v[26:27], v[68:69], v[78:79] op_sel:[1,0,0] op_sel_hi:[0,0,1] neg_lo:[1,0,0]
	global_load_dwordx4 v[26:29], v[84:85], off
	global_load_dwordx4 v[16:19], v[86:87], off
	global_load_dwordx4 v[20:23], v[88:89], off
	v_pk_fma_f32 v[66:67], v[76:77], v[68:69], v[66:67] op_sel_hi:[1,0,1]
	v_xor_b32_e32 v80, 0x80000000, v41
	v_mov_b32_e32 v81, v40
	v_xor_b32_e32 v82, 0x80000000, v37
	v_mov_b32_e32 v83, v36
	s_waitcnt vmcnt(1)
	v_pk_fma_f32 v[68:69], v[38:39], v[16:17], v[78:79] op_sel_hi:[1,0,1]
	v_pk_fma_f32 v[76:77], v[40:41], v[16:17], v[66:67] op_sel_hi:[1,0,1]
	v_pk_fma_f32 v[78:79], v[38:39], v[16:17], v[68:69] op_sel:[1,1,0] op_sel_hi:[0,1,1] neg_lo:[1,0,0]
	global_load_dwordx4 v[38:41], v[90:91], off
	global_load_dwordx4 v[66:69], v[70:71], off
	v_pk_fma_f32 v[16:17], v[80:81], v[16:17], v[76:77] op_sel:[0,1,0]
	global_load_dwordx4 v[70:73], v[72:73], off
	v_pk_fma_f32 v[76:77], v[34:35], v[18:19], v[78:79] op_sel_hi:[1,0,1]
	v_pk_fma_f32 v[78:79], v[36:37], v[18:19], v[16:17] op_sel_hi:[1,0,1]
	v_mov_b32_e32 v80, v19
	global_load_dwordx4 v[16:19], v[74:75], off
	v_pk_fma_f32 v[74:75], v[34:35], v[80:81], v[76:77] op_sel:[1,0,0] op_sel_hi:[0,0,1] neg_lo:[1,0,0]
	global_load_dwordx4 v[34:37], v[84:85], off offset:16
	v_pk_fma_f32 v[78:79], v[82:83], v[80:81], v[78:79] op_sel_hi:[1,0,1]
	v_xor_b32_e32 v76, 0x80000000, v49
	v_mov_b32_e32 v77, v48
	s_waitcnt vmcnt(5)
	v_pk_fma_f32 v[74:75], v[46:47], v[20:21], v[74:75] op_sel_hi:[1,0,1]
	v_pk_fma_f32 v[48:49], v[48:49], v[20:21], v[78:79] op_sel_hi:[1,0,1]
	v_pk_fma_f32 v[46:47], v[46:47], v[20:21], v[74:75] op_sel:[1,1,0] op_sel_hi:[0,1,1] neg_lo:[1,0,0]
	v_pk_fma_f32 v[20:21], v[76:77], v[20:21], v[48:49] op_sel:[0,1,0]
	v_xor_b32_e32 v80, 0x80000000, v45
	v_mov_b32_e32 v81, v44
	v_pk_fma_f32 v[46:47], v[42:43], v[22:23], v[46:47] op_sel_hi:[1,0,1]
	v_pk_fma_f32 v[20:21], v[44:45], v[22:23], v[20:21] op_sel_hi:[1,0,1]
	v_mov_b32_e32 v22, v23
	v_pk_fma_f32 v[42:43], v[42:43], v[22:23], v[46:47] op_sel:[1,0,0] op_sel_hi:[0,0,1] neg_lo:[1,0,0]
	v_pk_fma_f32 v[20:21], v[80:81], v[22:23], v[20:21] op_sel_hi:[1,0,1]
	v_xor_b32_e32 v82, 0x80000000, v57
	v_mov_b32_e32 v83, v56
	v_xor_b32_e32 v74, 0x80000000, v53
	v_mov_b32_e32 v75, v52
	;; [unrolled: 2-line block ×7, first 2 shown]
	s_waitcnt vmcnt(4)
	v_pk_fma_f32 v[42:43], v[54:55], v[38:39], v[42:43] op_sel_hi:[1,0,1]
	v_pk_fma_f32 v[20:21], v[56:57], v[38:39], v[20:21] op_sel_hi:[1,0,1]
	v_pk_fma_f32 v[42:43], v[54:55], v[38:39], v[42:43] op_sel:[1,1,0] op_sel_hi:[0,1,1] neg_lo:[1,0,0]
	v_pk_fma_f32 v[20:21], v[82:83], v[38:39], v[20:21] op_sel:[0,1,0]
	v_mov_b32_e32 v80, v41
	v_pk_fma_f32 v[42:43], v[50:51], v[40:41], v[42:43] op_sel_hi:[1,0,1]
	v_pk_fma_f32 v[20:21], v[52:53], v[40:41], v[20:21] op_sel_hi:[1,0,1]
	v_pk_fma_f32 v[40:41], v[50:51], v[80:81], v[42:43] op_sel:[1,0,0] op_sel_hi:[0,0,1] neg_lo:[1,0,0]
	v_pk_fma_f32 v[20:21], v[74:75], v[80:81], v[20:21] op_sel_hi:[1,0,1]
	s_waitcnt vmcnt(3)
	v_pk_fma_f32 v[40:41], v[62:63], v[66:67], v[40:41] op_sel_hi:[1,0,1]
	v_pk_fma_f32 v[20:21], v[64:65], v[66:67], v[20:21] op_sel_hi:[1,0,1]
	v_pk_fma_f32 v[40:41], v[62:63], v[66:67], v[40:41] op_sel:[1,1,0] op_sel_hi:[0,1,1] neg_lo:[1,0,0]
	v_pk_fma_f32 v[20:21], v[78:79], v[66:67], v[20:21] op_sel:[0,1,0]
	v_mov_b32_e32 v54, v69
	v_pk_fma_f32 v[40:41], v[58:59], v[68:69], v[40:41] op_sel_hi:[1,0,1]
	v_pk_fma_f32 v[20:21], v[60:61], v[68:69], v[20:21] op_sel_hi:[1,0,1]
	v_pk_fma_f32 v[40:41], v[58:59], v[54:55], v[40:41] op_sel:[1,0,0] op_sel_hi:[0,0,1] neg_lo:[1,0,0]
	v_pk_fma_f32 v[20:21], v[48:49], v[54:55], v[20:21] op_sel_hi:[1,0,1]
	;; [unrolled: 10-line block ×3, first 2 shown]
	s_waitcnt vmcnt(1)
	v_pk_fma_f32 v[8:9], v[26:27], v[16:17], v[8:9] op_sel_hi:[1,0,1]
	v_pk_fma_f32 v[10:11], v[28:29], v[16:17], v[10:11] op_sel_hi:[1,0,1]
	v_pk_fma_f32 v[8:9], v[26:27], v[16:17], v[8:9] op_sel:[1,1,0] op_sel_hi:[0,1,1] neg_lo:[1,0,0]
	v_pk_fma_f32 v[10:11], v[76:77], v[16:17], v[10:11] op_sel:[0,1,0]
	s_waitcnt vmcnt(0)
	v_xor_b32_e32 v22, 0x80000000, v37
	v_mov_b32_e32 v23, v36
	v_mov_b32_e32 v38, v19
	v_pk_fma_f32 v[8:9], v[34:35], v[18:19], v[8:9] op_sel_hi:[1,0,1]
	v_pk_fma_f32 v[16:17], v[36:37], v[18:19], v[10:11] op_sel_hi:[1,0,1]
	v_pk_fma_f32 v[10:11], v[34:35], v[38:39], v[8:9] op_sel:[1,0,0] op_sel_hi:[0,0,1] neg_lo:[1,0,0]
	v_pk_fma_f32 v[8:9], v[22:23], v[38:39], v[16:17] op_sel_hi:[1,0,1]
	s_andn2_b64 exec, exec, s[14:15]
	s_cbranch_execnz .LBB216_13
; %bb.14:
	s_or_b64 exec, exec, s[14:15]
.LBB216_15:
	s_or_b64 exec, exec, s[4:5]
	s_cbranch_execz .LBB216_19
	s_branch .LBB216_24
.LBB216_16:
	v_mov_b64_e32 v[4:5], s[8:9]
	flat_load_dword v3, v[4:5] offset:4
	s_and_b64 vcc, exec, s[4:5]
	v_mov_b32_e32 v4, s6
	s_cbranch_vccnz .LBB216_4
.LBB216_17:
	v_mov_b64_e32 v[4:5], s[6:7]
	flat_load_dword v4, v[4:5]
	s_and_b64 vcc, exec, s[4:5]
	v_mov_b32_e32 v5, s7
	s_cbranch_vccz .LBB216_5
	s_branch .LBB216_6
.LBB216_18:
                                        ; implicit-def: $vgpr11
                                        ; implicit-def: $vgpr9
.LBB216_19:
	v_mov_b32_e32 v11, 0
	v_mov_b32_e32 v10, v11
	;; [unrolled: 1-line block ×4, first 2 shown]
	s_and_saveexec_b64 s[4:5], s[2:3]
	s_cbranch_execz .LBB216_23
; %bb.20:
	v_mad_u64_u32 v[12:13], s[2:3], v0, 28, 27
	v_mov_b32_e32 v15, 0
	s_mov_b64 s[2:3], 0
	v_mov_b32_e32 v8, v15
	v_mov_b32_e32 v9, v15
	;; [unrolled: 1-line block ×4, first 2 shown]
.LBB216_21:                             ; =>This Inner Loop Header: Depth=1
	v_ashrrev_i32_e32 v1, 31, v0
	v_subrev_u32_e32 v14, 27, v12
	v_add_u32_e32 v18, -13, v12
	v_mov_b32_e32 v19, v15
	v_lshl_add_u64 v[22:23], v[0:1], 2, s[6:7]
	v_lshl_add_u64 v[30:31], v[14:15], 3, s[8:9]
	v_lshl_add_u64 v[32:33], v[18:19], 3, s[8:9]
	global_load_dword v1, v[22:23], off
	global_load_dwordx4 v[18:21], v[30:31], off
	global_load_dwordx4 v[26:29], v[30:31], off offset:16
	v_mov_b32_e32 v17, v15
	v_add_u32_e32 v14, -12, v12
	v_lshl_add_u64 v[22:23], v[14:15], 3, s[8:9]
	global_load_dwordx2 v[40:41], v[32:33], off
	global_load_dwordx2 v[42:43], v[22:23], off
	v_mov_b32_e32 v13, v15
	v_lshl_add_u64 v[38:39], v[12:13], 3, s[8:9]
	v_add_u32_e32 v0, 64, v0
	v_cmp_ge_i32_e32 vcc, v0, v24
	s_or_b64 s[2:3], vcc, s[2:3]
	s_waitcnt vmcnt(4)
	v_subrev_u32_e32 v1, s12, v1
	v_mul_lo_u32 v16, v1, 14
	v_lshl_add_u64 v[30:31], v[16:17], 3, s[10:11]
	global_load_dwordx4 v[30:33], v[30:31], off
	v_add_u32_e32 v14, 2, v16
	v_lshl_add_u64 v[34:35], v[14:15], 3, s[10:11]
	global_load_dwordx4 v[34:37], v[34:35], off
	v_add_u32_e32 v14, -11, v12
	v_lshl_add_u64 v[46:47], v[14:15], 3, s[8:9]
	global_load_dwordx2 v[46:47], v[46:47], off
	v_add_u32_e32 v14, -10, v12
	v_lshl_add_u64 v[48:49], v[14:15], 3, s[8:9]
	global_load_dwordx2 v[48:49], v[48:49], off
	v_subrev_u32_e32 v14, 23, v12
	v_lshl_add_u64 v[50:51], v[14:15], 3, s[8:9]
	global_load_dwordx2 v[50:51], v[50:51], off
	v_add_u32_e32 v14, 4, v16
	s_waitcnt vmcnt(8)
	v_xor_b32_e32 v22, 0x80000000, v21
	v_mov_b32_e32 v23, v20
	v_lshl_add_u64 v[52:53], v[14:15], 3, s[10:11]
	v_add_u32_e32 v14, -9, v12
	v_lshl_add_u64 v[54:55], v[14:15], 3, s[8:9]
	v_subrev_u32_e32 v14, 22, v12
	v_lshl_add_u64 v[56:57], v[14:15], 3, s[8:9]
	v_add_u32_e32 v14, -8, v12
	v_lshl_add_u64 v[58:59], v[14:15], 3, s[8:9]
	v_subrev_u32_e32 v14, 21, v12
	v_lshl_add_u64 v[60:61], v[14:15], 3, s[8:9]
	v_add_u32_e32 v14, 6, v16
	v_lshl_add_u64 v[62:63], v[14:15], 3, s[10:11]
	v_add_u32_e32 v14, -7, v12
	v_lshl_add_u64 v[64:65], v[14:15], 3, s[8:9]
	v_subrev_u32_e32 v14, 20, v12
	v_lshl_add_u64 v[66:67], v[14:15], 3, s[8:9]
	v_add_u32_e32 v14, -6, v12
	v_lshl_add_u64 v[68:69], v[14:15], 3, s[8:9]
	v_subrev_u32_e32 v14, 19, v12
	v_lshl_add_u64 v[70:71], v[14:15], 3, s[8:9]
	v_add_u32_e32 v14, 8, v16
	v_lshl_add_u64 v[72:73], v[14:15], 3, s[10:11]
	v_add_u32_e32 v14, -5, v12
	v_lshl_add_u64 v[74:75], v[14:15], 3, s[8:9]
	v_subrev_u32_e32 v14, 18, v12
	v_lshl_add_u64 v[76:77], v[14:15], 3, s[8:9]
	v_add_u32_e32 v14, -4, v12
	s_waitcnt vmcnt(7)
	v_xor_b32_e32 v44, 0x80000000, v29
	v_mov_b32_e32 v45, v28
	s_waitcnt vmcnt(4)
	v_pk_fma_f32 v[10:11], v[18:19], v[30:31], v[10:11] op_sel_hi:[1,0,1]
	s_nop 0
	v_pk_fma_f32 v[10:11], v[18:19], v[30:31], v[10:11] op_sel:[1,1,0] op_sel_hi:[0,1,1] neg_lo:[1,0,0]
	v_pk_fma_f32 v[8:9], v[40:41], v[30:31], v[8:9] op_sel_hi:[1,0,1]
	v_pk_fma_f32 v[10:11], v[20:21], v[32:33], v[10:11] op_sel_hi:[1,0,1]
	v_pk_fma_f32 v[8:9], v[40:41], v[30:31], v[8:9] op_sel:[1,1,0] op_sel_hi:[0,1,1] neg_lo:[1,0,0]
	v_mov_b32_e32 v18, v33
	v_pk_fma_f32 v[8:9], v[42:43], v[32:33], v[8:9] op_sel_hi:[1,0,1]
	v_pk_fma_f32 v[10:11], v[22:23], v[18:19], v[10:11] op_sel_hi:[1,0,1]
	v_pk_fma_f32 v[18:19], v[42:43], v[18:19], v[8:9] op_sel:[1,0,0] op_sel_hi:[0,0,1] neg_lo:[1,0,0]
	s_waitcnt vmcnt(3)
	v_pk_fma_f32 v[8:9], v[26:27], v[34:35], v[10:11] op_sel_hi:[1,0,1]
	v_lshl_add_u64 v[30:31], v[14:15], 3, s[8:9]
	v_pk_fma_f32 v[8:9], v[26:27], v[34:35], v[8:9] op_sel:[1,1,0] op_sel_hi:[0,1,1] neg_lo:[1,0,0]
	v_pk_fma_f32 v[26:27], v[28:29], v[36:37], v[8:9] op_sel_hi:[1,0,1]
	global_load_dwordx4 v[8:11], v[52:53], off
	global_load_dwordx2 v[84:85], v[54:55], off
	global_load_dwordx2 v[86:87], v[56:57], off
	;; [unrolled: 1-line block ×4, first 2 shown]
	v_subrev_u32_e32 v14, 17, v12
	v_lshl_add_u64 v[32:33], v[14:15], 3, s[8:9]
	v_add_u32_e32 v14, 10, v16
	v_lshl_add_u64 v[40:41], v[14:15], 3, s[10:11]
	v_add_u32_e32 v14, -3, v12
	v_lshl_add_u64 v[42:43], v[14:15], 3, s[8:9]
	v_add_u32_e32 v14, -16, v12
	;; [unrolled: 2-line block ×4, first 2 shown]
	v_lshl_add_u64 v[82:83], v[14:15], 3, s[8:9]
	v_add_u32_e32 v14, 12, v16
	s_waitcnt vmcnt(7)
	v_pk_fma_f32 v[16:17], v[46:47], v[34:35], v[18:19] op_sel_hi:[1,0,1]
	s_nop 0
	v_pk_fma_f32 v[20:21], v[46:47], v[34:35], v[16:17] op_sel:[1,1,0] op_sel_hi:[0,1,1] neg_lo:[1,0,0]
	global_load_dwordx4 v[16:19], v[62:63], off
	global_load_dwordx2 v[34:35], v[64:65], off
	global_load_dwordx2 v[46:47], v[66:67], off
	;; [unrolled: 1-line block ×4, first 2 shown]
	s_waitcnt vmcnt(11)
	v_pk_fma_f32 v[56:57], v[48:49], v[36:37], v[20:21] op_sel_hi:[1,0,1]
	global_load_dwordx4 v[20:23], v[72:73], off
	global_load_dwordx2 v[58:59], v[74:75], off
	global_load_dwordx2 v[60:61], v[76:77], off
	;; [unrolled: 1-line block ×4, first 2 shown]
	v_mov_b32_e32 v36, v37
	v_pk_fma_f32 v[44:45], v[44:45], v[36:37], v[26:27] op_sel_hi:[1,0,1]
	global_load_dwordx4 v[26:29], v[40:41], off
	global_load_dwordx2 v[66:67], v[42:43], off
	global_load_dwordx2 v[68:69], v[78:79], off
	;; [unrolled: 1-line block ×3, first 2 shown]
	v_lshl_add_u64 v[30:31], v[14:15], 3, s[10:11]
	v_add_u32_e32 v14, -1, v12
	v_pk_fma_f32 v[36:37], v[48:49], v[36:37], v[56:57] op_sel:[1,0,0] op_sel_hi:[0,0,1] neg_lo:[1,0,0]
	global_load_dwordx2 v[40:41], v[82:83], off
	s_waitcnt vmcnt(19)
	v_pk_fma_f32 v[42:43], v[50:51], v[8:9], v[44:45] op_sel_hi:[1,0,1]
	v_lshl_add_u64 v[44:45], v[14:15], 3, s[8:9]
	global_load_dwordx2 v[44:45], v[44:45], off
	v_add_u32_e32 v14, -14, v12
	global_load_dwordx4 v[30:33], v[30:31], off
	s_waitcnt vmcnt(20)
	v_pk_fma_f32 v[36:37], v[84:85], v[8:9], v[36:37] op_sel_hi:[1,0,1]
	v_pk_fma_f32 v[42:43], v[50:51], v[8:9], v[42:43] op_sel:[1,1,0] op_sel_hi:[0,1,1] neg_lo:[1,0,0]
	v_pk_fma_f32 v[8:9], v[84:85], v[8:9], v[36:37] op_sel:[1,1,0] op_sel_hi:[0,1,1] neg_lo:[1,0,0]
	v_lshl_add_u64 v[36:37], v[14:15], 3, s[8:9]
	global_load_dwordx2 v[48:49], v[36:37], off
	global_load_dwordx2 v[50:51], v[38:39], off
	s_waitcnt vmcnt(21)
	v_pk_fma_f32 v[36:37], v[86:87], v[10:11], v[42:43] op_sel_hi:[1,0,1]
	s_waitcnt vmcnt(20)
	v_pk_fma_f32 v[8:9], v[88:89], v[10:11], v[8:9] op_sel_hi:[1,0,1]
	v_mov_b32_e32 v10, v11
	v_pk_fma_f32 v[36:37], v[86:87], v[10:11], v[36:37] op_sel:[1,0,0] op_sel_hi:[0,0,1] neg_lo:[1,0,0]
	v_pk_fma_f32 v[8:9], v[88:89], v[10:11], v[8:9] op_sel:[1,0,0] op_sel_hi:[0,0,1] neg_lo:[1,0,0]
	v_add_u32_e32 v12, 0x700, v12
	s_waitcnt vmcnt(18)
	v_pk_fma_f32 v[10:11], v[90:91], v[16:17], v[36:37] op_sel_hi:[1,0,1]
	s_waitcnt vmcnt(17)
	v_pk_fma_f32 v[8:9], v[34:35], v[16:17], v[8:9] op_sel_hi:[1,0,1]
	v_pk_fma_f32 v[10:11], v[90:91], v[16:17], v[10:11] op_sel:[1,1,0] op_sel_hi:[0,1,1] neg_lo:[1,0,0]
	v_pk_fma_f32 v[8:9], v[34:35], v[16:17], v[8:9] op_sel:[1,1,0] op_sel_hi:[0,1,1] neg_lo:[1,0,0]
	v_mov_b32_e32 v14, v19
	s_waitcnt vmcnt(16)
	v_pk_fma_f32 v[10:11], v[46:47], v[18:19], v[10:11] op_sel_hi:[1,0,1]
	s_waitcnt vmcnt(15)
	v_pk_fma_f32 v[8:9], v[52:53], v[18:19], v[8:9] op_sel_hi:[1,0,1]
	v_pk_fma_f32 v[10:11], v[46:47], v[14:15], v[10:11] op_sel:[1,0,0] op_sel_hi:[0,0,1] neg_lo:[1,0,0]
	v_pk_fma_f32 v[8:9], v[52:53], v[14:15], v[8:9] op_sel:[1,0,0] op_sel_hi:[0,0,1] neg_lo:[1,0,0]
	s_waitcnt vmcnt(13)
	v_pk_fma_f32 v[10:11], v[54:55], v[20:21], v[10:11] op_sel_hi:[1,0,1]
	s_waitcnt vmcnt(12)
	v_pk_fma_f32 v[8:9], v[58:59], v[20:21], v[8:9] op_sel_hi:[1,0,1]
	v_pk_fma_f32 v[10:11], v[54:55], v[20:21], v[10:11] op_sel:[1,1,0] op_sel_hi:[0,1,1] neg_lo:[1,0,0]
	v_pk_fma_f32 v[8:9], v[58:59], v[20:21], v[8:9] op_sel:[1,1,0] op_sel_hi:[0,1,1] neg_lo:[1,0,0]
	v_mov_b32_e32 v14, v23
	s_waitcnt vmcnt(11)
	v_pk_fma_f32 v[10:11], v[60:61], v[22:23], v[10:11] op_sel_hi:[1,0,1]
	s_waitcnt vmcnt(10)
	v_pk_fma_f32 v[8:9], v[62:63], v[22:23], v[8:9] op_sel_hi:[1,0,1]
	v_pk_fma_f32 v[10:11], v[60:61], v[14:15], v[10:11] op_sel:[1,0,0] op_sel_hi:[0,0,1] neg_lo:[1,0,0]
	v_pk_fma_f32 v[8:9], v[62:63], v[14:15], v[8:9] op_sel:[1,0,0] op_sel_hi:[0,0,1] neg_lo:[1,0,0]
	;; [unrolled: 13-line block ×3, first 2 shown]
	s_waitcnt vmcnt(2)
	v_pk_fma_f32 v[10:11], v[40:41], v[30:31], v[10:11] op_sel_hi:[1,0,1]
	v_pk_fma_f32 v[8:9], v[44:45], v[30:31], v[8:9] op_sel_hi:[1,0,1]
	v_pk_fma_f32 v[10:11], v[40:41], v[30:31], v[10:11] op_sel:[1,1,0] op_sel_hi:[0,1,1] neg_lo:[1,0,0]
	v_pk_fma_f32 v[8:9], v[44:45], v[30:31], v[8:9] op_sel:[1,1,0] op_sel_hi:[0,1,1] neg_lo:[1,0,0]
	v_mov_b32_e32 v14, v33
	s_waitcnt vmcnt(1)
	v_pk_fma_f32 v[10:11], v[48:49], v[32:33], v[10:11] op_sel_hi:[1,0,1]
	s_waitcnt vmcnt(0)
	v_pk_fma_f32 v[8:9], v[50:51], v[32:33], v[8:9] op_sel_hi:[1,0,1]
	v_pk_fma_f32 v[10:11], v[48:49], v[14:15], v[10:11] op_sel:[1,0,0] op_sel_hi:[0,0,1] neg_lo:[1,0,0]
	v_pk_fma_f32 v[8:9], v[50:51], v[14:15], v[8:9] op_sel:[1,0,0] op_sel_hi:[0,0,1] neg_lo:[1,0,0]
	s_andn2_b64 exec, exec, s[2:3]
	s_cbranch_execnz .LBB216_21
; %bb.22:
	s_or_b64 exec, exec, s[2:3]
.LBB216_23:
	s_or_b64 exec, exec, s[4:5]
.LBB216_24:
	v_mov_b32_dpp v12, v8 row_shr:1 row_mask:0xf bank_mask:0xf
	v_add_f32_e32 v8, v8, v12
	v_mov_b32_dpp v0, v10 row_shr:1 row_mask:0xf bank_mask:0xf
	v_add_f32_e32 v0, v10, v0
	;; [unrolled: 2-line block ×5, first 2 shown]
	v_mov_b32_dpp v1, v0 row_shr:2 row_mask:0xf bank_mask:0xf
	v_mov_b32_dpp v11, v10 row_shr:2 row_mask:0xf bank_mask:0xf
	;; [unrolled: 1-line block ×3, first 2 shown]
	v_add_f32_e32 v8, v8, v12
	v_add_f32_e32 v0, v0, v1
	;; [unrolled: 1-line block ×3, first 2 shown]
	v_mov_b32_dpp v12, v8 row_bcast:15 row_mask:0xa bank_mask:0xf
	v_add_f32_e32 v13, v8, v12
	v_mov_b32_dpp v8, v9 row_shr:1 row_mask:0xf bank_mask:0xf
	v_add_f32_e32 v8, v9, v8
	v_mov_b32_dpp v1, v0 row_shr:4 row_mask:0xf bank_mask:0xe
	v_mov_b32_dpp v11, v10 row_shr:4 row_mask:0xf bank_mask:0xe
	;; [unrolled: 1-line block ×3, first 2 shown]
	v_add_f32_e32 v8, v8, v9
	v_add_f32_e32 v0, v0, v1
	;; [unrolled: 1-line block ×3, first 2 shown]
	v_mov_b32_dpp v9, v8 row_shr:4 row_mask:0xf bank_mask:0xe
	v_add_f32_e32 v8, v8, v9
	v_mov_b32_dpp v1, v0 row_shr:8 row_mask:0xf bank_mask:0xc
	v_mov_b32_dpp v11, v10 row_shr:8 row_mask:0xf bank_mask:0xc
	;; [unrolled: 1-line block ×3, first 2 shown]
	v_add_f32_e32 v0, v0, v1
	v_add_f32_e32 v10, v10, v11
	;; [unrolled: 1-line block ×3, first 2 shown]
	v_mov_b32_dpp v1, v0 row_bcast:15 row_mask:0xa bank_mask:0xf
	v_mov_b32_dpp v11, v10 row_bcast:15 row_mask:0xa bank_mask:0xf
	;; [unrolled: 1-line block ×3, first 2 shown]
	v_add_f32_e32 v0, v0, v1
	v_add_f32_e32 v10, v10, v11
	;; [unrolled: 1-line block ×3, first 2 shown]
	v_mov_b32_dpp v1, v0 row_bcast:31 row_mask:0xc bank_mask:0xf
	v_mov_b32_dpp v11, v10 row_bcast:31 row_mask:0xc bank_mask:0xf
	;; [unrolled: 1-line block ×4, first 2 shown]
	v_cmp_eq_u32_e32 vcc, 63, v7
	s_and_b64 exec, exec, vcc
	s_cbranch_execz .LBB216_29
; %bb.25:
	s_load_dwordx2 s[2:3], s[0:1], 0x38
	v_add_f32_e32 v8, v0, v1
	v_and_b32_e32 v1, 0x7fffffff, v4
	v_cmp_eq_u32_e32 vcc, 0, v1
	v_cmp_eq_f32_e64 s[0:1], 0, v5
	v_add_f32_e32 v12, v10, v11
	v_add_f32_e32 v0, v13, v14
	;; [unrolled: 1-line block ×3, first 2 shown]
	s_and_b64 s[0:1], vcc, s[0:1]
	s_and_saveexec_b64 s[4:5], s[0:1]
	s_xor_b64 s[0:1], exec, s[4:5]
	s_cbranch_execz .LBB216_27
; %bb.26:
	v_lshlrev_b32_e32 v4, 1, v6
	v_xor_b32_e32 v14, 0x80000000, v3
	v_ashrrev_i32_e32 v5, 31, v4
	v_mov_b32_e32 v15, v2
	s_waitcnt lgkmcnt(0)
	v_lshl_add_u64 v[16:17], v[4:5], 3, s[2:3]
	v_pk_mul_f32 v[4:5], v[12:13], v[14:15] op_sel_hi:[0,1]
	v_pk_mul_f32 v[6:7], v[10:11], v[14:15] op_sel_hi:[0,1]
	v_pk_fma_f32 v[4:5], v[2:3], v[8:9], v[4:5] op_sel_hi:[1,0,1]
	v_pk_fma_f32 v[6:7], v[2:3], v[0:1], v[6:7] op_sel_hi:[1,0,1]
	global_store_dwordx4 v[16:17], v[4:7], off
                                        ; implicit-def: $vgpr3
                                        ; implicit-def: $vgpr4
                                        ; implicit-def: $vgpr6
                                        ; implicit-def: $vgpr8
                                        ; implicit-def: $vgpr12
                                        ; implicit-def: $vgpr0
                                        ; implicit-def: $vgpr10
.LBB216_27:
	s_andn2_saveexec_b64 s[0:1], s[0:1]
	s_cbranch_execz .LBB216_29
; %bb.28:
	v_lshlrev_b32_e32 v6, 1, v6
	v_ashrrev_i32_e32 v7, 31, v6
	s_waitcnt lgkmcnt(0)
	v_lshl_add_u64 v[6:7], v[6:7], 3, s[2:3]
	global_load_dwordx4 v[14:17], v[6:7], off
	v_xor_b32_e32 v18, 0x80000000, v3
	v_mov_b32_e32 v19, v2
	v_pk_mul_f32 v[12:13], v[12:13], v[18:19] op_sel_hi:[0,1]
	v_pk_mul_f32 v[10:11], v[10:11], v[18:19] op_sel_hi:[0,1]
	v_pk_fma_f32 v[8:9], v[2:3], v[8:9], v[12:13] op_sel_hi:[1,0,1]
	v_pk_fma_f32 v[0:1], v[2:3], v[0:1], v[10:11] op_sel_hi:[1,0,1]
	v_xor_b32_e32 v20, 0x80000000, v5
	v_mov_b32_e32 v21, v4
	s_waitcnt vmcnt(0)
	v_pk_fma_f32 v[2:3], v[4:5], v[14:15], v[8:9] op_sel_hi:[1,0,1]
	v_pk_fma_f32 v[4:5], v[4:5], v[16:17], v[0:1] op_sel_hi:[1,0,1]
	v_mov_b32_e32 v8, v17
	v_pk_fma_f32 v[0:1], v[20:21], v[14:15], v[2:3] op_sel:[0,1,0]
	v_pk_fma_f32 v[2:3], v[20:21], v[8:9], v[4:5] op_sel_hi:[1,0,1]
	global_store_dwordx4 v[6:7], v[0:3], off
.LBB216_29:
	s_endpgm
	.section	.rodata,"a",@progbits
	.p2align	6, 0x0
	.amdhsa_kernel _ZN9rocsparseL19gebsrmvn_2xn_kernelILj128ELj14ELj64E21rocsparse_complex_numIfEEEvi20rocsparse_direction_NS_24const_host_device_scalarIT2_EEPKiS8_PKS5_SA_S6_PS5_21rocsparse_index_base_b
		.amdhsa_group_segment_fixed_size 0
		.amdhsa_private_segment_fixed_size 0
		.amdhsa_kernarg_size 72
		.amdhsa_user_sgpr_count 2
		.amdhsa_user_sgpr_dispatch_ptr 0
		.amdhsa_user_sgpr_queue_ptr 0
		.amdhsa_user_sgpr_kernarg_segment_ptr 1
		.amdhsa_user_sgpr_dispatch_id 0
		.amdhsa_user_sgpr_kernarg_preload_length 0
		.amdhsa_user_sgpr_kernarg_preload_offset 0
		.amdhsa_user_sgpr_private_segment_size 0
		.amdhsa_uses_dynamic_stack 0
		.amdhsa_enable_private_segment 0
		.amdhsa_system_sgpr_workgroup_id_x 1
		.amdhsa_system_sgpr_workgroup_id_y 0
		.amdhsa_system_sgpr_workgroup_id_z 0
		.amdhsa_system_sgpr_workgroup_info 0
		.amdhsa_system_vgpr_workitem_id 0
		.amdhsa_next_free_vgpr 92
		.amdhsa_next_free_sgpr 16
		.amdhsa_accum_offset 92
		.amdhsa_reserve_vcc 1
		.amdhsa_float_round_mode_32 0
		.amdhsa_float_round_mode_16_64 0
		.amdhsa_float_denorm_mode_32 3
		.amdhsa_float_denorm_mode_16_64 3
		.amdhsa_dx10_clamp 1
		.amdhsa_ieee_mode 1
		.amdhsa_fp16_overflow 0
		.amdhsa_tg_split 0
		.amdhsa_exception_fp_ieee_invalid_op 0
		.amdhsa_exception_fp_denorm_src 0
		.amdhsa_exception_fp_ieee_div_zero 0
		.amdhsa_exception_fp_ieee_overflow 0
		.amdhsa_exception_fp_ieee_underflow 0
		.amdhsa_exception_fp_ieee_inexact 0
		.amdhsa_exception_int_div_zero 0
	.end_amdhsa_kernel
	.section	.text._ZN9rocsparseL19gebsrmvn_2xn_kernelILj128ELj14ELj64E21rocsparse_complex_numIfEEEvi20rocsparse_direction_NS_24const_host_device_scalarIT2_EEPKiS8_PKS5_SA_S6_PS5_21rocsparse_index_base_b,"axG",@progbits,_ZN9rocsparseL19gebsrmvn_2xn_kernelILj128ELj14ELj64E21rocsparse_complex_numIfEEEvi20rocsparse_direction_NS_24const_host_device_scalarIT2_EEPKiS8_PKS5_SA_S6_PS5_21rocsparse_index_base_b,comdat
.Lfunc_end216:
	.size	_ZN9rocsparseL19gebsrmvn_2xn_kernelILj128ELj14ELj64E21rocsparse_complex_numIfEEEvi20rocsparse_direction_NS_24const_host_device_scalarIT2_EEPKiS8_PKS5_SA_S6_PS5_21rocsparse_index_base_b, .Lfunc_end216-_ZN9rocsparseL19gebsrmvn_2xn_kernelILj128ELj14ELj64E21rocsparse_complex_numIfEEEvi20rocsparse_direction_NS_24const_host_device_scalarIT2_EEPKiS8_PKS5_SA_S6_PS5_21rocsparse_index_base_b
                                        ; -- End function
	.section	.AMDGPU.csdata,"",@progbits
; Kernel info:
; codeLenInByte = 3504
; NumSgprs: 22
; NumVgprs: 92
; NumAgprs: 0
; TotalNumVgprs: 92
; ScratchSize: 0
; MemoryBound: 0
; FloatMode: 240
; IeeeMode: 1
; LDSByteSize: 0 bytes/workgroup (compile time only)
; SGPRBlocks: 2
; VGPRBlocks: 11
; NumSGPRsForWavesPerEU: 22
; NumVGPRsForWavesPerEU: 92
; AccumOffset: 92
; Occupancy: 5
; WaveLimiterHint : 1
; COMPUTE_PGM_RSRC2:SCRATCH_EN: 0
; COMPUTE_PGM_RSRC2:USER_SGPR: 2
; COMPUTE_PGM_RSRC2:TRAP_HANDLER: 0
; COMPUTE_PGM_RSRC2:TGID_X_EN: 1
; COMPUTE_PGM_RSRC2:TGID_Y_EN: 0
; COMPUTE_PGM_RSRC2:TGID_Z_EN: 0
; COMPUTE_PGM_RSRC2:TIDIG_COMP_CNT: 0
; COMPUTE_PGM_RSRC3_GFX90A:ACCUM_OFFSET: 22
; COMPUTE_PGM_RSRC3_GFX90A:TG_SPLIT: 0
	.section	.text._ZN9rocsparseL19gebsrmvn_2xn_kernelILj128ELj15ELj4E21rocsparse_complex_numIfEEEvi20rocsparse_direction_NS_24const_host_device_scalarIT2_EEPKiS8_PKS5_SA_S6_PS5_21rocsparse_index_base_b,"axG",@progbits,_ZN9rocsparseL19gebsrmvn_2xn_kernelILj128ELj15ELj4E21rocsparse_complex_numIfEEEvi20rocsparse_direction_NS_24const_host_device_scalarIT2_EEPKiS8_PKS5_SA_S6_PS5_21rocsparse_index_base_b,comdat
	.globl	_ZN9rocsparseL19gebsrmvn_2xn_kernelILj128ELj15ELj4E21rocsparse_complex_numIfEEEvi20rocsparse_direction_NS_24const_host_device_scalarIT2_EEPKiS8_PKS5_SA_S6_PS5_21rocsparse_index_base_b ; -- Begin function _ZN9rocsparseL19gebsrmvn_2xn_kernelILj128ELj15ELj4E21rocsparse_complex_numIfEEEvi20rocsparse_direction_NS_24const_host_device_scalarIT2_EEPKiS8_PKS5_SA_S6_PS5_21rocsparse_index_base_b
	.p2align	8
	.type	_ZN9rocsparseL19gebsrmvn_2xn_kernelILj128ELj15ELj4E21rocsparse_complex_numIfEEEvi20rocsparse_direction_NS_24const_host_device_scalarIT2_EEPKiS8_PKS5_SA_S6_PS5_21rocsparse_index_base_b,@function
_ZN9rocsparseL19gebsrmvn_2xn_kernelILj128ELj15ELj4E21rocsparse_complex_numIfEEEvi20rocsparse_direction_NS_24const_host_device_scalarIT2_EEPKiS8_PKS5_SA_S6_PS5_21rocsparse_index_base_b: ; @_ZN9rocsparseL19gebsrmvn_2xn_kernelILj128ELj15ELj4E21rocsparse_complex_numIfEEEvi20rocsparse_direction_NS_24const_host_device_scalarIT2_EEPKiS8_PKS5_SA_S6_PS5_21rocsparse_index_base_b
; %bb.0:
	s_load_dwordx2 s[12:13], s[0:1], 0x40
	s_load_dwordx2 s[8:9], s[0:1], 0x8
	;; [unrolled: 1-line block ×3, first 2 shown]
	s_waitcnt lgkmcnt(0)
	s_bitcmp1_b32 s13, 0
	s_cselect_b64 s[4:5], -1, 0
	s_xor_b64 s[10:11], s[4:5], -1
	s_and_b64 vcc, exec, s[4:5]
	v_mov_b32_e32 v2, s8
	s_cbranch_vccnz .LBB217_2
; %bb.1:
	v_mov_b64_e32 v[2:3], s[8:9]
	flat_load_dword v2, v[2:3]
.LBB217_2:
	v_cndmask_b32_e64 v1, 0, 1, s[10:11]
	v_cmp_ne_u32_e64 s[4:5], 1, v1
	s_andn2_b64 vcc, exec, s[10:11]
	v_mov_b32_e32 v3, s9
	s_cbranch_vccz .LBB217_18
; %bb.3:
	s_and_b64 vcc, exec, s[4:5]
	v_mov_b32_e32 v4, s6
	s_cbranch_vccz .LBB217_19
.LBB217_4:
	s_and_b64 vcc, exec, s[4:5]
	v_mov_b32_e32 v5, s7
	s_cbranch_vccnz .LBB217_6
.LBB217_5:
	v_mov_b64_e32 v[6:7], s[6:7]
	flat_load_dword v5, v[6:7] offset:4
.LBB217_6:
	s_waitcnt vmcnt(0) lgkmcnt(0)
	v_and_b32_e32 v1, 0x7fffffff, v2
	v_cmp_eq_u32_e32 vcc, 0, v1
	v_cmp_eq_f32_e64 s[4:5], 0, v3
	s_and_b64 s[8:9], vcc, s[4:5]
	s_mov_b64 s[4:5], -1
	s_and_saveexec_b64 s[6:7], s[8:9]
; %bb.7:
	v_and_b32_e32 v1, 0x7fffffff, v5
	v_cmp_neq_f32_e32 vcc, 1.0, v4
	v_cmp_ne_u32_e64 s[4:5], 0, v1
	s_or_b64 s[4:5], vcc, s[4:5]
	s_orn2_b64 s[4:5], s[4:5], exec
; %bb.8:
	s_or_b64 exec, exec, s[6:7]
	s_and_saveexec_b64 s[6:7], s[4:5]
	s_cbranch_execz .LBB217_33
; %bb.9:
	s_load_dwordx2 s[14:15], s[0:1], 0x0
	v_lshrrev_b32_e32 v1, 2, v0
	v_lshl_or_b32 v6, s2, 5, v1
	s_waitcnt lgkmcnt(0)
	v_cmp_gt_i32_e32 vcc, s14, v6
	s_and_b64 exec, exec, vcc
	s_cbranch_execz .LBB217_33
; %bb.10:
	s_load_dwordx8 s[4:11], s[0:1], 0x10
	v_ashrrev_i32_e32 v7, 31, v6
	s_cmp_lg_u32 s15, 0
	s_waitcnt lgkmcnt(0)
	v_lshl_add_u64 v[8:9], v[6:7], 2, s[4:5]
	global_load_dwordx2 v[12:13], v[8:9], off
	v_and_b32_e32 v7, 3, v0
	s_waitcnt vmcnt(0)
	v_subrev_u32_e32 v0, s12, v12
	v_subrev_u32_e32 v22, s12, v13
	v_add_u32_e32 v0, v0, v7
	v_cmp_lt_i32_e64 s[2:3], v0, v22
	s_cbranch_scc0 .LBB217_20
; %bb.11:
	s_mov_b32 s16, 0
	v_mov_b32_e32 v11, 0
	v_mov_b32_e32 v10, 0
	v_mov_b32_e32 v9, 0
	v_mov_b32_e32 v8, 0
	s_and_saveexec_b64 s[4:5], s[2:3]
	s_cbranch_execz .LBB217_17
; %bb.12:
	v_mad_u64_u32 v[14:15], s[14:15], v0, 30, 8
	s_mov_b32 s17, s16
	s_mov_b64 s[14:15], 0
	v_mov_b64_e32 v[8:9], s[16:17]
	v_mov_b32_e32 v17, 0
	v_mov_b32_e32 v18, v0
	v_mov_b64_e32 v[10:11], s[16:17]
.LBB217_13:                             ; =>This Loop Header: Depth=1
                                        ;     Child Loop BB217_14 Depth 2
	v_ashrrev_i32_e32 v19, 31, v18
	v_lshl_add_u64 v[20:21], v[18:19], 2, s[6:7]
	global_load_dword v1, v[20:21], off
	s_mov_b32 s13, 0
	v_mov_b32_e32 v20, v14
	s_waitcnt vmcnt(0)
	v_subrev_u32_e32 v1, s12, v1
	v_mul_lo_u32 v1, v1, 15
.LBB217_14:                             ;   Parent Loop BB217_13 Depth=1
                                        ; =>  This Inner Loop Header: Depth=2
	v_add_u32_e32 v16, -8, v20
	v_add_u32_e32 v24, -6, v20
	v_mov_b32_e32 v25, v17
	v_add_u32_e32 v26, -4, v20
	v_mov_b32_e32 v27, v17
	;; [unrolled: 2-line block ×3, first 2 shown]
	v_mov_b32_e32 v21, v17
	v_lshl_add_u64 v[30:31], v[16:17], 3, s[8:9]
	v_add_u32_e32 v16, s13, v1
	v_lshl_add_u64 v[32:33], v[24:25], 3, s[8:9]
	v_lshl_add_u64 v[34:35], v[26:27], 3, s[8:9]
	;; [unrolled: 1-line block ×5, first 2 shown]
	global_load_dwordx4 v[24:27], v[30:31], off
	v_mov_b32_e32 v45, v17
	global_load_dwordx4 v[36:39], v[36:37], off
	v_add_u32_e32 v44, 1, v16
	global_load_dwordx4 v[28:31], v[32:33], off
	v_mov_b32_e32 v47, v17
	global_load_dwordx4 v[32:35], v[34:35], off
	s_nop 0
	global_load_dwordx4 v[40:43], v[50:51], off
	global_load_dwordx2 v[54:55], v[52:53], off
	v_mov_b32_e32 v49, v17
	v_add_u32_e32 v46, 2, v16
	v_add_u32_e32 v48, 3, v16
	;; [unrolled: 1-line block ×3, first 2 shown]
	v_lshl_add_u64 v[44:45], v[44:45], 3, s[10:11]
	v_lshl_add_u64 v[46:47], v[46:47], 3, s[10:11]
	;; [unrolled: 1-line block ×4, first 2 shown]
	global_load_dwordx2 v[52:53], v[44:45], off
	global_load_dwordx2 v[56:57], v[46:47], off
	;; [unrolled: 1-line block ×4, first 2 shown]
	s_add_i32 s13, s13, 5
	v_add_u32_e32 v20, 10, v20
	s_cmp_eq_u32 s13, 15
	s_waitcnt vmcnt(9)
	v_xor_b32_e32 v44, 0x80000000, v27
	v_mov_b32_e32 v45, v26
	s_waitcnt vmcnt(8)
	v_xor_b32_e32 v50, 0x80000000, v39
	v_mov_b32_e32 v51, v38
	;; [unrolled: 3-line block ×3, first 2 shown]
	s_waitcnt vmcnt(6)
	v_xor_b32_e32 v48, 0x80000000, v35
	s_waitcnt vmcnt(4)
	v_pk_fma_f32 v[10:11], v[24:25], v[54:55], v[10:11] op_sel_hi:[1,0,1]
	v_pk_fma_f32 v[8:9], v[26:27], v[54:55], v[8:9] op_sel_hi:[1,0,1]
	v_pk_fma_f32 v[10:11], v[24:25], v[54:55], v[10:11] op_sel:[1,1,0] op_sel_hi:[0,1,1] neg_lo:[1,0,0]
	v_pk_fma_f32 v[8:9], v[44:45], v[54:55], v[8:9] op_sel:[0,1,0]
	v_mov_b32_e32 v49, v34
	v_xor_b32_e32 v62, 0x80000000, v43
	s_waitcnt vmcnt(3)
	v_pk_fma_f32 v[10:11], v[28:29], v[52:53], v[10:11] op_sel_hi:[1,0,1]
	v_pk_fma_f32 v[8:9], v[30:31], v[52:53], v[8:9] op_sel_hi:[1,0,1]
	v_pk_fma_f32 v[10:11], v[28:29], v[52:53], v[10:11] op_sel:[1,1,0] op_sel_hi:[0,1,1] neg_lo:[1,0,0]
	v_pk_fma_f32 v[8:9], v[46:47], v[52:53], v[8:9] op_sel:[0,1,0]
	s_waitcnt vmcnt(2)
	v_pk_fma_f32 v[10:11], v[32:33], v[56:57], v[10:11] op_sel_hi:[1,0,1]
	v_pk_fma_f32 v[8:9], v[34:35], v[56:57], v[8:9] op_sel_hi:[1,0,1]
	v_pk_fma_f32 v[10:11], v[32:33], v[56:57], v[10:11] op_sel:[1,1,0] op_sel_hi:[0,1,1] neg_lo:[1,0,0]
	v_pk_fma_f32 v[8:9], v[48:49], v[56:57], v[8:9] op_sel:[0,1,0]
	;; [unrolled: 5-line block ×3, first 2 shown]
	v_mov_b32_e32 v63, v42
	s_waitcnt vmcnt(0)
	v_pk_fma_f32 v[10:11], v[40:41], v[60:61], v[10:11] op_sel_hi:[1,0,1]
	v_pk_fma_f32 v[8:9], v[42:43], v[60:61], v[8:9] op_sel_hi:[1,0,1]
	v_pk_fma_f32 v[10:11], v[40:41], v[60:61], v[10:11] op_sel:[1,1,0] op_sel_hi:[0,1,1] neg_lo:[1,0,0]
	v_pk_fma_f32 v[8:9], v[62:63], v[60:61], v[8:9] op_sel:[0,1,0]
	s_cbranch_scc0 .LBB217_14
; %bb.15:                               ;   in Loop: Header=BB217_13 Depth=1
	v_add_u32_e32 v18, 4, v18
	v_cmp_ge_i32_e32 vcc, v18, v22
	s_or_b64 s[14:15], vcc, s[14:15]
	v_add_u32_e32 v14, 0x78, v14
	s_andn2_b64 exec, exec, s[14:15]
	s_cbranch_execnz .LBB217_13
; %bb.16:
	s_or_b64 exec, exec, s[14:15]
.LBB217_17:
	s_or_b64 exec, exec, s[4:5]
	s_cbranch_execz .LBB217_21
	s_branch .LBB217_28
.LBB217_18:
	v_mov_b64_e32 v[4:5], s[8:9]
	flat_load_dword v3, v[4:5] offset:4
	s_and_b64 vcc, exec, s[4:5]
	v_mov_b32_e32 v4, s6
	s_cbranch_vccnz .LBB217_4
.LBB217_19:
	v_mov_b64_e32 v[4:5], s[6:7]
	flat_load_dword v4, v[4:5]
	s_and_b64 vcc, exec, s[4:5]
	v_mov_b32_e32 v5, s7
	s_cbranch_vccz .LBB217_5
	s_branch .LBB217_6
.LBB217_20:
                                        ; implicit-def: $vgpr11
                                        ; implicit-def: $vgpr9
.LBB217_21:
	s_mov_b32 s14, 0
	v_mov_b32_e32 v11, 0
	v_mov_b32_e32 v10, 0
	;; [unrolled: 1-line block ×4, first 2 shown]
	s_and_saveexec_b64 s[4:5], s[2:3]
	s_cbranch_execz .LBB217_27
; %bb.22:
	v_mul_lo_u32 v1, v12, 30
	v_mad_u32_u24 v1, v7, 30, v1
	s_mul_i32 s2, s12, 30
	s_mov_b32 s15, s14
	v_mul_lo_u32 v14, v0, 30
	v_subrev_u32_e32 v15, s2, v1
	s_mov_b64 s[2:3], 0
	v_mov_b64_e32 v[8:9], s[14:15]
	v_mov_b32_e32 v13, 0
	v_mov_b64_e32 v[10:11], s[14:15]
.LBB217_23:                             ; =>This Loop Header: Depth=1
                                        ;     Child Loop BB217_24 Depth 2
	v_ashrrev_i32_e32 v1, 31, v0
	v_lshl_add_u64 v[16:17], v[0:1], 2, s[6:7]
	global_load_dword v1, v[16:17], off
	s_mov_b32 s13, 0
	s_waitcnt vmcnt(0)
	v_subrev_u32_e32 v1, s12, v1
	v_mul_lo_u32 v1, v1, 15
.LBB217_24:                             ;   Parent Loop BB217_23 Depth=1
                                        ; =>  This Inner Loop Header: Depth=2
	v_add_u32_e32 v12, s13, v15
	v_add_u32_e32 v23, s13, v14
	v_lshl_add_u64 v[40:41], v[12:13], 3, s[8:9]
	v_add_u32_e32 v12, s13, v1
	v_mov_b32_e32 v17, v13
	v_add_u32_e32 v16, 15, v23
	v_lshl_add_u64 v[42:43], v[12:13], 3, s[10:11]
	v_mov_b32_e32 v19, v13
	v_add_u32_e32 v18, 1, v23
	global_load_dwordx2 v[40:41], v[40:41], off
	v_lshl_add_u64 v[16:17], v[16:17], 3, s[8:9]
	global_load_dwordx2 v[42:43], v[42:43], off
	v_mov_b32_e32 v25, v13
	v_add_u32_e32 v24, 16, v23
	v_lshl_add_u64 v[18:19], v[18:19], 3, s[8:9]
	global_load_dwordx2 v[44:45], v[16:17], off
	global_load_dwordx2 v[46:47], v[18:19], off
	v_mov_b32_e32 v27, v13
	v_mov_b32_e32 v29, v13
	v_add_u32_e32 v26, 2, v23
	v_lshl_add_u64 v[24:25], v[24:25], 3, s[8:9]
	v_add_u32_e32 v28, 2, v12
	v_mov_b32_e32 v21, v13
	v_mov_b32_e32 v31, v13
	;; [unrolled: 1-line block ×5, first 2 shown]
	v_add_u32_e32 v30, 17, v23
	v_add_u32_e32 v32, 3, v23
	;; [unrolled: 1-line block ×5, first 2 shown]
	v_lshl_add_u64 v[26:27], v[26:27], 3, s[8:9]
	v_lshl_add_u64 v[16:17], v[28:29], 3, s[10:11]
	global_load_dwordx2 v[18:19], v[24:25], off
	global_load_dwordx2 v[28:29], v[26:27], off
	v_mov_b32_e32 v35, v13
	v_lshl_add_u64 v[30:31], v[30:31], 3, s[8:9]
	v_lshl_add_u64 v[32:33], v[32:33], 3, s[8:9]
	v_add_u32_e32 v34, 3, v12
	v_lshl_add_u64 v[36:37], v[36:37], 3, s[8:9]
	v_lshl_add_u64 v[38:39], v[38:39], 3, s[8:9]
	v_add_u32_e32 v12, 4, v12
	v_lshl_add_u64 v[20:21], v[20:21], 3, s[10:11]
	v_lshl_add_u64 v[24:25], v[34:35], 3, s[10:11]
	global_load_dwordx2 v[26:27], v[30:31], off
	global_load_dwordx2 v[34:35], v[32:33], off
	v_lshl_add_u64 v[30:31], v[12:13], 3, s[10:11]
	global_load_dwordx2 v[32:33], v[36:37], off
	global_load_dwordx2 v[48:49], v[38:39], off
	s_nop 0
	global_load_dwordx2 v[36:37], v[20:21], off
	global_load_dwordx2 v[38:39], v[16:17], off
	global_load_dwordx2 v[50:51], v[24:25], off
	global_load_dwordx2 v[52:53], v[30:31], off
	v_add_u32_e32 v12, 19, v23
	v_lshl_add_u64 v[16:17], v[12:13], 3, s[8:9]
	global_load_dwordx2 v[16:17], v[16:17], off
	s_add_i32 s13, s13, 5
	s_cmp_eq_u32 s13, 15
	s_waitcnt vmcnt(13)
	v_pk_fma_f32 v[10:11], v[40:41], v[42:43], v[10:11] op_sel_hi:[1,0,1]
	s_nop 0
	v_pk_fma_f32 v[10:11], v[40:41], v[42:43], v[10:11] op_sel:[1,1,0] op_sel_hi:[0,1,1] neg_lo:[1,0,0]
	s_waitcnt vmcnt(12)
	v_pk_fma_f32 v[8:9], v[44:45], v[42:43], v[8:9] op_sel_hi:[1,0,1]
	s_nop 0
	v_pk_fma_f32 v[8:9], v[44:45], v[42:43], v[8:9] op_sel:[1,1,0] op_sel_hi:[0,1,1] neg_lo:[1,0,0]
	s_waitcnt vmcnt(4)
	v_pk_fma_f32 v[10:11], v[46:47], v[36:37], v[10:11] op_sel_hi:[1,0,1]
	v_pk_fma_f32 v[8:9], v[18:19], v[36:37], v[8:9] op_sel_hi:[1,0,1]
	v_pk_fma_f32 v[10:11], v[46:47], v[36:37], v[10:11] op_sel:[1,1,0] op_sel_hi:[0,1,1] neg_lo:[1,0,0]
	v_pk_fma_f32 v[8:9], v[18:19], v[36:37], v[8:9] op_sel:[1,1,0] op_sel_hi:[0,1,1] neg_lo:[1,0,0]
	s_waitcnt vmcnt(3)
	v_pk_fma_f32 v[10:11], v[28:29], v[38:39], v[10:11] op_sel_hi:[1,0,1]
	v_pk_fma_f32 v[8:9], v[26:27], v[38:39], v[8:9] op_sel_hi:[1,0,1]
	v_pk_fma_f32 v[10:11], v[28:29], v[38:39], v[10:11] op_sel:[1,1,0] op_sel_hi:[0,1,1] neg_lo:[1,0,0]
	;; [unrolled: 5-line block ×3, first 2 shown]
	v_pk_fma_f32 v[8:9], v[32:33], v[50:51], v[8:9] op_sel:[1,1,0] op_sel_hi:[0,1,1] neg_lo:[1,0,0]
	s_waitcnt vmcnt(1)
	v_pk_fma_f32 v[10:11], v[48:49], v[52:53], v[10:11] op_sel_hi:[1,0,1]
	s_waitcnt vmcnt(0)
	v_pk_fma_f32 v[8:9], v[16:17], v[52:53], v[8:9] op_sel_hi:[1,0,1]
	v_pk_fma_f32 v[10:11], v[48:49], v[52:53], v[10:11] op_sel:[1,1,0] op_sel_hi:[0,1,1] neg_lo:[1,0,0]
	v_pk_fma_f32 v[8:9], v[16:17], v[52:53], v[8:9] op_sel:[1,1,0] op_sel_hi:[0,1,1] neg_lo:[1,0,0]
	s_cbranch_scc0 .LBB217_24
; %bb.25:                               ;   in Loop: Header=BB217_23 Depth=1
	v_add_u32_e32 v0, 4, v0
	v_cmp_ge_i32_e32 vcc, v0, v22
	v_add_u32_e32 v14, 0x78, v14
	s_or_b64 s[2:3], vcc, s[2:3]
	v_add_u32_e32 v15, 0x78, v15
	s_andn2_b64 exec, exec, s[2:3]
	s_cbranch_execnz .LBB217_23
; %bb.26:
	s_or_b64 exec, exec, s[2:3]
.LBB217_27:
	s_or_b64 exec, exec, s[4:5]
.LBB217_28:
	v_mov_b32_dpp v0, v10 row_shr:1 row_mask:0xf bank_mask:0xf
	v_mov_b32_dpp v12, v8 row_shr:1 row_mask:0xf bank_mask:0xf
	v_add_f32_e32 v0, v10, v0
	v_mov_b32_dpp v10, v11 row_shr:1 row_mask:0xf bank_mask:0xf
	v_add_f32_e32 v13, v8, v12
	;; [unrolled: 2-line block ×3, first 2 shown]
	v_add_f32_e32 v9, v9, v8
	v_mov_b32_dpp v1, v0 row_shr:2 row_mask:0xf bank_mask:0xf
	v_mov_b32_dpp v11, v10 row_shr:2 row_mask:0xf bank_mask:0xf
	;; [unrolled: 1-line block ×4, first 2 shown]
	v_cmp_eq_u32_e32 vcc, 3, v7
	s_and_b64 exec, exec, vcc
	s_cbranch_execz .LBB217_33
; %bb.29:
	s_load_dwordx2 s[2:3], s[0:1], 0x38
	v_add_f32_e32 v8, v0, v1
	v_and_b32_e32 v1, 0x7fffffff, v4
	v_cmp_eq_u32_e32 vcc, 0, v1
	v_cmp_eq_f32_e64 s[0:1], 0, v5
	v_add_f32_e32 v12, v10, v11
	v_add_f32_e32 v0, v13, v14
	;; [unrolled: 1-line block ×3, first 2 shown]
	s_and_b64 s[0:1], vcc, s[0:1]
	s_and_saveexec_b64 s[4:5], s[0:1]
	s_xor_b64 s[0:1], exec, s[4:5]
	s_cbranch_execz .LBB217_31
; %bb.30:
	v_lshlrev_b32_e32 v4, 1, v6
	v_xor_b32_e32 v14, 0x80000000, v3
	v_ashrrev_i32_e32 v5, 31, v4
	v_mov_b32_e32 v15, v2
	s_waitcnt lgkmcnt(0)
	v_lshl_add_u64 v[16:17], v[4:5], 3, s[2:3]
	v_pk_mul_f32 v[4:5], v[12:13], v[14:15] op_sel_hi:[0,1]
	v_pk_mul_f32 v[6:7], v[10:11], v[14:15] op_sel_hi:[0,1]
	v_pk_fma_f32 v[4:5], v[2:3], v[8:9], v[4:5] op_sel_hi:[1,0,1]
	v_pk_fma_f32 v[6:7], v[2:3], v[0:1], v[6:7] op_sel_hi:[1,0,1]
	global_store_dwordx4 v[16:17], v[4:7], off
                                        ; implicit-def: $vgpr3
                                        ; implicit-def: $vgpr4
                                        ; implicit-def: $vgpr6
                                        ; implicit-def: $vgpr8
                                        ; implicit-def: $vgpr12
                                        ; implicit-def: $vgpr0
                                        ; implicit-def: $vgpr10
.LBB217_31:
	s_andn2_saveexec_b64 s[0:1], s[0:1]
	s_cbranch_execz .LBB217_33
; %bb.32:
	v_lshlrev_b32_e32 v6, 1, v6
	v_ashrrev_i32_e32 v7, 31, v6
	s_waitcnt lgkmcnt(0)
	v_lshl_add_u64 v[6:7], v[6:7], 3, s[2:3]
	global_load_dwordx4 v[14:17], v[6:7], off
	v_xor_b32_e32 v18, 0x80000000, v3
	v_mov_b32_e32 v19, v2
	v_pk_mul_f32 v[12:13], v[12:13], v[18:19] op_sel_hi:[0,1]
	v_pk_mul_f32 v[10:11], v[10:11], v[18:19] op_sel_hi:[0,1]
	v_pk_fma_f32 v[8:9], v[2:3], v[8:9], v[12:13] op_sel_hi:[1,0,1]
	v_pk_fma_f32 v[0:1], v[2:3], v[0:1], v[10:11] op_sel_hi:[1,0,1]
	v_xor_b32_e32 v20, 0x80000000, v5
	v_mov_b32_e32 v21, v4
	s_waitcnt vmcnt(0)
	v_pk_fma_f32 v[2:3], v[4:5], v[14:15], v[8:9] op_sel_hi:[1,0,1]
	v_pk_fma_f32 v[4:5], v[4:5], v[16:17], v[0:1] op_sel_hi:[1,0,1]
	v_mov_b32_e32 v8, v17
	v_pk_fma_f32 v[0:1], v[20:21], v[14:15], v[2:3] op_sel:[0,1,0]
	v_pk_fma_f32 v[2:3], v[20:21], v[8:9], v[4:5] op_sel_hi:[1,0,1]
	global_store_dwordx4 v[6:7], v[0:3], off
.LBB217_33:
	s_endpgm
	.section	.rodata,"a",@progbits
	.p2align	6, 0x0
	.amdhsa_kernel _ZN9rocsparseL19gebsrmvn_2xn_kernelILj128ELj15ELj4E21rocsparse_complex_numIfEEEvi20rocsparse_direction_NS_24const_host_device_scalarIT2_EEPKiS8_PKS5_SA_S6_PS5_21rocsparse_index_base_b
		.amdhsa_group_segment_fixed_size 0
		.amdhsa_private_segment_fixed_size 0
		.amdhsa_kernarg_size 72
		.amdhsa_user_sgpr_count 2
		.amdhsa_user_sgpr_dispatch_ptr 0
		.amdhsa_user_sgpr_queue_ptr 0
		.amdhsa_user_sgpr_kernarg_segment_ptr 1
		.amdhsa_user_sgpr_dispatch_id 0
		.amdhsa_user_sgpr_kernarg_preload_length 0
		.amdhsa_user_sgpr_kernarg_preload_offset 0
		.amdhsa_user_sgpr_private_segment_size 0
		.amdhsa_uses_dynamic_stack 0
		.amdhsa_enable_private_segment 0
		.amdhsa_system_sgpr_workgroup_id_x 1
		.amdhsa_system_sgpr_workgroup_id_y 0
		.amdhsa_system_sgpr_workgroup_id_z 0
		.amdhsa_system_sgpr_workgroup_info 0
		.amdhsa_system_vgpr_workitem_id 0
		.amdhsa_next_free_vgpr 64
		.amdhsa_next_free_sgpr 18
		.amdhsa_accum_offset 64
		.amdhsa_reserve_vcc 1
		.amdhsa_float_round_mode_32 0
		.amdhsa_float_round_mode_16_64 0
		.amdhsa_float_denorm_mode_32 3
		.amdhsa_float_denorm_mode_16_64 3
		.amdhsa_dx10_clamp 1
		.amdhsa_ieee_mode 1
		.amdhsa_fp16_overflow 0
		.amdhsa_tg_split 0
		.amdhsa_exception_fp_ieee_invalid_op 0
		.amdhsa_exception_fp_denorm_src 0
		.amdhsa_exception_fp_ieee_div_zero 0
		.amdhsa_exception_fp_ieee_overflow 0
		.amdhsa_exception_fp_ieee_underflow 0
		.amdhsa_exception_fp_ieee_inexact 0
		.amdhsa_exception_int_div_zero 0
	.end_amdhsa_kernel
	.section	.text._ZN9rocsparseL19gebsrmvn_2xn_kernelILj128ELj15ELj4E21rocsparse_complex_numIfEEEvi20rocsparse_direction_NS_24const_host_device_scalarIT2_EEPKiS8_PKS5_SA_S6_PS5_21rocsparse_index_base_b,"axG",@progbits,_ZN9rocsparseL19gebsrmvn_2xn_kernelILj128ELj15ELj4E21rocsparse_complex_numIfEEEvi20rocsparse_direction_NS_24const_host_device_scalarIT2_EEPKiS8_PKS5_SA_S6_PS5_21rocsparse_index_base_b,comdat
.Lfunc_end217:
	.size	_ZN9rocsparseL19gebsrmvn_2xn_kernelILj128ELj15ELj4E21rocsparse_complex_numIfEEEvi20rocsparse_direction_NS_24const_host_device_scalarIT2_EEPKiS8_PKS5_SA_S6_PS5_21rocsparse_index_base_b, .Lfunc_end217-_ZN9rocsparseL19gebsrmvn_2xn_kernelILj128ELj15ELj4E21rocsparse_complex_numIfEEEvi20rocsparse_direction_NS_24const_host_device_scalarIT2_EEPKiS8_PKS5_SA_S6_PS5_21rocsparse_index_base_b
                                        ; -- End function
	.section	.AMDGPU.csdata,"",@progbits
; Kernel info:
; codeLenInByte = 2100
; NumSgprs: 24
; NumVgprs: 64
; NumAgprs: 0
; TotalNumVgprs: 64
; ScratchSize: 0
; MemoryBound: 0
; FloatMode: 240
; IeeeMode: 1
; LDSByteSize: 0 bytes/workgroup (compile time only)
; SGPRBlocks: 2
; VGPRBlocks: 7
; NumSGPRsForWavesPerEU: 24
; NumVGPRsForWavesPerEU: 64
; AccumOffset: 64
; Occupancy: 8
; WaveLimiterHint : 1
; COMPUTE_PGM_RSRC2:SCRATCH_EN: 0
; COMPUTE_PGM_RSRC2:USER_SGPR: 2
; COMPUTE_PGM_RSRC2:TRAP_HANDLER: 0
; COMPUTE_PGM_RSRC2:TGID_X_EN: 1
; COMPUTE_PGM_RSRC2:TGID_Y_EN: 0
; COMPUTE_PGM_RSRC2:TGID_Z_EN: 0
; COMPUTE_PGM_RSRC2:TIDIG_COMP_CNT: 0
; COMPUTE_PGM_RSRC3_GFX90A:ACCUM_OFFSET: 15
; COMPUTE_PGM_RSRC3_GFX90A:TG_SPLIT: 0
	.section	.text._ZN9rocsparseL19gebsrmvn_2xn_kernelILj128ELj15ELj8E21rocsparse_complex_numIfEEEvi20rocsparse_direction_NS_24const_host_device_scalarIT2_EEPKiS8_PKS5_SA_S6_PS5_21rocsparse_index_base_b,"axG",@progbits,_ZN9rocsparseL19gebsrmvn_2xn_kernelILj128ELj15ELj8E21rocsparse_complex_numIfEEEvi20rocsparse_direction_NS_24const_host_device_scalarIT2_EEPKiS8_PKS5_SA_S6_PS5_21rocsparse_index_base_b,comdat
	.globl	_ZN9rocsparseL19gebsrmvn_2xn_kernelILj128ELj15ELj8E21rocsparse_complex_numIfEEEvi20rocsparse_direction_NS_24const_host_device_scalarIT2_EEPKiS8_PKS5_SA_S6_PS5_21rocsparse_index_base_b ; -- Begin function _ZN9rocsparseL19gebsrmvn_2xn_kernelILj128ELj15ELj8E21rocsparse_complex_numIfEEEvi20rocsparse_direction_NS_24const_host_device_scalarIT2_EEPKiS8_PKS5_SA_S6_PS5_21rocsparse_index_base_b
	.p2align	8
	.type	_ZN9rocsparseL19gebsrmvn_2xn_kernelILj128ELj15ELj8E21rocsparse_complex_numIfEEEvi20rocsparse_direction_NS_24const_host_device_scalarIT2_EEPKiS8_PKS5_SA_S6_PS5_21rocsparse_index_base_b,@function
_ZN9rocsparseL19gebsrmvn_2xn_kernelILj128ELj15ELj8E21rocsparse_complex_numIfEEEvi20rocsparse_direction_NS_24const_host_device_scalarIT2_EEPKiS8_PKS5_SA_S6_PS5_21rocsparse_index_base_b: ; @_ZN9rocsparseL19gebsrmvn_2xn_kernelILj128ELj15ELj8E21rocsparse_complex_numIfEEEvi20rocsparse_direction_NS_24const_host_device_scalarIT2_EEPKiS8_PKS5_SA_S6_PS5_21rocsparse_index_base_b
; %bb.0:
	s_load_dwordx2 s[12:13], s[0:1], 0x40
	s_load_dwordx2 s[8:9], s[0:1], 0x8
	s_load_dwordx2 s[6:7], s[0:1], 0x30
	s_waitcnt lgkmcnt(0)
	s_bitcmp1_b32 s13, 0
	s_cselect_b64 s[4:5], -1, 0
	s_xor_b64 s[10:11], s[4:5], -1
	s_and_b64 vcc, exec, s[4:5]
	v_mov_b32_e32 v2, s8
	s_cbranch_vccnz .LBB218_2
; %bb.1:
	v_mov_b64_e32 v[2:3], s[8:9]
	flat_load_dword v2, v[2:3]
.LBB218_2:
	v_cndmask_b32_e64 v1, 0, 1, s[10:11]
	v_cmp_ne_u32_e64 s[4:5], 1, v1
	s_andn2_b64 vcc, exec, s[10:11]
	v_mov_b32_e32 v3, s9
	s_cbranch_vccz .LBB218_18
; %bb.3:
	s_and_b64 vcc, exec, s[4:5]
	v_mov_b32_e32 v4, s6
	s_cbranch_vccz .LBB218_19
.LBB218_4:
	s_and_b64 vcc, exec, s[4:5]
	v_mov_b32_e32 v5, s7
	s_cbranch_vccnz .LBB218_6
.LBB218_5:
	v_mov_b64_e32 v[6:7], s[6:7]
	flat_load_dword v5, v[6:7] offset:4
.LBB218_6:
	s_waitcnt vmcnt(0) lgkmcnt(0)
	v_and_b32_e32 v1, 0x7fffffff, v2
	v_cmp_eq_u32_e32 vcc, 0, v1
	v_cmp_eq_f32_e64 s[4:5], 0, v3
	s_and_b64 s[8:9], vcc, s[4:5]
	s_mov_b64 s[4:5], -1
	s_and_saveexec_b64 s[6:7], s[8:9]
; %bb.7:
	v_and_b32_e32 v1, 0x7fffffff, v5
	v_cmp_neq_f32_e32 vcc, 1.0, v4
	v_cmp_ne_u32_e64 s[4:5], 0, v1
	s_or_b64 s[4:5], vcc, s[4:5]
	s_orn2_b64 s[4:5], s[4:5], exec
; %bb.8:
	s_or_b64 exec, exec, s[6:7]
	s_and_saveexec_b64 s[6:7], s[4:5]
	s_cbranch_execz .LBB218_33
; %bb.9:
	s_load_dwordx2 s[14:15], s[0:1], 0x0
	v_lshrrev_b32_e32 v1, 3, v0
	v_lshl_or_b32 v6, s2, 4, v1
	s_waitcnt lgkmcnt(0)
	v_cmp_gt_i32_e32 vcc, s14, v6
	s_and_b64 exec, exec, vcc
	s_cbranch_execz .LBB218_33
; %bb.10:
	s_load_dwordx8 s[4:11], s[0:1], 0x10
	v_ashrrev_i32_e32 v7, 31, v6
	s_cmp_lg_u32 s15, 0
	s_waitcnt lgkmcnt(0)
	v_lshl_add_u64 v[8:9], v[6:7], 2, s[4:5]
	global_load_dwordx2 v[12:13], v[8:9], off
	v_and_b32_e32 v7, 7, v0
	s_waitcnt vmcnt(0)
	v_subrev_u32_e32 v0, s12, v12
	v_subrev_u32_e32 v22, s12, v13
	v_add_u32_e32 v0, v0, v7
	v_cmp_lt_i32_e64 s[2:3], v0, v22
	s_cbranch_scc0 .LBB218_20
; %bb.11:
	s_mov_b32 s16, 0
	v_mov_b32_e32 v11, 0
	v_mov_b32_e32 v10, 0
	;; [unrolled: 1-line block ×4, first 2 shown]
	s_and_saveexec_b64 s[4:5], s[2:3]
	s_cbranch_execz .LBB218_17
; %bb.12:
	v_mad_u64_u32 v[14:15], s[14:15], v0, 30, 8
	s_mov_b32 s17, s16
	s_mov_b64 s[14:15], 0
	v_mov_b64_e32 v[8:9], s[16:17]
	v_mov_b32_e32 v17, 0
	v_mov_b32_e32 v18, v0
	v_mov_b64_e32 v[10:11], s[16:17]
.LBB218_13:                             ; =>This Loop Header: Depth=1
                                        ;     Child Loop BB218_14 Depth 2
	v_ashrrev_i32_e32 v19, 31, v18
	v_lshl_add_u64 v[20:21], v[18:19], 2, s[6:7]
	global_load_dword v1, v[20:21], off
	s_mov_b32 s13, 0
	v_mov_b32_e32 v20, v14
	s_waitcnt vmcnt(0)
	v_subrev_u32_e32 v1, s12, v1
	v_mul_lo_u32 v1, v1, 15
.LBB218_14:                             ;   Parent Loop BB218_13 Depth=1
                                        ; =>  This Inner Loop Header: Depth=2
	v_add_u32_e32 v16, -8, v20
	v_add_u32_e32 v24, -6, v20
	v_mov_b32_e32 v25, v17
	v_add_u32_e32 v26, -4, v20
	v_mov_b32_e32 v27, v17
	v_add_u32_e32 v28, -2, v20
	v_mov_b32_e32 v29, v17
	v_mov_b32_e32 v21, v17
	v_lshl_add_u64 v[30:31], v[16:17], 3, s[8:9]
	v_add_u32_e32 v16, s13, v1
	v_lshl_add_u64 v[32:33], v[24:25], 3, s[8:9]
	v_lshl_add_u64 v[34:35], v[26:27], 3, s[8:9]
	;; [unrolled: 1-line block ×5, first 2 shown]
	global_load_dwordx4 v[24:27], v[30:31], off
	v_mov_b32_e32 v45, v17
	global_load_dwordx4 v[36:39], v[36:37], off
	v_add_u32_e32 v44, 1, v16
	global_load_dwordx4 v[28:31], v[32:33], off
	v_mov_b32_e32 v47, v17
	global_load_dwordx4 v[32:35], v[34:35], off
	s_nop 0
	global_load_dwordx4 v[40:43], v[50:51], off
	global_load_dwordx2 v[54:55], v[52:53], off
	v_mov_b32_e32 v49, v17
	v_add_u32_e32 v46, 2, v16
	v_add_u32_e32 v48, 3, v16
	;; [unrolled: 1-line block ×3, first 2 shown]
	v_lshl_add_u64 v[44:45], v[44:45], 3, s[10:11]
	v_lshl_add_u64 v[46:47], v[46:47], 3, s[10:11]
	;; [unrolled: 1-line block ×4, first 2 shown]
	global_load_dwordx2 v[52:53], v[44:45], off
	global_load_dwordx2 v[56:57], v[46:47], off
	;; [unrolled: 1-line block ×4, first 2 shown]
	s_add_i32 s13, s13, 5
	v_add_u32_e32 v20, 10, v20
	s_cmp_eq_u32 s13, 15
	s_waitcnt vmcnt(9)
	v_xor_b32_e32 v44, 0x80000000, v27
	v_mov_b32_e32 v45, v26
	s_waitcnt vmcnt(8)
	v_xor_b32_e32 v50, 0x80000000, v39
	v_mov_b32_e32 v51, v38
	;; [unrolled: 3-line block ×3, first 2 shown]
	s_waitcnt vmcnt(6)
	v_xor_b32_e32 v48, 0x80000000, v35
	s_waitcnt vmcnt(4)
	v_pk_fma_f32 v[10:11], v[24:25], v[54:55], v[10:11] op_sel_hi:[1,0,1]
	v_pk_fma_f32 v[8:9], v[26:27], v[54:55], v[8:9] op_sel_hi:[1,0,1]
	v_pk_fma_f32 v[10:11], v[24:25], v[54:55], v[10:11] op_sel:[1,1,0] op_sel_hi:[0,1,1] neg_lo:[1,0,0]
	v_pk_fma_f32 v[8:9], v[44:45], v[54:55], v[8:9] op_sel:[0,1,0]
	v_mov_b32_e32 v49, v34
	v_xor_b32_e32 v62, 0x80000000, v43
	s_waitcnt vmcnt(3)
	v_pk_fma_f32 v[10:11], v[28:29], v[52:53], v[10:11] op_sel_hi:[1,0,1]
	v_pk_fma_f32 v[8:9], v[30:31], v[52:53], v[8:9] op_sel_hi:[1,0,1]
	v_pk_fma_f32 v[10:11], v[28:29], v[52:53], v[10:11] op_sel:[1,1,0] op_sel_hi:[0,1,1] neg_lo:[1,0,0]
	v_pk_fma_f32 v[8:9], v[46:47], v[52:53], v[8:9] op_sel:[0,1,0]
	s_waitcnt vmcnt(2)
	v_pk_fma_f32 v[10:11], v[32:33], v[56:57], v[10:11] op_sel_hi:[1,0,1]
	v_pk_fma_f32 v[8:9], v[34:35], v[56:57], v[8:9] op_sel_hi:[1,0,1]
	v_pk_fma_f32 v[10:11], v[32:33], v[56:57], v[10:11] op_sel:[1,1,0] op_sel_hi:[0,1,1] neg_lo:[1,0,0]
	v_pk_fma_f32 v[8:9], v[48:49], v[56:57], v[8:9] op_sel:[0,1,0]
	;; [unrolled: 5-line block ×3, first 2 shown]
	v_mov_b32_e32 v63, v42
	s_waitcnt vmcnt(0)
	v_pk_fma_f32 v[10:11], v[40:41], v[60:61], v[10:11] op_sel_hi:[1,0,1]
	v_pk_fma_f32 v[8:9], v[42:43], v[60:61], v[8:9] op_sel_hi:[1,0,1]
	v_pk_fma_f32 v[10:11], v[40:41], v[60:61], v[10:11] op_sel:[1,1,0] op_sel_hi:[0,1,1] neg_lo:[1,0,0]
	v_pk_fma_f32 v[8:9], v[62:63], v[60:61], v[8:9] op_sel:[0,1,0]
	s_cbranch_scc0 .LBB218_14
; %bb.15:                               ;   in Loop: Header=BB218_13 Depth=1
	v_add_u32_e32 v18, 8, v18
	v_cmp_ge_i32_e32 vcc, v18, v22
	s_or_b64 s[14:15], vcc, s[14:15]
	v_add_u32_e32 v14, 0xf0, v14
	s_andn2_b64 exec, exec, s[14:15]
	s_cbranch_execnz .LBB218_13
; %bb.16:
	s_or_b64 exec, exec, s[14:15]
.LBB218_17:
	s_or_b64 exec, exec, s[4:5]
	s_cbranch_execz .LBB218_21
	s_branch .LBB218_28
.LBB218_18:
	v_mov_b64_e32 v[4:5], s[8:9]
	flat_load_dword v3, v[4:5] offset:4
	s_and_b64 vcc, exec, s[4:5]
	v_mov_b32_e32 v4, s6
	s_cbranch_vccnz .LBB218_4
.LBB218_19:
	v_mov_b64_e32 v[4:5], s[6:7]
	flat_load_dword v4, v[4:5]
	s_and_b64 vcc, exec, s[4:5]
	v_mov_b32_e32 v5, s7
	s_cbranch_vccz .LBB218_5
	s_branch .LBB218_6
.LBB218_20:
                                        ; implicit-def: $vgpr11
                                        ; implicit-def: $vgpr9
.LBB218_21:
	s_mov_b32 s14, 0
	v_mov_b32_e32 v11, 0
	v_mov_b32_e32 v10, 0
	;; [unrolled: 1-line block ×4, first 2 shown]
	s_and_saveexec_b64 s[4:5], s[2:3]
	s_cbranch_execz .LBB218_27
; %bb.22:
	v_mul_lo_u32 v1, v12, 30
	v_mad_u32_u24 v1, v7, 30, v1
	s_mul_i32 s2, s12, 30
	s_mov_b32 s15, s14
	v_mul_lo_u32 v14, v0, 30
	v_subrev_u32_e32 v15, s2, v1
	s_mov_b64 s[2:3], 0
	v_mov_b64_e32 v[8:9], s[14:15]
	v_mov_b32_e32 v13, 0
	v_mov_b64_e32 v[10:11], s[14:15]
.LBB218_23:                             ; =>This Loop Header: Depth=1
                                        ;     Child Loop BB218_24 Depth 2
	v_ashrrev_i32_e32 v1, 31, v0
	v_lshl_add_u64 v[16:17], v[0:1], 2, s[6:7]
	global_load_dword v1, v[16:17], off
	s_mov_b32 s13, 0
	s_waitcnt vmcnt(0)
	v_subrev_u32_e32 v1, s12, v1
	v_mul_lo_u32 v1, v1, 15
.LBB218_24:                             ;   Parent Loop BB218_23 Depth=1
                                        ; =>  This Inner Loop Header: Depth=2
	v_add_u32_e32 v12, s13, v15
	v_add_u32_e32 v23, s13, v14
	v_lshl_add_u64 v[40:41], v[12:13], 3, s[8:9]
	v_add_u32_e32 v12, s13, v1
	v_mov_b32_e32 v17, v13
	v_add_u32_e32 v16, 15, v23
	v_lshl_add_u64 v[42:43], v[12:13], 3, s[10:11]
	v_mov_b32_e32 v19, v13
	v_add_u32_e32 v18, 1, v23
	global_load_dwordx2 v[40:41], v[40:41], off
	v_lshl_add_u64 v[16:17], v[16:17], 3, s[8:9]
	global_load_dwordx2 v[42:43], v[42:43], off
	v_mov_b32_e32 v25, v13
	v_add_u32_e32 v24, 16, v23
	v_lshl_add_u64 v[18:19], v[18:19], 3, s[8:9]
	global_load_dwordx2 v[44:45], v[16:17], off
	global_load_dwordx2 v[46:47], v[18:19], off
	v_mov_b32_e32 v27, v13
	v_mov_b32_e32 v29, v13
	v_add_u32_e32 v26, 2, v23
	v_lshl_add_u64 v[24:25], v[24:25], 3, s[8:9]
	v_add_u32_e32 v28, 2, v12
	v_mov_b32_e32 v21, v13
	v_mov_b32_e32 v31, v13
	;; [unrolled: 1-line block ×5, first 2 shown]
	v_add_u32_e32 v30, 17, v23
	v_add_u32_e32 v32, 3, v23
	;; [unrolled: 1-line block ×5, first 2 shown]
	v_lshl_add_u64 v[26:27], v[26:27], 3, s[8:9]
	v_lshl_add_u64 v[16:17], v[28:29], 3, s[10:11]
	global_load_dwordx2 v[18:19], v[24:25], off
	global_load_dwordx2 v[28:29], v[26:27], off
	v_mov_b32_e32 v35, v13
	v_lshl_add_u64 v[30:31], v[30:31], 3, s[8:9]
	v_lshl_add_u64 v[32:33], v[32:33], 3, s[8:9]
	v_add_u32_e32 v34, 3, v12
	v_lshl_add_u64 v[36:37], v[36:37], 3, s[8:9]
	v_lshl_add_u64 v[38:39], v[38:39], 3, s[8:9]
	v_add_u32_e32 v12, 4, v12
	v_lshl_add_u64 v[20:21], v[20:21], 3, s[10:11]
	v_lshl_add_u64 v[24:25], v[34:35], 3, s[10:11]
	global_load_dwordx2 v[26:27], v[30:31], off
	global_load_dwordx2 v[34:35], v[32:33], off
	v_lshl_add_u64 v[30:31], v[12:13], 3, s[10:11]
	global_load_dwordx2 v[32:33], v[36:37], off
	global_load_dwordx2 v[48:49], v[38:39], off
	s_nop 0
	global_load_dwordx2 v[36:37], v[20:21], off
	global_load_dwordx2 v[38:39], v[16:17], off
	;; [unrolled: 1-line block ×4, first 2 shown]
	v_add_u32_e32 v12, 19, v23
	v_lshl_add_u64 v[16:17], v[12:13], 3, s[8:9]
	global_load_dwordx2 v[16:17], v[16:17], off
	s_add_i32 s13, s13, 5
	s_cmp_eq_u32 s13, 15
	s_waitcnt vmcnt(13)
	v_pk_fma_f32 v[10:11], v[40:41], v[42:43], v[10:11] op_sel_hi:[1,0,1]
	s_nop 0
	v_pk_fma_f32 v[10:11], v[40:41], v[42:43], v[10:11] op_sel:[1,1,0] op_sel_hi:[0,1,1] neg_lo:[1,0,0]
	s_waitcnt vmcnt(12)
	v_pk_fma_f32 v[8:9], v[44:45], v[42:43], v[8:9] op_sel_hi:[1,0,1]
	s_nop 0
	v_pk_fma_f32 v[8:9], v[44:45], v[42:43], v[8:9] op_sel:[1,1,0] op_sel_hi:[0,1,1] neg_lo:[1,0,0]
	s_waitcnt vmcnt(4)
	v_pk_fma_f32 v[10:11], v[46:47], v[36:37], v[10:11] op_sel_hi:[1,0,1]
	v_pk_fma_f32 v[8:9], v[18:19], v[36:37], v[8:9] op_sel_hi:[1,0,1]
	v_pk_fma_f32 v[10:11], v[46:47], v[36:37], v[10:11] op_sel:[1,1,0] op_sel_hi:[0,1,1] neg_lo:[1,0,0]
	v_pk_fma_f32 v[8:9], v[18:19], v[36:37], v[8:9] op_sel:[1,1,0] op_sel_hi:[0,1,1] neg_lo:[1,0,0]
	s_waitcnt vmcnt(3)
	v_pk_fma_f32 v[10:11], v[28:29], v[38:39], v[10:11] op_sel_hi:[1,0,1]
	v_pk_fma_f32 v[8:9], v[26:27], v[38:39], v[8:9] op_sel_hi:[1,0,1]
	v_pk_fma_f32 v[10:11], v[28:29], v[38:39], v[10:11] op_sel:[1,1,0] op_sel_hi:[0,1,1] neg_lo:[1,0,0]
	;; [unrolled: 5-line block ×3, first 2 shown]
	v_pk_fma_f32 v[8:9], v[32:33], v[50:51], v[8:9] op_sel:[1,1,0] op_sel_hi:[0,1,1] neg_lo:[1,0,0]
	s_waitcnt vmcnt(1)
	v_pk_fma_f32 v[10:11], v[48:49], v[52:53], v[10:11] op_sel_hi:[1,0,1]
	s_waitcnt vmcnt(0)
	v_pk_fma_f32 v[8:9], v[16:17], v[52:53], v[8:9] op_sel_hi:[1,0,1]
	v_pk_fma_f32 v[10:11], v[48:49], v[52:53], v[10:11] op_sel:[1,1,0] op_sel_hi:[0,1,1] neg_lo:[1,0,0]
	v_pk_fma_f32 v[8:9], v[16:17], v[52:53], v[8:9] op_sel:[1,1,0] op_sel_hi:[0,1,1] neg_lo:[1,0,0]
	s_cbranch_scc0 .LBB218_24
; %bb.25:                               ;   in Loop: Header=BB218_23 Depth=1
	v_add_u32_e32 v0, 8, v0
	v_cmp_ge_i32_e32 vcc, v0, v22
	v_add_u32_e32 v14, 0xf0, v14
	s_or_b64 s[2:3], vcc, s[2:3]
	v_add_u32_e32 v15, 0xf0, v15
	s_andn2_b64 exec, exec, s[2:3]
	s_cbranch_execnz .LBB218_23
; %bb.26:
	s_or_b64 exec, exec, s[2:3]
.LBB218_27:
	s_or_b64 exec, exec, s[4:5]
.LBB218_28:
	v_mov_b32_dpp v12, v8 row_shr:1 row_mask:0xf bank_mask:0xf
	v_add_f32_e32 v8, v8, v12
	v_mov_b32_dpp v0, v10 row_shr:1 row_mask:0xf bank_mask:0xf
	v_add_f32_e32 v0, v10, v0
	v_mov_b32_dpp v12, v8 row_shr:2 row_mask:0xf bank_mask:0xf
	v_mov_b32_dpp v10, v11 row_shr:1 row_mask:0xf bank_mask:0xf
	v_add_f32_e32 v13, v8, v12
	v_mov_b32_dpp v8, v9 row_shr:1 row_mask:0xf bank_mask:0xf
	v_add_f32_e32 v10, v11, v10
	v_add_f32_e32 v8, v9, v8
	v_mov_b32_dpp v1, v0 row_shr:2 row_mask:0xf bank_mask:0xf
	v_mov_b32_dpp v11, v10 row_shr:2 row_mask:0xf bank_mask:0xf
	v_mov_b32_dpp v9, v8 row_shr:2 row_mask:0xf bank_mask:0xf
	v_add_f32_e32 v0, v0, v1
	v_add_f32_e32 v10, v10, v11
	;; [unrolled: 1-line block ×3, first 2 shown]
	v_mov_b32_dpp v1, v0 row_shr:4 row_mask:0xf bank_mask:0xe
	v_mov_b32_dpp v11, v10 row_shr:4 row_mask:0xf bank_mask:0xe
	;; [unrolled: 1-line block ×4, first 2 shown]
	v_cmp_eq_u32_e32 vcc, 7, v7
	s_and_b64 exec, exec, vcc
	s_cbranch_execz .LBB218_33
; %bb.29:
	s_load_dwordx2 s[2:3], s[0:1], 0x38
	v_add_f32_e32 v8, v0, v1
	v_and_b32_e32 v1, 0x7fffffff, v4
	v_cmp_eq_u32_e32 vcc, 0, v1
	v_cmp_eq_f32_e64 s[0:1], 0, v5
	v_add_f32_e32 v12, v10, v11
	v_add_f32_e32 v0, v13, v14
	;; [unrolled: 1-line block ×3, first 2 shown]
	s_and_b64 s[0:1], vcc, s[0:1]
	s_and_saveexec_b64 s[4:5], s[0:1]
	s_xor_b64 s[0:1], exec, s[4:5]
	s_cbranch_execz .LBB218_31
; %bb.30:
	v_lshlrev_b32_e32 v4, 1, v6
	v_xor_b32_e32 v14, 0x80000000, v3
	v_ashrrev_i32_e32 v5, 31, v4
	v_mov_b32_e32 v15, v2
	s_waitcnt lgkmcnt(0)
	v_lshl_add_u64 v[16:17], v[4:5], 3, s[2:3]
	v_pk_mul_f32 v[4:5], v[12:13], v[14:15] op_sel_hi:[0,1]
	v_pk_mul_f32 v[6:7], v[10:11], v[14:15] op_sel_hi:[0,1]
	v_pk_fma_f32 v[4:5], v[2:3], v[8:9], v[4:5] op_sel_hi:[1,0,1]
	v_pk_fma_f32 v[6:7], v[2:3], v[0:1], v[6:7] op_sel_hi:[1,0,1]
	global_store_dwordx4 v[16:17], v[4:7], off
                                        ; implicit-def: $vgpr3
                                        ; implicit-def: $vgpr4
                                        ; implicit-def: $vgpr6
                                        ; implicit-def: $vgpr8
                                        ; implicit-def: $vgpr12
                                        ; implicit-def: $vgpr0
                                        ; implicit-def: $vgpr10
.LBB218_31:
	s_andn2_saveexec_b64 s[0:1], s[0:1]
	s_cbranch_execz .LBB218_33
; %bb.32:
	v_lshlrev_b32_e32 v6, 1, v6
	v_ashrrev_i32_e32 v7, 31, v6
	s_waitcnt lgkmcnt(0)
	v_lshl_add_u64 v[6:7], v[6:7], 3, s[2:3]
	global_load_dwordx4 v[14:17], v[6:7], off
	v_xor_b32_e32 v18, 0x80000000, v3
	v_mov_b32_e32 v19, v2
	v_pk_mul_f32 v[12:13], v[12:13], v[18:19] op_sel_hi:[0,1]
	v_pk_mul_f32 v[10:11], v[10:11], v[18:19] op_sel_hi:[0,1]
	v_pk_fma_f32 v[8:9], v[2:3], v[8:9], v[12:13] op_sel_hi:[1,0,1]
	v_pk_fma_f32 v[0:1], v[2:3], v[0:1], v[10:11] op_sel_hi:[1,0,1]
	v_xor_b32_e32 v20, 0x80000000, v5
	v_mov_b32_e32 v21, v4
	s_waitcnt vmcnt(0)
	v_pk_fma_f32 v[2:3], v[4:5], v[14:15], v[8:9] op_sel_hi:[1,0,1]
	v_pk_fma_f32 v[4:5], v[4:5], v[16:17], v[0:1] op_sel_hi:[1,0,1]
	v_mov_b32_e32 v8, v17
	v_pk_fma_f32 v[0:1], v[20:21], v[14:15], v[2:3] op_sel:[0,1,0]
	v_pk_fma_f32 v[2:3], v[20:21], v[8:9], v[4:5] op_sel_hi:[1,0,1]
	global_store_dwordx4 v[6:7], v[0:3], off
.LBB218_33:
	s_endpgm
	.section	.rodata,"a",@progbits
	.p2align	6, 0x0
	.amdhsa_kernel _ZN9rocsparseL19gebsrmvn_2xn_kernelILj128ELj15ELj8E21rocsparse_complex_numIfEEEvi20rocsparse_direction_NS_24const_host_device_scalarIT2_EEPKiS8_PKS5_SA_S6_PS5_21rocsparse_index_base_b
		.amdhsa_group_segment_fixed_size 0
		.amdhsa_private_segment_fixed_size 0
		.amdhsa_kernarg_size 72
		.amdhsa_user_sgpr_count 2
		.amdhsa_user_sgpr_dispatch_ptr 0
		.amdhsa_user_sgpr_queue_ptr 0
		.amdhsa_user_sgpr_kernarg_segment_ptr 1
		.amdhsa_user_sgpr_dispatch_id 0
		.amdhsa_user_sgpr_kernarg_preload_length 0
		.amdhsa_user_sgpr_kernarg_preload_offset 0
		.amdhsa_user_sgpr_private_segment_size 0
		.amdhsa_uses_dynamic_stack 0
		.amdhsa_enable_private_segment 0
		.amdhsa_system_sgpr_workgroup_id_x 1
		.amdhsa_system_sgpr_workgroup_id_y 0
		.amdhsa_system_sgpr_workgroup_id_z 0
		.amdhsa_system_sgpr_workgroup_info 0
		.amdhsa_system_vgpr_workitem_id 0
		.amdhsa_next_free_vgpr 64
		.amdhsa_next_free_sgpr 18
		.amdhsa_accum_offset 64
		.amdhsa_reserve_vcc 1
		.amdhsa_float_round_mode_32 0
		.amdhsa_float_round_mode_16_64 0
		.amdhsa_float_denorm_mode_32 3
		.amdhsa_float_denorm_mode_16_64 3
		.amdhsa_dx10_clamp 1
		.amdhsa_ieee_mode 1
		.amdhsa_fp16_overflow 0
		.amdhsa_tg_split 0
		.amdhsa_exception_fp_ieee_invalid_op 0
		.amdhsa_exception_fp_denorm_src 0
		.amdhsa_exception_fp_ieee_div_zero 0
		.amdhsa_exception_fp_ieee_overflow 0
		.amdhsa_exception_fp_ieee_underflow 0
		.amdhsa_exception_fp_ieee_inexact 0
		.amdhsa_exception_int_div_zero 0
	.end_amdhsa_kernel
	.section	.text._ZN9rocsparseL19gebsrmvn_2xn_kernelILj128ELj15ELj8E21rocsparse_complex_numIfEEEvi20rocsparse_direction_NS_24const_host_device_scalarIT2_EEPKiS8_PKS5_SA_S6_PS5_21rocsparse_index_base_b,"axG",@progbits,_ZN9rocsparseL19gebsrmvn_2xn_kernelILj128ELj15ELj8E21rocsparse_complex_numIfEEEvi20rocsparse_direction_NS_24const_host_device_scalarIT2_EEPKiS8_PKS5_SA_S6_PS5_21rocsparse_index_base_b,comdat
.Lfunc_end218:
	.size	_ZN9rocsparseL19gebsrmvn_2xn_kernelILj128ELj15ELj8E21rocsparse_complex_numIfEEEvi20rocsparse_direction_NS_24const_host_device_scalarIT2_EEPKiS8_PKS5_SA_S6_PS5_21rocsparse_index_base_b, .Lfunc_end218-_ZN9rocsparseL19gebsrmvn_2xn_kernelILj128ELj15ELj8E21rocsparse_complex_numIfEEEvi20rocsparse_direction_NS_24const_host_device_scalarIT2_EEPKiS8_PKS5_SA_S6_PS5_21rocsparse_index_base_b
                                        ; -- End function
	.section	.AMDGPU.csdata,"",@progbits
; Kernel info:
; codeLenInByte = 2148
; NumSgprs: 24
; NumVgprs: 64
; NumAgprs: 0
; TotalNumVgprs: 64
; ScratchSize: 0
; MemoryBound: 0
; FloatMode: 240
; IeeeMode: 1
; LDSByteSize: 0 bytes/workgroup (compile time only)
; SGPRBlocks: 2
; VGPRBlocks: 7
; NumSGPRsForWavesPerEU: 24
; NumVGPRsForWavesPerEU: 64
; AccumOffset: 64
; Occupancy: 8
; WaveLimiterHint : 1
; COMPUTE_PGM_RSRC2:SCRATCH_EN: 0
; COMPUTE_PGM_RSRC2:USER_SGPR: 2
; COMPUTE_PGM_RSRC2:TRAP_HANDLER: 0
; COMPUTE_PGM_RSRC2:TGID_X_EN: 1
; COMPUTE_PGM_RSRC2:TGID_Y_EN: 0
; COMPUTE_PGM_RSRC2:TGID_Z_EN: 0
; COMPUTE_PGM_RSRC2:TIDIG_COMP_CNT: 0
; COMPUTE_PGM_RSRC3_GFX90A:ACCUM_OFFSET: 15
; COMPUTE_PGM_RSRC3_GFX90A:TG_SPLIT: 0
	.section	.text._ZN9rocsparseL19gebsrmvn_2xn_kernelILj128ELj15ELj16E21rocsparse_complex_numIfEEEvi20rocsparse_direction_NS_24const_host_device_scalarIT2_EEPKiS8_PKS5_SA_S6_PS5_21rocsparse_index_base_b,"axG",@progbits,_ZN9rocsparseL19gebsrmvn_2xn_kernelILj128ELj15ELj16E21rocsparse_complex_numIfEEEvi20rocsparse_direction_NS_24const_host_device_scalarIT2_EEPKiS8_PKS5_SA_S6_PS5_21rocsparse_index_base_b,comdat
	.globl	_ZN9rocsparseL19gebsrmvn_2xn_kernelILj128ELj15ELj16E21rocsparse_complex_numIfEEEvi20rocsparse_direction_NS_24const_host_device_scalarIT2_EEPKiS8_PKS5_SA_S6_PS5_21rocsparse_index_base_b ; -- Begin function _ZN9rocsparseL19gebsrmvn_2xn_kernelILj128ELj15ELj16E21rocsparse_complex_numIfEEEvi20rocsparse_direction_NS_24const_host_device_scalarIT2_EEPKiS8_PKS5_SA_S6_PS5_21rocsparse_index_base_b
	.p2align	8
	.type	_ZN9rocsparseL19gebsrmvn_2xn_kernelILj128ELj15ELj16E21rocsparse_complex_numIfEEEvi20rocsparse_direction_NS_24const_host_device_scalarIT2_EEPKiS8_PKS5_SA_S6_PS5_21rocsparse_index_base_b,@function
_ZN9rocsparseL19gebsrmvn_2xn_kernelILj128ELj15ELj16E21rocsparse_complex_numIfEEEvi20rocsparse_direction_NS_24const_host_device_scalarIT2_EEPKiS8_PKS5_SA_S6_PS5_21rocsparse_index_base_b: ; @_ZN9rocsparseL19gebsrmvn_2xn_kernelILj128ELj15ELj16E21rocsparse_complex_numIfEEEvi20rocsparse_direction_NS_24const_host_device_scalarIT2_EEPKiS8_PKS5_SA_S6_PS5_21rocsparse_index_base_b
; %bb.0:
	s_load_dwordx2 s[12:13], s[0:1], 0x40
	s_load_dwordx2 s[8:9], s[0:1], 0x8
	;; [unrolled: 1-line block ×3, first 2 shown]
	s_waitcnt lgkmcnt(0)
	s_bitcmp1_b32 s13, 0
	s_cselect_b64 s[4:5], -1, 0
	s_xor_b64 s[10:11], s[4:5], -1
	s_and_b64 vcc, exec, s[4:5]
	v_mov_b32_e32 v2, s8
	s_cbranch_vccnz .LBB219_2
; %bb.1:
	v_mov_b64_e32 v[2:3], s[8:9]
	flat_load_dword v2, v[2:3]
.LBB219_2:
	v_cndmask_b32_e64 v1, 0, 1, s[10:11]
	v_cmp_ne_u32_e64 s[4:5], 1, v1
	s_andn2_b64 vcc, exec, s[10:11]
	v_mov_b32_e32 v3, s9
	s_cbranch_vccz .LBB219_18
; %bb.3:
	s_and_b64 vcc, exec, s[4:5]
	v_mov_b32_e32 v4, s6
	s_cbranch_vccz .LBB219_19
.LBB219_4:
	s_and_b64 vcc, exec, s[4:5]
	v_mov_b32_e32 v5, s7
	s_cbranch_vccnz .LBB219_6
.LBB219_5:
	v_mov_b64_e32 v[6:7], s[6:7]
	flat_load_dword v5, v[6:7] offset:4
.LBB219_6:
	s_waitcnt vmcnt(0) lgkmcnt(0)
	v_and_b32_e32 v1, 0x7fffffff, v2
	v_cmp_eq_u32_e32 vcc, 0, v1
	v_cmp_eq_f32_e64 s[4:5], 0, v3
	s_and_b64 s[8:9], vcc, s[4:5]
	s_mov_b64 s[4:5], -1
	s_and_saveexec_b64 s[6:7], s[8:9]
; %bb.7:
	v_and_b32_e32 v1, 0x7fffffff, v5
	v_cmp_neq_f32_e32 vcc, 1.0, v4
	v_cmp_ne_u32_e64 s[4:5], 0, v1
	s_or_b64 s[4:5], vcc, s[4:5]
	s_orn2_b64 s[4:5], s[4:5], exec
; %bb.8:
	s_or_b64 exec, exec, s[6:7]
	s_and_saveexec_b64 s[6:7], s[4:5]
	s_cbranch_execz .LBB219_33
; %bb.9:
	s_load_dwordx2 s[14:15], s[0:1], 0x0
	v_lshrrev_b32_e32 v1, 4, v0
	v_lshl_or_b32 v6, s2, 3, v1
	s_waitcnt lgkmcnt(0)
	v_cmp_gt_i32_e32 vcc, s14, v6
	s_and_b64 exec, exec, vcc
	s_cbranch_execz .LBB219_33
; %bb.10:
	s_load_dwordx8 s[4:11], s[0:1], 0x10
	v_ashrrev_i32_e32 v7, 31, v6
	s_cmp_lg_u32 s15, 0
	s_waitcnt lgkmcnt(0)
	v_lshl_add_u64 v[8:9], v[6:7], 2, s[4:5]
	global_load_dwordx2 v[12:13], v[8:9], off
	v_and_b32_e32 v7, 15, v0
	s_waitcnt vmcnt(0)
	v_subrev_u32_e32 v0, s12, v12
	v_subrev_u32_e32 v22, s12, v13
	v_add_u32_e32 v0, v0, v7
	v_cmp_lt_i32_e64 s[2:3], v0, v22
	s_cbranch_scc0 .LBB219_20
; %bb.11:
	s_mov_b32 s16, 0
	v_mov_b32_e32 v11, 0
	v_mov_b32_e32 v10, 0
	;; [unrolled: 1-line block ×4, first 2 shown]
	s_and_saveexec_b64 s[4:5], s[2:3]
	s_cbranch_execz .LBB219_17
; %bb.12:
	v_mad_u64_u32 v[14:15], s[14:15], v0, 30, 8
	s_mov_b32 s17, s16
	s_mov_b64 s[14:15], 0
	v_mov_b64_e32 v[8:9], s[16:17]
	v_mov_b32_e32 v17, 0
	v_mov_b32_e32 v18, v0
	v_mov_b64_e32 v[10:11], s[16:17]
.LBB219_13:                             ; =>This Loop Header: Depth=1
                                        ;     Child Loop BB219_14 Depth 2
	v_ashrrev_i32_e32 v19, 31, v18
	v_lshl_add_u64 v[20:21], v[18:19], 2, s[6:7]
	global_load_dword v1, v[20:21], off
	s_mov_b32 s13, 0
	v_mov_b32_e32 v20, v14
	s_waitcnt vmcnt(0)
	v_subrev_u32_e32 v1, s12, v1
	v_mul_lo_u32 v1, v1, 15
.LBB219_14:                             ;   Parent Loop BB219_13 Depth=1
                                        ; =>  This Inner Loop Header: Depth=2
	v_add_u32_e32 v16, -8, v20
	v_add_u32_e32 v24, -6, v20
	v_mov_b32_e32 v25, v17
	v_add_u32_e32 v26, -4, v20
	v_mov_b32_e32 v27, v17
	;; [unrolled: 2-line block ×3, first 2 shown]
	v_mov_b32_e32 v21, v17
	v_lshl_add_u64 v[30:31], v[16:17], 3, s[8:9]
	v_add_u32_e32 v16, s13, v1
	v_lshl_add_u64 v[32:33], v[24:25], 3, s[8:9]
	v_lshl_add_u64 v[34:35], v[26:27], 3, s[8:9]
	;; [unrolled: 1-line block ×5, first 2 shown]
	global_load_dwordx4 v[24:27], v[30:31], off
	v_mov_b32_e32 v45, v17
	global_load_dwordx4 v[36:39], v[36:37], off
	v_add_u32_e32 v44, 1, v16
	global_load_dwordx4 v[28:31], v[32:33], off
	v_mov_b32_e32 v47, v17
	global_load_dwordx4 v[32:35], v[34:35], off
	s_nop 0
	global_load_dwordx4 v[40:43], v[50:51], off
	global_load_dwordx2 v[54:55], v[52:53], off
	v_mov_b32_e32 v49, v17
	v_add_u32_e32 v46, 2, v16
	v_add_u32_e32 v48, 3, v16
	;; [unrolled: 1-line block ×3, first 2 shown]
	v_lshl_add_u64 v[44:45], v[44:45], 3, s[10:11]
	v_lshl_add_u64 v[46:47], v[46:47], 3, s[10:11]
	;; [unrolled: 1-line block ×4, first 2 shown]
	global_load_dwordx2 v[52:53], v[44:45], off
	global_load_dwordx2 v[56:57], v[46:47], off
	;; [unrolled: 1-line block ×4, first 2 shown]
	s_add_i32 s13, s13, 5
	v_add_u32_e32 v20, 10, v20
	s_cmp_eq_u32 s13, 15
	s_waitcnt vmcnt(9)
	v_xor_b32_e32 v44, 0x80000000, v27
	v_mov_b32_e32 v45, v26
	s_waitcnt vmcnt(8)
	v_xor_b32_e32 v50, 0x80000000, v39
	v_mov_b32_e32 v51, v38
	s_waitcnt vmcnt(7)
	v_xor_b32_e32 v46, 0x80000000, v31
	v_mov_b32_e32 v47, v30
	s_waitcnt vmcnt(6)
	v_xor_b32_e32 v48, 0x80000000, v35
	s_waitcnt vmcnt(4)
	v_pk_fma_f32 v[10:11], v[24:25], v[54:55], v[10:11] op_sel_hi:[1,0,1]
	v_pk_fma_f32 v[8:9], v[26:27], v[54:55], v[8:9] op_sel_hi:[1,0,1]
	v_pk_fma_f32 v[10:11], v[24:25], v[54:55], v[10:11] op_sel:[1,1,0] op_sel_hi:[0,1,1] neg_lo:[1,0,0]
	v_pk_fma_f32 v[8:9], v[44:45], v[54:55], v[8:9] op_sel:[0,1,0]
	v_mov_b32_e32 v49, v34
	v_xor_b32_e32 v62, 0x80000000, v43
	s_waitcnt vmcnt(3)
	v_pk_fma_f32 v[10:11], v[28:29], v[52:53], v[10:11] op_sel_hi:[1,0,1]
	v_pk_fma_f32 v[8:9], v[30:31], v[52:53], v[8:9] op_sel_hi:[1,0,1]
	v_pk_fma_f32 v[10:11], v[28:29], v[52:53], v[10:11] op_sel:[1,1,0] op_sel_hi:[0,1,1] neg_lo:[1,0,0]
	v_pk_fma_f32 v[8:9], v[46:47], v[52:53], v[8:9] op_sel:[0,1,0]
	s_waitcnt vmcnt(2)
	v_pk_fma_f32 v[10:11], v[32:33], v[56:57], v[10:11] op_sel_hi:[1,0,1]
	v_pk_fma_f32 v[8:9], v[34:35], v[56:57], v[8:9] op_sel_hi:[1,0,1]
	v_pk_fma_f32 v[10:11], v[32:33], v[56:57], v[10:11] op_sel:[1,1,0] op_sel_hi:[0,1,1] neg_lo:[1,0,0]
	v_pk_fma_f32 v[8:9], v[48:49], v[56:57], v[8:9] op_sel:[0,1,0]
	;; [unrolled: 5-line block ×3, first 2 shown]
	v_mov_b32_e32 v63, v42
	s_waitcnt vmcnt(0)
	v_pk_fma_f32 v[10:11], v[40:41], v[60:61], v[10:11] op_sel_hi:[1,0,1]
	v_pk_fma_f32 v[8:9], v[42:43], v[60:61], v[8:9] op_sel_hi:[1,0,1]
	v_pk_fma_f32 v[10:11], v[40:41], v[60:61], v[10:11] op_sel:[1,1,0] op_sel_hi:[0,1,1] neg_lo:[1,0,0]
	v_pk_fma_f32 v[8:9], v[62:63], v[60:61], v[8:9] op_sel:[0,1,0]
	s_cbranch_scc0 .LBB219_14
; %bb.15:                               ;   in Loop: Header=BB219_13 Depth=1
	v_add_u32_e32 v18, 16, v18
	v_cmp_ge_i32_e32 vcc, v18, v22
	s_or_b64 s[14:15], vcc, s[14:15]
	v_add_u32_e32 v14, 0x1e0, v14
	s_andn2_b64 exec, exec, s[14:15]
	s_cbranch_execnz .LBB219_13
; %bb.16:
	s_or_b64 exec, exec, s[14:15]
.LBB219_17:
	s_or_b64 exec, exec, s[4:5]
	s_cbranch_execz .LBB219_21
	s_branch .LBB219_28
.LBB219_18:
	v_mov_b64_e32 v[4:5], s[8:9]
	flat_load_dword v3, v[4:5] offset:4
	s_and_b64 vcc, exec, s[4:5]
	v_mov_b32_e32 v4, s6
	s_cbranch_vccnz .LBB219_4
.LBB219_19:
	v_mov_b64_e32 v[4:5], s[6:7]
	flat_load_dword v4, v[4:5]
	s_and_b64 vcc, exec, s[4:5]
	v_mov_b32_e32 v5, s7
	s_cbranch_vccz .LBB219_5
	s_branch .LBB219_6
.LBB219_20:
                                        ; implicit-def: $vgpr11
                                        ; implicit-def: $vgpr9
.LBB219_21:
	s_mov_b32 s14, 0
	v_mov_b32_e32 v11, 0
	v_mov_b32_e32 v10, 0
	;; [unrolled: 1-line block ×4, first 2 shown]
	s_and_saveexec_b64 s[4:5], s[2:3]
	s_cbranch_execz .LBB219_27
; %bb.22:
	v_mul_lo_u32 v1, v12, 30
	v_mad_u32_u24 v1, v7, 30, v1
	s_mul_i32 s2, s12, 30
	s_mov_b32 s15, s14
	v_mul_lo_u32 v14, v0, 30
	v_subrev_u32_e32 v15, s2, v1
	s_mov_b64 s[2:3], 0
	v_mov_b64_e32 v[8:9], s[14:15]
	v_mov_b32_e32 v13, 0
	v_mov_b64_e32 v[10:11], s[14:15]
.LBB219_23:                             ; =>This Loop Header: Depth=1
                                        ;     Child Loop BB219_24 Depth 2
	v_ashrrev_i32_e32 v1, 31, v0
	v_lshl_add_u64 v[16:17], v[0:1], 2, s[6:7]
	global_load_dword v1, v[16:17], off
	s_mov_b32 s13, 0
	s_waitcnt vmcnt(0)
	v_subrev_u32_e32 v1, s12, v1
	v_mul_lo_u32 v1, v1, 15
.LBB219_24:                             ;   Parent Loop BB219_23 Depth=1
                                        ; =>  This Inner Loop Header: Depth=2
	v_add_u32_e32 v12, s13, v15
	v_add_u32_e32 v23, s13, v14
	v_lshl_add_u64 v[40:41], v[12:13], 3, s[8:9]
	v_add_u32_e32 v12, s13, v1
	v_mov_b32_e32 v17, v13
	v_add_u32_e32 v16, 15, v23
	v_lshl_add_u64 v[42:43], v[12:13], 3, s[10:11]
	v_mov_b32_e32 v19, v13
	v_add_u32_e32 v18, 1, v23
	global_load_dwordx2 v[40:41], v[40:41], off
	v_lshl_add_u64 v[16:17], v[16:17], 3, s[8:9]
	global_load_dwordx2 v[42:43], v[42:43], off
	v_mov_b32_e32 v25, v13
	v_add_u32_e32 v24, 16, v23
	v_lshl_add_u64 v[18:19], v[18:19], 3, s[8:9]
	global_load_dwordx2 v[44:45], v[16:17], off
	global_load_dwordx2 v[46:47], v[18:19], off
	v_mov_b32_e32 v27, v13
	v_mov_b32_e32 v29, v13
	v_add_u32_e32 v26, 2, v23
	v_lshl_add_u64 v[24:25], v[24:25], 3, s[8:9]
	v_add_u32_e32 v28, 2, v12
	v_mov_b32_e32 v21, v13
	v_mov_b32_e32 v31, v13
	;; [unrolled: 1-line block ×5, first 2 shown]
	v_add_u32_e32 v30, 17, v23
	v_add_u32_e32 v32, 3, v23
	;; [unrolled: 1-line block ×5, first 2 shown]
	v_lshl_add_u64 v[26:27], v[26:27], 3, s[8:9]
	v_lshl_add_u64 v[16:17], v[28:29], 3, s[10:11]
	global_load_dwordx2 v[18:19], v[24:25], off
	global_load_dwordx2 v[28:29], v[26:27], off
	v_mov_b32_e32 v35, v13
	v_lshl_add_u64 v[30:31], v[30:31], 3, s[8:9]
	v_lshl_add_u64 v[32:33], v[32:33], 3, s[8:9]
	v_add_u32_e32 v34, 3, v12
	v_lshl_add_u64 v[36:37], v[36:37], 3, s[8:9]
	v_lshl_add_u64 v[38:39], v[38:39], 3, s[8:9]
	v_add_u32_e32 v12, 4, v12
	v_lshl_add_u64 v[20:21], v[20:21], 3, s[10:11]
	v_lshl_add_u64 v[24:25], v[34:35], 3, s[10:11]
	global_load_dwordx2 v[26:27], v[30:31], off
	global_load_dwordx2 v[34:35], v[32:33], off
	v_lshl_add_u64 v[30:31], v[12:13], 3, s[10:11]
	global_load_dwordx2 v[32:33], v[36:37], off
	global_load_dwordx2 v[48:49], v[38:39], off
	s_nop 0
	global_load_dwordx2 v[36:37], v[20:21], off
	global_load_dwordx2 v[38:39], v[16:17], off
	;; [unrolled: 1-line block ×4, first 2 shown]
	v_add_u32_e32 v12, 19, v23
	v_lshl_add_u64 v[16:17], v[12:13], 3, s[8:9]
	global_load_dwordx2 v[16:17], v[16:17], off
	s_add_i32 s13, s13, 5
	s_cmp_eq_u32 s13, 15
	s_waitcnt vmcnt(13)
	v_pk_fma_f32 v[10:11], v[40:41], v[42:43], v[10:11] op_sel_hi:[1,0,1]
	s_nop 0
	v_pk_fma_f32 v[10:11], v[40:41], v[42:43], v[10:11] op_sel:[1,1,0] op_sel_hi:[0,1,1] neg_lo:[1,0,0]
	s_waitcnt vmcnt(12)
	v_pk_fma_f32 v[8:9], v[44:45], v[42:43], v[8:9] op_sel_hi:[1,0,1]
	s_nop 0
	v_pk_fma_f32 v[8:9], v[44:45], v[42:43], v[8:9] op_sel:[1,1,0] op_sel_hi:[0,1,1] neg_lo:[1,0,0]
	s_waitcnt vmcnt(4)
	v_pk_fma_f32 v[10:11], v[46:47], v[36:37], v[10:11] op_sel_hi:[1,0,1]
	v_pk_fma_f32 v[8:9], v[18:19], v[36:37], v[8:9] op_sel_hi:[1,0,1]
	v_pk_fma_f32 v[10:11], v[46:47], v[36:37], v[10:11] op_sel:[1,1,0] op_sel_hi:[0,1,1] neg_lo:[1,0,0]
	v_pk_fma_f32 v[8:9], v[18:19], v[36:37], v[8:9] op_sel:[1,1,0] op_sel_hi:[0,1,1] neg_lo:[1,0,0]
	s_waitcnt vmcnt(3)
	v_pk_fma_f32 v[10:11], v[28:29], v[38:39], v[10:11] op_sel_hi:[1,0,1]
	v_pk_fma_f32 v[8:9], v[26:27], v[38:39], v[8:9] op_sel_hi:[1,0,1]
	v_pk_fma_f32 v[10:11], v[28:29], v[38:39], v[10:11] op_sel:[1,1,0] op_sel_hi:[0,1,1] neg_lo:[1,0,0]
	;; [unrolled: 5-line block ×3, first 2 shown]
	v_pk_fma_f32 v[8:9], v[32:33], v[50:51], v[8:9] op_sel:[1,1,0] op_sel_hi:[0,1,1] neg_lo:[1,0,0]
	s_waitcnt vmcnt(1)
	v_pk_fma_f32 v[10:11], v[48:49], v[52:53], v[10:11] op_sel_hi:[1,0,1]
	s_waitcnt vmcnt(0)
	v_pk_fma_f32 v[8:9], v[16:17], v[52:53], v[8:9] op_sel_hi:[1,0,1]
	v_pk_fma_f32 v[10:11], v[48:49], v[52:53], v[10:11] op_sel:[1,1,0] op_sel_hi:[0,1,1] neg_lo:[1,0,0]
	v_pk_fma_f32 v[8:9], v[16:17], v[52:53], v[8:9] op_sel:[1,1,0] op_sel_hi:[0,1,1] neg_lo:[1,0,0]
	s_cbranch_scc0 .LBB219_24
; %bb.25:                               ;   in Loop: Header=BB219_23 Depth=1
	v_add_u32_e32 v0, 16, v0
	v_cmp_ge_i32_e32 vcc, v0, v22
	v_add_u32_e32 v14, 0x1e0, v14
	s_or_b64 s[2:3], vcc, s[2:3]
	v_add_u32_e32 v15, 0x1e0, v15
	s_andn2_b64 exec, exec, s[2:3]
	s_cbranch_execnz .LBB219_23
; %bb.26:
	s_or_b64 exec, exec, s[2:3]
.LBB219_27:
	s_or_b64 exec, exec, s[4:5]
.LBB219_28:
	v_mov_b32_dpp v12, v8 row_shr:1 row_mask:0xf bank_mask:0xf
	v_add_f32_e32 v8, v8, v12
	v_mov_b32_dpp v0, v10 row_shr:1 row_mask:0xf bank_mask:0xf
	v_add_f32_e32 v0, v10, v0
	;; [unrolled: 2-line block ×6, first 2 shown]
	v_mov_b32_dpp v1, v0 row_shr:2 row_mask:0xf bank_mask:0xf
	v_mov_b32_dpp v11, v10 row_shr:2 row_mask:0xf bank_mask:0xf
	;; [unrolled: 1-line block ×3, first 2 shown]
	v_add_f32_e32 v0, v0, v1
	v_add_f32_e32 v10, v10, v11
	;; [unrolled: 1-line block ×3, first 2 shown]
	v_mov_b32_dpp v1, v0 row_shr:4 row_mask:0xf bank_mask:0xe
	v_mov_b32_dpp v11, v10 row_shr:4 row_mask:0xf bank_mask:0xe
	v_mov_b32_dpp v9, v8 row_shr:4 row_mask:0xf bank_mask:0xe
	v_add_f32_e32 v0, v0, v1
	v_add_f32_e32 v10, v10, v11
	;; [unrolled: 1-line block ×3, first 2 shown]
	v_mov_b32_dpp v1, v0 row_shr:8 row_mask:0xf bank_mask:0xc
	v_mov_b32_dpp v11, v10 row_shr:8 row_mask:0xf bank_mask:0xc
	;; [unrolled: 1-line block ×4, first 2 shown]
	v_cmp_eq_u32_e32 vcc, 15, v7
	s_and_b64 exec, exec, vcc
	s_cbranch_execz .LBB219_33
; %bb.29:
	s_load_dwordx2 s[2:3], s[0:1], 0x38
	v_add_f32_e32 v8, v0, v1
	v_and_b32_e32 v1, 0x7fffffff, v4
	v_cmp_eq_u32_e32 vcc, 0, v1
	v_cmp_eq_f32_e64 s[0:1], 0, v5
	v_add_f32_e32 v12, v10, v11
	v_add_f32_e32 v0, v13, v14
	;; [unrolled: 1-line block ×3, first 2 shown]
	s_and_b64 s[0:1], vcc, s[0:1]
	s_and_saveexec_b64 s[4:5], s[0:1]
	s_xor_b64 s[0:1], exec, s[4:5]
	s_cbranch_execz .LBB219_31
; %bb.30:
	v_lshlrev_b32_e32 v4, 1, v6
	v_xor_b32_e32 v14, 0x80000000, v3
	v_ashrrev_i32_e32 v5, 31, v4
	v_mov_b32_e32 v15, v2
	s_waitcnt lgkmcnt(0)
	v_lshl_add_u64 v[16:17], v[4:5], 3, s[2:3]
	v_pk_mul_f32 v[4:5], v[12:13], v[14:15] op_sel_hi:[0,1]
	v_pk_mul_f32 v[6:7], v[10:11], v[14:15] op_sel_hi:[0,1]
	v_pk_fma_f32 v[4:5], v[2:3], v[8:9], v[4:5] op_sel_hi:[1,0,1]
	v_pk_fma_f32 v[6:7], v[2:3], v[0:1], v[6:7] op_sel_hi:[1,0,1]
	global_store_dwordx4 v[16:17], v[4:7], off
                                        ; implicit-def: $vgpr3
                                        ; implicit-def: $vgpr4
                                        ; implicit-def: $vgpr6
                                        ; implicit-def: $vgpr8
                                        ; implicit-def: $vgpr12
                                        ; implicit-def: $vgpr0
                                        ; implicit-def: $vgpr10
.LBB219_31:
	s_andn2_saveexec_b64 s[0:1], s[0:1]
	s_cbranch_execz .LBB219_33
; %bb.32:
	v_lshlrev_b32_e32 v6, 1, v6
	v_ashrrev_i32_e32 v7, 31, v6
	s_waitcnt lgkmcnt(0)
	v_lshl_add_u64 v[6:7], v[6:7], 3, s[2:3]
	global_load_dwordx4 v[14:17], v[6:7], off
	v_xor_b32_e32 v18, 0x80000000, v3
	v_mov_b32_e32 v19, v2
	v_pk_mul_f32 v[12:13], v[12:13], v[18:19] op_sel_hi:[0,1]
	v_pk_mul_f32 v[10:11], v[10:11], v[18:19] op_sel_hi:[0,1]
	v_pk_fma_f32 v[8:9], v[2:3], v[8:9], v[12:13] op_sel_hi:[1,0,1]
	v_pk_fma_f32 v[0:1], v[2:3], v[0:1], v[10:11] op_sel_hi:[1,0,1]
	v_xor_b32_e32 v20, 0x80000000, v5
	v_mov_b32_e32 v21, v4
	s_waitcnt vmcnt(0)
	v_pk_fma_f32 v[2:3], v[4:5], v[14:15], v[8:9] op_sel_hi:[1,0,1]
	v_pk_fma_f32 v[4:5], v[4:5], v[16:17], v[0:1] op_sel_hi:[1,0,1]
	v_mov_b32_e32 v8, v17
	v_pk_fma_f32 v[0:1], v[20:21], v[14:15], v[2:3] op_sel:[0,1,0]
	v_pk_fma_f32 v[2:3], v[20:21], v[8:9], v[4:5] op_sel_hi:[1,0,1]
	global_store_dwordx4 v[6:7], v[0:3], off
.LBB219_33:
	s_endpgm
	.section	.rodata,"a",@progbits
	.p2align	6, 0x0
	.amdhsa_kernel _ZN9rocsparseL19gebsrmvn_2xn_kernelILj128ELj15ELj16E21rocsparse_complex_numIfEEEvi20rocsparse_direction_NS_24const_host_device_scalarIT2_EEPKiS8_PKS5_SA_S6_PS5_21rocsparse_index_base_b
		.amdhsa_group_segment_fixed_size 0
		.amdhsa_private_segment_fixed_size 0
		.amdhsa_kernarg_size 72
		.amdhsa_user_sgpr_count 2
		.amdhsa_user_sgpr_dispatch_ptr 0
		.amdhsa_user_sgpr_queue_ptr 0
		.amdhsa_user_sgpr_kernarg_segment_ptr 1
		.amdhsa_user_sgpr_dispatch_id 0
		.amdhsa_user_sgpr_kernarg_preload_length 0
		.amdhsa_user_sgpr_kernarg_preload_offset 0
		.amdhsa_user_sgpr_private_segment_size 0
		.amdhsa_uses_dynamic_stack 0
		.amdhsa_enable_private_segment 0
		.amdhsa_system_sgpr_workgroup_id_x 1
		.amdhsa_system_sgpr_workgroup_id_y 0
		.amdhsa_system_sgpr_workgroup_id_z 0
		.amdhsa_system_sgpr_workgroup_info 0
		.amdhsa_system_vgpr_workitem_id 0
		.amdhsa_next_free_vgpr 64
		.amdhsa_next_free_sgpr 18
		.amdhsa_accum_offset 64
		.amdhsa_reserve_vcc 1
		.amdhsa_float_round_mode_32 0
		.amdhsa_float_round_mode_16_64 0
		.amdhsa_float_denorm_mode_32 3
		.amdhsa_float_denorm_mode_16_64 3
		.amdhsa_dx10_clamp 1
		.amdhsa_ieee_mode 1
		.amdhsa_fp16_overflow 0
		.amdhsa_tg_split 0
		.amdhsa_exception_fp_ieee_invalid_op 0
		.amdhsa_exception_fp_denorm_src 0
		.amdhsa_exception_fp_ieee_div_zero 0
		.amdhsa_exception_fp_ieee_overflow 0
		.amdhsa_exception_fp_ieee_underflow 0
		.amdhsa_exception_fp_ieee_inexact 0
		.amdhsa_exception_int_div_zero 0
	.end_amdhsa_kernel
	.section	.text._ZN9rocsparseL19gebsrmvn_2xn_kernelILj128ELj15ELj16E21rocsparse_complex_numIfEEEvi20rocsparse_direction_NS_24const_host_device_scalarIT2_EEPKiS8_PKS5_SA_S6_PS5_21rocsparse_index_base_b,"axG",@progbits,_ZN9rocsparseL19gebsrmvn_2xn_kernelILj128ELj15ELj16E21rocsparse_complex_numIfEEEvi20rocsparse_direction_NS_24const_host_device_scalarIT2_EEPKiS8_PKS5_SA_S6_PS5_21rocsparse_index_base_b,comdat
.Lfunc_end219:
	.size	_ZN9rocsparseL19gebsrmvn_2xn_kernelILj128ELj15ELj16E21rocsparse_complex_numIfEEEvi20rocsparse_direction_NS_24const_host_device_scalarIT2_EEPKiS8_PKS5_SA_S6_PS5_21rocsparse_index_base_b, .Lfunc_end219-_ZN9rocsparseL19gebsrmvn_2xn_kernelILj128ELj15ELj16E21rocsparse_complex_numIfEEEvi20rocsparse_direction_NS_24const_host_device_scalarIT2_EEPKiS8_PKS5_SA_S6_PS5_21rocsparse_index_base_b
                                        ; -- End function
	.section	.AMDGPU.csdata,"",@progbits
; Kernel info:
; codeLenInByte = 2196
; NumSgprs: 24
; NumVgprs: 64
; NumAgprs: 0
; TotalNumVgprs: 64
; ScratchSize: 0
; MemoryBound: 0
; FloatMode: 240
; IeeeMode: 1
; LDSByteSize: 0 bytes/workgroup (compile time only)
; SGPRBlocks: 2
; VGPRBlocks: 7
; NumSGPRsForWavesPerEU: 24
; NumVGPRsForWavesPerEU: 64
; AccumOffset: 64
; Occupancy: 8
; WaveLimiterHint : 1
; COMPUTE_PGM_RSRC2:SCRATCH_EN: 0
; COMPUTE_PGM_RSRC2:USER_SGPR: 2
; COMPUTE_PGM_RSRC2:TRAP_HANDLER: 0
; COMPUTE_PGM_RSRC2:TGID_X_EN: 1
; COMPUTE_PGM_RSRC2:TGID_Y_EN: 0
; COMPUTE_PGM_RSRC2:TGID_Z_EN: 0
; COMPUTE_PGM_RSRC2:TIDIG_COMP_CNT: 0
; COMPUTE_PGM_RSRC3_GFX90A:ACCUM_OFFSET: 15
; COMPUTE_PGM_RSRC3_GFX90A:TG_SPLIT: 0
	.section	.text._ZN9rocsparseL19gebsrmvn_2xn_kernelILj128ELj15ELj32E21rocsparse_complex_numIfEEEvi20rocsparse_direction_NS_24const_host_device_scalarIT2_EEPKiS8_PKS5_SA_S6_PS5_21rocsparse_index_base_b,"axG",@progbits,_ZN9rocsparseL19gebsrmvn_2xn_kernelILj128ELj15ELj32E21rocsparse_complex_numIfEEEvi20rocsparse_direction_NS_24const_host_device_scalarIT2_EEPKiS8_PKS5_SA_S6_PS5_21rocsparse_index_base_b,comdat
	.globl	_ZN9rocsparseL19gebsrmvn_2xn_kernelILj128ELj15ELj32E21rocsparse_complex_numIfEEEvi20rocsparse_direction_NS_24const_host_device_scalarIT2_EEPKiS8_PKS5_SA_S6_PS5_21rocsparse_index_base_b ; -- Begin function _ZN9rocsparseL19gebsrmvn_2xn_kernelILj128ELj15ELj32E21rocsparse_complex_numIfEEEvi20rocsparse_direction_NS_24const_host_device_scalarIT2_EEPKiS8_PKS5_SA_S6_PS5_21rocsparse_index_base_b
	.p2align	8
	.type	_ZN9rocsparseL19gebsrmvn_2xn_kernelILj128ELj15ELj32E21rocsparse_complex_numIfEEEvi20rocsparse_direction_NS_24const_host_device_scalarIT2_EEPKiS8_PKS5_SA_S6_PS5_21rocsparse_index_base_b,@function
_ZN9rocsparseL19gebsrmvn_2xn_kernelILj128ELj15ELj32E21rocsparse_complex_numIfEEEvi20rocsparse_direction_NS_24const_host_device_scalarIT2_EEPKiS8_PKS5_SA_S6_PS5_21rocsparse_index_base_b: ; @_ZN9rocsparseL19gebsrmvn_2xn_kernelILj128ELj15ELj32E21rocsparse_complex_numIfEEEvi20rocsparse_direction_NS_24const_host_device_scalarIT2_EEPKiS8_PKS5_SA_S6_PS5_21rocsparse_index_base_b
; %bb.0:
	s_load_dwordx2 s[12:13], s[0:1], 0x40
	s_load_dwordx2 s[8:9], s[0:1], 0x8
	s_load_dwordx2 s[6:7], s[0:1], 0x30
	s_waitcnt lgkmcnt(0)
	s_bitcmp1_b32 s13, 0
	s_cselect_b64 s[4:5], -1, 0
	s_xor_b64 s[10:11], s[4:5], -1
	s_and_b64 vcc, exec, s[4:5]
	v_mov_b32_e32 v2, s8
	s_cbranch_vccnz .LBB220_2
; %bb.1:
	v_mov_b64_e32 v[2:3], s[8:9]
	flat_load_dword v2, v[2:3]
.LBB220_2:
	v_cndmask_b32_e64 v1, 0, 1, s[10:11]
	v_cmp_ne_u32_e64 s[4:5], 1, v1
	s_andn2_b64 vcc, exec, s[10:11]
	v_mov_b32_e32 v3, s9
	s_cbranch_vccz .LBB220_18
; %bb.3:
	s_and_b64 vcc, exec, s[4:5]
	v_mov_b32_e32 v4, s6
	s_cbranch_vccz .LBB220_19
.LBB220_4:
	s_and_b64 vcc, exec, s[4:5]
	v_mov_b32_e32 v5, s7
	s_cbranch_vccnz .LBB220_6
.LBB220_5:
	v_mov_b64_e32 v[6:7], s[6:7]
	flat_load_dword v5, v[6:7] offset:4
.LBB220_6:
	s_waitcnt vmcnt(0) lgkmcnt(0)
	v_and_b32_e32 v1, 0x7fffffff, v2
	v_cmp_eq_u32_e32 vcc, 0, v1
	v_cmp_eq_f32_e64 s[4:5], 0, v3
	s_and_b64 s[8:9], vcc, s[4:5]
	s_mov_b64 s[4:5], -1
	s_and_saveexec_b64 s[6:7], s[8:9]
; %bb.7:
	v_and_b32_e32 v1, 0x7fffffff, v5
	v_cmp_neq_f32_e32 vcc, 1.0, v4
	v_cmp_ne_u32_e64 s[4:5], 0, v1
	s_or_b64 s[4:5], vcc, s[4:5]
	s_orn2_b64 s[4:5], s[4:5], exec
; %bb.8:
	s_or_b64 exec, exec, s[6:7]
	s_and_saveexec_b64 s[6:7], s[4:5]
	s_cbranch_execz .LBB220_33
; %bb.9:
	s_load_dwordx2 s[14:15], s[0:1], 0x0
	v_lshrrev_b32_e32 v1, 5, v0
	v_lshl_or_b32 v6, s2, 2, v1
	s_waitcnt lgkmcnt(0)
	v_cmp_gt_i32_e32 vcc, s14, v6
	s_and_b64 exec, exec, vcc
	s_cbranch_execz .LBB220_33
; %bb.10:
	s_load_dwordx8 s[4:11], s[0:1], 0x10
	v_ashrrev_i32_e32 v7, 31, v6
	s_cmp_lg_u32 s15, 0
	s_waitcnt lgkmcnt(0)
	v_lshl_add_u64 v[8:9], v[6:7], 2, s[4:5]
	global_load_dwordx2 v[12:13], v[8:9], off
	v_and_b32_e32 v7, 31, v0
	s_waitcnt vmcnt(0)
	v_subrev_u32_e32 v0, s12, v12
	v_subrev_u32_e32 v22, s12, v13
	v_add_u32_e32 v0, v0, v7
	v_cmp_lt_i32_e64 s[2:3], v0, v22
	s_cbranch_scc0 .LBB220_20
; %bb.11:
	s_mov_b32 s16, 0
	v_mov_b32_e32 v11, 0
	v_mov_b32_e32 v10, 0
	;; [unrolled: 1-line block ×4, first 2 shown]
	s_and_saveexec_b64 s[4:5], s[2:3]
	s_cbranch_execz .LBB220_17
; %bb.12:
	v_mad_u64_u32 v[14:15], s[14:15], v0, 30, 8
	s_mov_b32 s17, s16
	s_mov_b64 s[14:15], 0
	v_mov_b64_e32 v[8:9], s[16:17]
	v_mov_b32_e32 v17, 0
	v_mov_b32_e32 v18, v0
	v_mov_b64_e32 v[10:11], s[16:17]
.LBB220_13:                             ; =>This Loop Header: Depth=1
                                        ;     Child Loop BB220_14 Depth 2
	v_ashrrev_i32_e32 v19, 31, v18
	v_lshl_add_u64 v[20:21], v[18:19], 2, s[6:7]
	global_load_dword v1, v[20:21], off
	s_mov_b32 s13, 0
	v_mov_b32_e32 v20, v14
	s_waitcnt vmcnt(0)
	v_subrev_u32_e32 v1, s12, v1
	v_mul_lo_u32 v1, v1, 15
.LBB220_14:                             ;   Parent Loop BB220_13 Depth=1
                                        ; =>  This Inner Loop Header: Depth=2
	v_add_u32_e32 v16, -8, v20
	v_add_u32_e32 v24, -6, v20
	v_mov_b32_e32 v25, v17
	v_add_u32_e32 v26, -4, v20
	v_mov_b32_e32 v27, v17
	v_add_u32_e32 v28, -2, v20
	v_mov_b32_e32 v29, v17
	v_mov_b32_e32 v21, v17
	v_lshl_add_u64 v[30:31], v[16:17], 3, s[8:9]
	v_add_u32_e32 v16, s13, v1
	v_lshl_add_u64 v[32:33], v[24:25], 3, s[8:9]
	v_lshl_add_u64 v[34:35], v[26:27], 3, s[8:9]
	;; [unrolled: 1-line block ×5, first 2 shown]
	global_load_dwordx4 v[24:27], v[30:31], off
	v_mov_b32_e32 v45, v17
	global_load_dwordx4 v[36:39], v[36:37], off
	v_add_u32_e32 v44, 1, v16
	global_load_dwordx4 v[28:31], v[32:33], off
	v_mov_b32_e32 v47, v17
	global_load_dwordx4 v[32:35], v[34:35], off
	s_nop 0
	global_load_dwordx4 v[40:43], v[50:51], off
	global_load_dwordx2 v[54:55], v[52:53], off
	v_mov_b32_e32 v49, v17
	v_add_u32_e32 v46, 2, v16
	v_add_u32_e32 v48, 3, v16
	v_add_u32_e32 v16, 4, v16
	v_lshl_add_u64 v[44:45], v[44:45], 3, s[10:11]
	v_lshl_add_u64 v[46:47], v[46:47], 3, s[10:11]
	;; [unrolled: 1-line block ×4, first 2 shown]
	global_load_dwordx2 v[52:53], v[44:45], off
	global_load_dwordx2 v[56:57], v[46:47], off
	;; [unrolled: 1-line block ×4, first 2 shown]
	s_add_i32 s13, s13, 5
	v_add_u32_e32 v20, 10, v20
	s_cmp_eq_u32 s13, 15
	s_waitcnt vmcnt(9)
	v_xor_b32_e32 v44, 0x80000000, v27
	v_mov_b32_e32 v45, v26
	s_waitcnt vmcnt(8)
	v_xor_b32_e32 v50, 0x80000000, v39
	v_mov_b32_e32 v51, v38
	s_waitcnt vmcnt(7)
	v_xor_b32_e32 v46, 0x80000000, v31
	v_mov_b32_e32 v47, v30
	s_waitcnt vmcnt(6)
	v_xor_b32_e32 v48, 0x80000000, v35
	s_waitcnt vmcnt(4)
	v_pk_fma_f32 v[10:11], v[24:25], v[54:55], v[10:11] op_sel_hi:[1,0,1]
	v_pk_fma_f32 v[8:9], v[26:27], v[54:55], v[8:9] op_sel_hi:[1,0,1]
	v_pk_fma_f32 v[10:11], v[24:25], v[54:55], v[10:11] op_sel:[1,1,0] op_sel_hi:[0,1,1] neg_lo:[1,0,0]
	v_pk_fma_f32 v[8:9], v[44:45], v[54:55], v[8:9] op_sel:[0,1,0]
	v_mov_b32_e32 v49, v34
	v_xor_b32_e32 v62, 0x80000000, v43
	s_waitcnt vmcnt(3)
	v_pk_fma_f32 v[10:11], v[28:29], v[52:53], v[10:11] op_sel_hi:[1,0,1]
	v_pk_fma_f32 v[8:9], v[30:31], v[52:53], v[8:9] op_sel_hi:[1,0,1]
	v_pk_fma_f32 v[10:11], v[28:29], v[52:53], v[10:11] op_sel:[1,1,0] op_sel_hi:[0,1,1] neg_lo:[1,0,0]
	v_pk_fma_f32 v[8:9], v[46:47], v[52:53], v[8:9] op_sel:[0,1,0]
	s_waitcnt vmcnt(2)
	v_pk_fma_f32 v[10:11], v[32:33], v[56:57], v[10:11] op_sel_hi:[1,0,1]
	v_pk_fma_f32 v[8:9], v[34:35], v[56:57], v[8:9] op_sel_hi:[1,0,1]
	v_pk_fma_f32 v[10:11], v[32:33], v[56:57], v[10:11] op_sel:[1,1,0] op_sel_hi:[0,1,1] neg_lo:[1,0,0]
	v_pk_fma_f32 v[8:9], v[48:49], v[56:57], v[8:9] op_sel:[0,1,0]
	;; [unrolled: 5-line block ×3, first 2 shown]
	v_mov_b32_e32 v63, v42
	s_waitcnt vmcnt(0)
	v_pk_fma_f32 v[10:11], v[40:41], v[60:61], v[10:11] op_sel_hi:[1,0,1]
	v_pk_fma_f32 v[8:9], v[42:43], v[60:61], v[8:9] op_sel_hi:[1,0,1]
	v_pk_fma_f32 v[10:11], v[40:41], v[60:61], v[10:11] op_sel:[1,1,0] op_sel_hi:[0,1,1] neg_lo:[1,0,0]
	v_pk_fma_f32 v[8:9], v[62:63], v[60:61], v[8:9] op_sel:[0,1,0]
	s_cbranch_scc0 .LBB220_14
; %bb.15:                               ;   in Loop: Header=BB220_13 Depth=1
	v_add_u32_e32 v18, 32, v18
	v_cmp_ge_i32_e32 vcc, v18, v22
	s_or_b64 s[14:15], vcc, s[14:15]
	v_add_u32_e32 v14, 0x3c0, v14
	s_andn2_b64 exec, exec, s[14:15]
	s_cbranch_execnz .LBB220_13
; %bb.16:
	s_or_b64 exec, exec, s[14:15]
.LBB220_17:
	s_or_b64 exec, exec, s[4:5]
	s_cbranch_execz .LBB220_21
	s_branch .LBB220_28
.LBB220_18:
	v_mov_b64_e32 v[4:5], s[8:9]
	flat_load_dword v3, v[4:5] offset:4
	s_and_b64 vcc, exec, s[4:5]
	v_mov_b32_e32 v4, s6
	s_cbranch_vccnz .LBB220_4
.LBB220_19:
	v_mov_b64_e32 v[4:5], s[6:7]
	flat_load_dword v4, v[4:5]
	s_and_b64 vcc, exec, s[4:5]
	v_mov_b32_e32 v5, s7
	s_cbranch_vccz .LBB220_5
	s_branch .LBB220_6
.LBB220_20:
                                        ; implicit-def: $vgpr11
                                        ; implicit-def: $vgpr9
.LBB220_21:
	s_mov_b32 s14, 0
	v_mov_b32_e32 v11, 0
	v_mov_b32_e32 v10, 0
	;; [unrolled: 1-line block ×4, first 2 shown]
	s_and_saveexec_b64 s[4:5], s[2:3]
	s_cbranch_execz .LBB220_27
; %bb.22:
	v_mul_lo_u32 v1, v12, 30
	v_mad_u32_u24 v1, v7, 30, v1
	s_mul_i32 s2, s12, 30
	s_mov_b32 s15, s14
	v_mul_lo_u32 v14, v0, 30
	v_subrev_u32_e32 v15, s2, v1
	s_mov_b64 s[2:3], 0
	v_mov_b64_e32 v[8:9], s[14:15]
	v_mov_b32_e32 v13, 0
	v_mov_b64_e32 v[10:11], s[14:15]
.LBB220_23:                             ; =>This Loop Header: Depth=1
                                        ;     Child Loop BB220_24 Depth 2
	v_ashrrev_i32_e32 v1, 31, v0
	v_lshl_add_u64 v[16:17], v[0:1], 2, s[6:7]
	global_load_dword v1, v[16:17], off
	s_mov_b32 s13, 0
	s_waitcnt vmcnt(0)
	v_subrev_u32_e32 v1, s12, v1
	v_mul_lo_u32 v1, v1, 15
.LBB220_24:                             ;   Parent Loop BB220_23 Depth=1
                                        ; =>  This Inner Loop Header: Depth=2
	v_add_u32_e32 v12, s13, v15
	v_add_u32_e32 v23, s13, v14
	v_lshl_add_u64 v[40:41], v[12:13], 3, s[8:9]
	v_add_u32_e32 v12, s13, v1
	v_mov_b32_e32 v17, v13
	v_add_u32_e32 v16, 15, v23
	v_lshl_add_u64 v[42:43], v[12:13], 3, s[10:11]
	v_mov_b32_e32 v19, v13
	v_add_u32_e32 v18, 1, v23
	global_load_dwordx2 v[40:41], v[40:41], off
	v_lshl_add_u64 v[16:17], v[16:17], 3, s[8:9]
	global_load_dwordx2 v[42:43], v[42:43], off
	v_mov_b32_e32 v25, v13
	v_add_u32_e32 v24, 16, v23
	v_lshl_add_u64 v[18:19], v[18:19], 3, s[8:9]
	global_load_dwordx2 v[44:45], v[16:17], off
	global_load_dwordx2 v[46:47], v[18:19], off
	v_mov_b32_e32 v27, v13
	v_mov_b32_e32 v29, v13
	v_add_u32_e32 v26, 2, v23
	v_lshl_add_u64 v[24:25], v[24:25], 3, s[8:9]
	v_add_u32_e32 v28, 2, v12
	v_mov_b32_e32 v21, v13
	v_mov_b32_e32 v31, v13
	;; [unrolled: 1-line block ×5, first 2 shown]
	v_add_u32_e32 v30, 17, v23
	v_add_u32_e32 v32, 3, v23
	;; [unrolled: 1-line block ×5, first 2 shown]
	v_lshl_add_u64 v[26:27], v[26:27], 3, s[8:9]
	v_lshl_add_u64 v[16:17], v[28:29], 3, s[10:11]
	global_load_dwordx2 v[18:19], v[24:25], off
	global_load_dwordx2 v[28:29], v[26:27], off
	v_mov_b32_e32 v35, v13
	v_lshl_add_u64 v[30:31], v[30:31], 3, s[8:9]
	v_lshl_add_u64 v[32:33], v[32:33], 3, s[8:9]
	v_add_u32_e32 v34, 3, v12
	v_lshl_add_u64 v[36:37], v[36:37], 3, s[8:9]
	v_lshl_add_u64 v[38:39], v[38:39], 3, s[8:9]
	v_add_u32_e32 v12, 4, v12
	v_lshl_add_u64 v[20:21], v[20:21], 3, s[10:11]
	v_lshl_add_u64 v[24:25], v[34:35], 3, s[10:11]
	global_load_dwordx2 v[26:27], v[30:31], off
	global_load_dwordx2 v[34:35], v[32:33], off
	v_lshl_add_u64 v[30:31], v[12:13], 3, s[10:11]
	global_load_dwordx2 v[32:33], v[36:37], off
	global_load_dwordx2 v[48:49], v[38:39], off
	s_nop 0
	global_load_dwordx2 v[36:37], v[20:21], off
	global_load_dwordx2 v[38:39], v[16:17], off
	global_load_dwordx2 v[50:51], v[24:25], off
	global_load_dwordx2 v[52:53], v[30:31], off
	v_add_u32_e32 v12, 19, v23
	v_lshl_add_u64 v[16:17], v[12:13], 3, s[8:9]
	global_load_dwordx2 v[16:17], v[16:17], off
	s_add_i32 s13, s13, 5
	s_cmp_eq_u32 s13, 15
	s_waitcnt vmcnt(13)
	v_pk_fma_f32 v[10:11], v[40:41], v[42:43], v[10:11] op_sel_hi:[1,0,1]
	s_nop 0
	v_pk_fma_f32 v[10:11], v[40:41], v[42:43], v[10:11] op_sel:[1,1,0] op_sel_hi:[0,1,1] neg_lo:[1,0,0]
	s_waitcnt vmcnt(12)
	v_pk_fma_f32 v[8:9], v[44:45], v[42:43], v[8:9] op_sel_hi:[1,0,1]
	s_nop 0
	v_pk_fma_f32 v[8:9], v[44:45], v[42:43], v[8:9] op_sel:[1,1,0] op_sel_hi:[0,1,1] neg_lo:[1,0,0]
	s_waitcnt vmcnt(4)
	v_pk_fma_f32 v[10:11], v[46:47], v[36:37], v[10:11] op_sel_hi:[1,0,1]
	v_pk_fma_f32 v[8:9], v[18:19], v[36:37], v[8:9] op_sel_hi:[1,0,1]
	v_pk_fma_f32 v[10:11], v[46:47], v[36:37], v[10:11] op_sel:[1,1,0] op_sel_hi:[0,1,1] neg_lo:[1,0,0]
	v_pk_fma_f32 v[8:9], v[18:19], v[36:37], v[8:9] op_sel:[1,1,0] op_sel_hi:[0,1,1] neg_lo:[1,0,0]
	s_waitcnt vmcnt(3)
	v_pk_fma_f32 v[10:11], v[28:29], v[38:39], v[10:11] op_sel_hi:[1,0,1]
	v_pk_fma_f32 v[8:9], v[26:27], v[38:39], v[8:9] op_sel_hi:[1,0,1]
	v_pk_fma_f32 v[10:11], v[28:29], v[38:39], v[10:11] op_sel:[1,1,0] op_sel_hi:[0,1,1] neg_lo:[1,0,0]
	;; [unrolled: 5-line block ×3, first 2 shown]
	v_pk_fma_f32 v[8:9], v[32:33], v[50:51], v[8:9] op_sel:[1,1,0] op_sel_hi:[0,1,1] neg_lo:[1,0,0]
	s_waitcnt vmcnt(1)
	v_pk_fma_f32 v[10:11], v[48:49], v[52:53], v[10:11] op_sel_hi:[1,0,1]
	s_waitcnt vmcnt(0)
	v_pk_fma_f32 v[8:9], v[16:17], v[52:53], v[8:9] op_sel_hi:[1,0,1]
	v_pk_fma_f32 v[10:11], v[48:49], v[52:53], v[10:11] op_sel:[1,1,0] op_sel_hi:[0,1,1] neg_lo:[1,0,0]
	v_pk_fma_f32 v[8:9], v[16:17], v[52:53], v[8:9] op_sel:[1,1,0] op_sel_hi:[0,1,1] neg_lo:[1,0,0]
	s_cbranch_scc0 .LBB220_24
; %bb.25:                               ;   in Loop: Header=BB220_23 Depth=1
	v_add_u32_e32 v0, 32, v0
	v_cmp_ge_i32_e32 vcc, v0, v22
	v_add_u32_e32 v14, 0x3c0, v14
	s_or_b64 s[2:3], vcc, s[2:3]
	v_add_u32_e32 v15, 0x3c0, v15
	s_andn2_b64 exec, exec, s[2:3]
	s_cbranch_execnz .LBB220_23
; %bb.26:
	s_or_b64 exec, exec, s[2:3]
.LBB220_27:
	s_or_b64 exec, exec, s[4:5]
.LBB220_28:
	v_mov_b32_dpp v12, v8 row_shr:1 row_mask:0xf bank_mask:0xf
	v_add_f32_e32 v8, v8, v12
	v_mov_b32_dpp v0, v10 row_shr:1 row_mask:0xf bank_mask:0xf
	v_add_f32_e32 v0, v10, v0
	;; [unrolled: 2-line block ×5, first 2 shown]
	v_mov_b32_dpp v1, v0 row_shr:2 row_mask:0xf bank_mask:0xf
	v_mov_b32_dpp v11, v10 row_shr:2 row_mask:0xf bank_mask:0xf
	v_mov_b32_dpp v12, v8 row_shr:8 row_mask:0xf bank_mask:0xc
	v_add_f32_e32 v13, v8, v12
	v_mov_b32_dpp v8, v9 row_shr:1 row_mask:0xf bank_mask:0xf
	v_add_f32_e32 v8, v9, v8
	v_add_f32_e32 v0, v0, v1
	;; [unrolled: 1-line block ×3, first 2 shown]
	v_mov_b32_dpp v9, v8 row_shr:2 row_mask:0xf bank_mask:0xf
	v_add_f32_e32 v8, v8, v9
	v_mov_b32_dpp v1, v0 row_shr:4 row_mask:0xf bank_mask:0xe
	v_mov_b32_dpp v11, v10 row_shr:4 row_mask:0xf bank_mask:0xe
	;; [unrolled: 1-line block ×3, first 2 shown]
	v_add_f32_e32 v0, v0, v1
	v_add_f32_e32 v10, v10, v11
	;; [unrolled: 1-line block ×3, first 2 shown]
	v_mov_b32_dpp v1, v0 row_shr:8 row_mask:0xf bank_mask:0xc
	v_mov_b32_dpp v11, v10 row_shr:8 row_mask:0xf bank_mask:0xc
	;; [unrolled: 1-line block ×3, first 2 shown]
	v_add_f32_e32 v0, v0, v1
	v_add_f32_e32 v10, v10, v11
	;; [unrolled: 1-line block ×3, first 2 shown]
	v_mov_b32_dpp v1, v0 row_bcast:15 row_mask:0xa bank_mask:0xf
	v_mov_b32_dpp v11, v10 row_bcast:15 row_mask:0xa bank_mask:0xf
	;; [unrolled: 1-line block ×4, first 2 shown]
	v_cmp_eq_u32_e32 vcc, 31, v7
	s_and_b64 exec, exec, vcc
	s_cbranch_execz .LBB220_33
; %bb.29:
	s_load_dwordx2 s[2:3], s[0:1], 0x38
	v_add_f32_e32 v8, v0, v1
	v_and_b32_e32 v1, 0x7fffffff, v4
	v_cmp_eq_u32_e32 vcc, 0, v1
	v_cmp_eq_f32_e64 s[0:1], 0, v5
	v_add_f32_e32 v12, v10, v11
	v_add_f32_e32 v0, v13, v14
	;; [unrolled: 1-line block ×3, first 2 shown]
	s_and_b64 s[0:1], vcc, s[0:1]
	s_and_saveexec_b64 s[4:5], s[0:1]
	s_xor_b64 s[0:1], exec, s[4:5]
	s_cbranch_execz .LBB220_31
; %bb.30:
	v_lshlrev_b32_e32 v4, 1, v6
	v_xor_b32_e32 v14, 0x80000000, v3
	v_ashrrev_i32_e32 v5, 31, v4
	v_mov_b32_e32 v15, v2
	s_waitcnt lgkmcnt(0)
	v_lshl_add_u64 v[16:17], v[4:5], 3, s[2:3]
	v_pk_mul_f32 v[4:5], v[12:13], v[14:15] op_sel_hi:[0,1]
	v_pk_mul_f32 v[6:7], v[10:11], v[14:15] op_sel_hi:[0,1]
	v_pk_fma_f32 v[4:5], v[2:3], v[8:9], v[4:5] op_sel_hi:[1,0,1]
	v_pk_fma_f32 v[6:7], v[2:3], v[0:1], v[6:7] op_sel_hi:[1,0,1]
	global_store_dwordx4 v[16:17], v[4:7], off
                                        ; implicit-def: $vgpr3
                                        ; implicit-def: $vgpr4
                                        ; implicit-def: $vgpr6
                                        ; implicit-def: $vgpr8
                                        ; implicit-def: $vgpr12
                                        ; implicit-def: $vgpr0
                                        ; implicit-def: $vgpr10
.LBB220_31:
	s_andn2_saveexec_b64 s[0:1], s[0:1]
	s_cbranch_execz .LBB220_33
; %bb.32:
	v_lshlrev_b32_e32 v6, 1, v6
	v_ashrrev_i32_e32 v7, 31, v6
	s_waitcnt lgkmcnt(0)
	v_lshl_add_u64 v[6:7], v[6:7], 3, s[2:3]
	global_load_dwordx4 v[14:17], v[6:7], off
	v_xor_b32_e32 v18, 0x80000000, v3
	v_mov_b32_e32 v19, v2
	v_pk_mul_f32 v[12:13], v[12:13], v[18:19] op_sel_hi:[0,1]
	v_pk_mul_f32 v[10:11], v[10:11], v[18:19] op_sel_hi:[0,1]
	v_pk_fma_f32 v[8:9], v[2:3], v[8:9], v[12:13] op_sel_hi:[1,0,1]
	v_pk_fma_f32 v[0:1], v[2:3], v[0:1], v[10:11] op_sel_hi:[1,0,1]
	v_xor_b32_e32 v20, 0x80000000, v5
	v_mov_b32_e32 v21, v4
	s_waitcnt vmcnt(0)
	v_pk_fma_f32 v[2:3], v[4:5], v[14:15], v[8:9] op_sel_hi:[1,0,1]
	v_pk_fma_f32 v[4:5], v[4:5], v[16:17], v[0:1] op_sel_hi:[1,0,1]
	v_mov_b32_e32 v8, v17
	v_pk_fma_f32 v[0:1], v[20:21], v[14:15], v[2:3] op_sel:[0,1,0]
	v_pk_fma_f32 v[2:3], v[20:21], v[8:9], v[4:5] op_sel_hi:[1,0,1]
	global_store_dwordx4 v[6:7], v[0:3], off
.LBB220_33:
	s_endpgm
	.section	.rodata,"a",@progbits
	.p2align	6, 0x0
	.amdhsa_kernel _ZN9rocsparseL19gebsrmvn_2xn_kernelILj128ELj15ELj32E21rocsparse_complex_numIfEEEvi20rocsparse_direction_NS_24const_host_device_scalarIT2_EEPKiS8_PKS5_SA_S6_PS5_21rocsparse_index_base_b
		.amdhsa_group_segment_fixed_size 0
		.amdhsa_private_segment_fixed_size 0
		.amdhsa_kernarg_size 72
		.amdhsa_user_sgpr_count 2
		.amdhsa_user_sgpr_dispatch_ptr 0
		.amdhsa_user_sgpr_queue_ptr 0
		.amdhsa_user_sgpr_kernarg_segment_ptr 1
		.amdhsa_user_sgpr_dispatch_id 0
		.amdhsa_user_sgpr_kernarg_preload_length 0
		.amdhsa_user_sgpr_kernarg_preload_offset 0
		.amdhsa_user_sgpr_private_segment_size 0
		.amdhsa_uses_dynamic_stack 0
		.amdhsa_enable_private_segment 0
		.amdhsa_system_sgpr_workgroup_id_x 1
		.amdhsa_system_sgpr_workgroup_id_y 0
		.amdhsa_system_sgpr_workgroup_id_z 0
		.amdhsa_system_sgpr_workgroup_info 0
		.amdhsa_system_vgpr_workitem_id 0
		.amdhsa_next_free_vgpr 64
		.amdhsa_next_free_sgpr 18
		.amdhsa_accum_offset 64
		.amdhsa_reserve_vcc 1
		.amdhsa_float_round_mode_32 0
		.amdhsa_float_round_mode_16_64 0
		.amdhsa_float_denorm_mode_32 3
		.amdhsa_float_denorm_mode_16_64 3
		.amdhsa_dx10_clamp 1
		.amdhsa_ieee_mode 1
		.amdhsa_fp16_overflow 0
		.amdhsa_tg_split 0
		.amdhsa_exception_fp_ieee_invalid_op 0
		.amdhsa_exception_fp_denorm_src 0
		.amdhsa_exception_fp_ieee_div_zero 0
		.amdhsa_exception_fp_ieee_overflow 0
		.amdhsa_exception_fp_ieee_underflow 0
		.amdhsa_exception_fp_ieee_inexact 0
		.amdhsa_exception_int_div_zero 0
	.end_amdhsa_kernel
	.section	.text._ZN9rocsparseL19gebsrmvn_2xn_kernelILj128ELj15ELj32E21rocsparse_complex_numIfEEEvi20rocsparse_direction_NS_24const_host_device_scalarIT2_EEPKiS8_PKS5_SA_S6_PS5_21rocsparse_index_base_b,"axG",@progbits,_ZN9rocsparseL19gebsrmvn_2xn_kernelILj128ELj15ELj32E21rocsparse_complex_numIfEEEvi20rocsparse_direction_NS_24const_host_device_scalarIT2_EEPKiS8_PKS5_SA_S6_PS5_21rocsparse_index_base_b,comdat
.Lfunc_end220:
	.size	_ZN9rocsparseL19gebsrmvn_2xn_kernelILj128ELj15ELj32E21rocsparse_complex_numIfEEEvi20rocsparse_direction_NS_24const_host_device_scalarIT2_EEPKiS8_PKS5_SA_S6_PS5_21rocsparse_index_base_b, .Lfunc_end220-_ZN9rocsparseL19gebsrmvn_2xn_kernelILj128ELj15ELj32E21rocsparse_complex_numIfEEEvi20rocsparse_direction_NS_24const_host_device_scalarIT2_EEPKiS8_PKS5_SA_S6_PS5_21rocsparse_index_base_b
                                        ; -- End function
	.section	.AMDGPU.csdata,"",@progbits
; Kernel info:
; codeLenInByte = 2244
; NumSgprs: 24
; NumVgprs: 64
; NumAgprs: 0
; TotalNumVgprs: 64
; ScratchSize: 0
; MemoryBound: 0
; FloatMode: 240
; IeeeMode: 1
; LDSByteSize: 0 bytes/workgroup (compile time only)
; SGPRBlocks: 2
; VGPRBlocks: 7
; NumSGPRsForWavesPerEU: 24
; NumVGPRsForWavesPerEU: 64
; AccumOffset: 64
; Occupancy: 8
; WaveLimiterHint : 1
; COMPUTE_PGM_RSRC2:SCRATCH_EN: 0
; COMPUTE_PGM_RSRC2:USER_SGPR: 2
; COMPUTE_PGM_RSRC2:TRAP_HANDLER: 0
; COMPUTE_PGM_RSRC2:TGID_X_EN: 1
; COMPUTE_PGM_RSRC2:TGID_Y_EN: 0
; COMPUTE_PGM_RSRC2:TGID_Z_EN: 0
; COMPUTE_PGM_RSRC2:TIDIG_COMP_CNT: 0
; COMPUTE_PGM_RSRC3_GFX90A:ACCUM_OFFSET: 15
; COMPUTE_PGM_RSRC3_GFX90A:TG_SPLIT: 0
	.section	.text._ZN9rocsparseL19gebsrmvn_2xn_kernelILj128ELj15ELj64E21rocsparse_complex_numIfEEEvi20rocsparse_direction_NS_24const_host_device_scalarIT2_EEPKiS8_PKS5_SA_S6_PS5_21rocsparse_index_base_b,"axG",@progbits,_ZN9rocsparseL19gebsrmvn_2xn_kernelILj128ELj15ELj64E21rocsparse_complex_numIfEEEvi20rocsparse_direction_NS_24const_host_device_scalarIT2_EEPKiS8_PKS5_SA_S6_PS5_21rocsparse_index_base_b,comdat
	.globl	_ZN9rocsparseL19gebsrmvn_2xn_kernelILj128ELj15ELj64E21rocsparse_complex_numIfEEEvi20rocsparse_direction_NS_24const_host_device_scalarIT2_EEPKiS8_PKS5_SA_S6_PS5_21rocsparse_index_base_b ; -- Begin function _ZN9rocsparseL19gebsrmvn_2xn_kernelILj128ELj15ELj64E21rocsparse_complex_numIfEEEvi20rocsparse_direction_NS_24const_host_device_scalarIT2_EEPKiS8_PKS5_SA_S6_PS5_21rocsparse_index_base_b
	.p2align	8
	.type	_ZN9rocsparseL19gebsrmvn_2xn_kernelILj128ELj15ELj64E21rocsparse_complex_numIfEEEvi20rocsparse_direction_NS_24const_host_device_scalarIT2_EEPKiS8_PKS5_SA_S6_PS5_21rocsparse_index_base_b,@function
_ZN9rocsparseL19gebsrmvn_2xn_kernelILj128ELj15ELj64E21rocsparse_complex_numIfEEEvi20rocsparse_direction_NS_24const_host_device_scalarIT2_EEPKiS8_PKS5_SA_S6_PS5_21rocsparse_index_base_b: ; @_ZN9rocsparseL19gebsrmvn_2xn_kernelILj128ELj15ELj64E21rocsparse_complex_numIfEEEvi20rocsparse_direction_NS_24const_host_device_scalarIT2_EEPKiS8_PKS5_SA_S6_PS5_21rocsparse_index_base_b
; %bb.0:
	s_load_dwordx2 s[12:13], s[0:1], 0x40
	s_load_dwordx2 s[8:9], s[0:1], 0x8
	;; [unrolled: 1-line block ×3, first 2 shown]
	s_waitcnt lgkmcnt(0)
	s_bitcmp1_b32 s13, 0
	s_cselect_b64 s[4:5], -1, 0
	s_xor_b64 s[10:11], s[4:5], -1
	s_and_b64 vcc, exec, s[4:5]
	v_mov_b32_e32 v2, s8
	s_cbranch_vccnz .LBB221_2
; %bb.1:
	v_mov_b64_e32 v[2:3], s[8:9]
	flat_load_dword v2, v[2:3]
.LBB221_2:
	v_cndmask_b32_e64 v1, 0, 1, s[10:11]
	v_cmp_ne_u32_e64 s[4:5], 1, v1
	s_andn2_b64 vcc, exec, s[10:11]
	v_mov_b32_e32 v3, s9
	s_cbranch_vccz .LBB221_18
; %bb.3:
	s_and_b64 vcc, exec, s[4:5]
	v_mov_b32_e32 v4, s6
	s_cbranch_vccz .LBB221_19
.LBB221_4:
	s_and_b64 vcc, exec, s[4:5]
	v_mov_b32_e32 v5, s7
	s_cbranch_vccnz .LBB221_6
.LBB221_5:
	v_mov_b64_e32 v[6:7], s[6:7]
	flat_load_dword v5, v[6:7] offset:4
.LBB221_6:
	s_waitcnt vmcnt(0) lgkmcnt(0)
	v_and_b32_e32 v1, 0x7fffffff, v2
	v_cmp_eq_u32_e32 vcc, 0, v1
	v_cmp_eq_f32_e64 s[4:5], 0, v3
	s_and_b64 s[8:9], vcc, s[4:5]
	s_mov_b64 s[4:5], -1
	s_and_saveexec_b64 s[6:7], s[8:9]
; %bb.7:
	v_and_b32_e32 v1, 0x7fffffff, v5
	v_cmp_neq_f32_e32 vcc, 1.0, v4
	v_cmp_ne_u32_e64 s[4:5], 0, v1
	s_or_b64 s[4:5], vcc, s[4:5]
	s_orn2_b64 s[4:5], s[4:5], exec
; %bb.8:
	s_or_b64 exec, exec, s[6:7]
	s_and_saveexec_b64 s[6:7], s[4:5]
	s_cbranch_execz .LBB221_33
; %bb.9:
	s_load_dwordx2 s[14:15], s[0:1], 0x0
	v_lshrrev_b32_e32 v1, 6, v0
	v_lshl_or_b32 v6, s2, 1, v1
	s_waitcnt lgkmcnt(0)
	v_cmp_gt_i32_e32 vcc, s14, v6
	s_and_b64 exec, exec, vcc
	s_cbranch_execz .LBB221_33
; %bb.10:
	s_load_dwordx8 s[4:11], s[0:1], 0x10
	v_ashrrev_i32_e32 v7, 31, v6
	s_cmp_lg_u32 s15, 0
	s_waitcnt lgkmcnt(0)
	v_lshl_add_u64 v[8:9], v[6:7], 2, s[4:5]
	global_load_dwordx2 v[12:13], v[8:9], off
	v_and_b32_e32 v7, 63, v0
	s_waitcnt vmcnt(0)
	v_subrev_u32_e32 v0, s12, v12
	v_subrev_u32_e32 v22, s12, v13
	v_add_u32_e32 v0, v0, v7
	v_cmp_lt_i32_e64 s[2:3], v0, v22
	s_cbranch_scc0 .LBB221_20
; %bb.11:
	s_mov_b32 s16, 0
	v_mov_b32_e32 v11, 0
	v_mov_b32_e32 v10, 0
	;; [unrolled: 1-line block ×4, first 2 shown]
	s_and_saveexec_b64 s[4:5], s[2:3]
	s_cbranch_execz .LBB221_17
; %bb.12:
	v_mad_u64_u32 v[14:15], s[14:15], v0, 30, 8
	s_mov_b32 s17, s16
	s_mov_b64 s[14:15], 0
	v_mov_b64_e32 v[8:9], s[16:17]
	v_mov_b32_e32 v17, 0
	v_mov_b32_e32 v18, v0
	v_mov_b64_e32 v[10:11], s[16:17]
.LBB221_13:                             ; =>This Loop Header: Depth=1
                                        ;     Child Loop BB221_14 Depth 2
	v_ashrrev_i32_e32 v19, 31, v18
	v_lshl_add_u64 v[20:21], v[18:19], 2, s[6:7]
	global_load_dword v1, v[20:21], off
	s_mov_b32 s13, 0
	v_mov_b32_e32 v20, v14
	s_waitcnt vmcnt(0)
	v_subrev_u32_e32 v1, s12, v1
	v_mul_lo_u32 v1, v1, 15
.LBB221_14:                             ;   Parent Loop BB221_13 Depth=1
                                        ; =>  This Inner Loop Header: Depth=2
	v_add_u32_e32 v16, -8, v20
	v_add_u32_e32 v24, -6, v20
	v_mov_b32_e32 v25, v17
	v_add_u32_e32 v26, -4, v20
	v_mov_b32_e32 v27, v17
	;; [unrolled: 2-line block ×3, first 2 shown]
	v_mov_b32_e32 v21, v17
	v_lshl_add_u64 v[30:31], v[16:17], 3, s[8:9]
	v_add_u32_e32 v16, s13, v1
	v_lshl_add_u64 v[32:33], v[24:25], 3, s[8:9]
	v_lshl_add_u64 v[34:35], v[26:27], 3, s[8:9]
	;; [unrolled: 1-line block ×5, first 2 shown]
	global_load_dwordx4 v[24:27], v[30:31], off
	v_mov_b32_e32 v45, v17
	global_load_dwordx4 v[36:39], v[36:37], off
	v_add_u32_e32 v44, 1, v16
	global_load_dwordx4 v[28:31], v[32:33], off
	v_mov_b32_e32 v47, v17
	global_load_dwordx4 v[32:35], v[34:35], off
	s_nop 0
	global_load_dwordx4 v[40:43], v[50:51], off
	global_load_dwordx2 v[54:55], v[52:53], off
	v_mov_b32_e32 v49, v17
	v_add_u32_e32 v46, 2, v16
	v_add_u32_e32 v48, 3, v16
	;; [unrolled: 1-line block ×3, first 2 shown]
	v_lshl_add_u64 v[44:45], v[44:45], 3, s[10:11]
	v_lshl_add_u64 v[46:47], v[46:47], 3, s[10:11]
	;; [unrolled: 1-line block ×4, first 2 shown]
	global_load_dwordx2 v[52:53], v[44:45], off
	global_load_dwordx2 v[56:57], v[46:47], off
	global_load_dwordx2 v[58:59], v[48:49], off
	global_load_dwordx2 v[60:61], v[50:51], off
	s_add_i32 s13, s13, 5
	v_add_u32_e32 v20, 10, v20
	s_cmp_eq_u32 s13, 15
	s_waitcnt vmcnt(9)
	v_xor_b32_e32 v44, 0x80000000, v27
	v_mov_b32_e32 v45, v26
	s_waitcnt vmcnt(8)
	v_xor_b32_e32 v50, 0x80000000, v39
	v_mov_b32_e32 v51, v38
	;; [unrolled: 3-line block ×3, first 2 shown]
	s_waitcnt vmcnt(6)
	v_xor_b32_e32 v48, 0x80000000, v35
	s_waitcnt vmcnt(4)
	v_pk_fma_f32 v[10:11], v[24:25], v[54:55], v[10:11] op_sel_hi:[1,0,1]
	v_pk_fma_f32 v[8:9], v[26:27], v[54:55], v[8:9] op_sel_hi:[1,0,1]
	v_pk_fma_f32 v[10:11], v[24:25], v[54:55], v[10:11] op_sel:[1,1,0] op_sel_hi:[0,1,1] neg_lo:[1,0,0]
	v_pk_fma_f32 v[8:9], v[44:45], v[54:55], v[8:9] op_sel:[0,1,0]
	v_mov_b32_e32 v49, v34
	v_xor_b32_e32 v62, 0x80000000, v43
	s_waitcnt vmcnt(3)
	v_pk_fma_f32 v[10:11], v[28:29], v[52:53], v[10:11] op_sel_hi:[1,0,1]
	v_pk_fma_f32 v[8:9], v[30:31], v[52:53], v[8:9] op_sel_hi:[1,0,1]
	v_pk_fma_f32 v[10:11], v[28:29], v[52:53], v[10:11] op_sel:[1,1,0] op_sel_hi:[0,1,1] neg_lo:[1,0,0]
	v_pk_fma_f32 v[8:9], v[46:47], v[52:53], v[8:9] op_sel:[0,1,0]
	s_waitcnt vmcnt(2)
	v_pk_fma_f32 v[10:11], v[32:33], v[56:57], v[10:11] op_sel_hi:[1,0,1]
	v_pk_fma_f32 v[8:9], v[34:35], v[56:57], v[8:9] op_sel_hi:[1,0,1]
	v_pk_fma_f32 v[10:11], v[32:33], v[56:57], v[10:11] op_sel:[1,1,0] op_sel_hi:[0,1,1] neg_lo:[1,0,0]
	v_pk_fma_f32 v[8:9], v[48:49], v[56:57], v[8:9] op_sel:[0,1,0]
	;; [unrolled: 5-line block ×3, first 2 shown]
	v_mov_b32_e32 v63, v42
	s_waitcnt vmcnt(0)
	v_pk_fma_f32 v[10:11], v[40:41], v[60:61], v[10:11] op_sel_hi:[1,0,1]
	v_pk_fma_f32 v[8:9], v[42:43], v[60:61], v[8:9] op_sel_hi:[1,0,1]
	v_pk_fma_f32 v[10:11], v[40:41], v[60:61], v[10:11] op_sel:[1,1,0] op_sel_hi:[0,1,1] neg_lo:[1,0,0]
	v_pk_fma_f32 v[8:9], v[62:63], v[60:61], v[8:9] op_sel:[0,1,0]
	s_cbranch_scc0 .LBB221_14
; %bb.15:                               ;   in Loop: Header=BB221_13 Depth=1
	v_add_u32_e32 v18, 64, v18
	v_cmp_ge_i32_e32 vcc, v18, v22
	s_or_b64 s[14:15], vcc, s[14:15]
	v_add_u32_e32 v14, 0x780, v14
	s_andn2_b64 exec, exec, s[14:15]
	s_cbranch_execnz .LBB221_13
; %bb.16:
	s_or_b64 exec, exec, s[14:15]
.LBB221_17:
	s_or_b64 exec, exec, s[4:5]
	s_cbranch_execz .LBB221_21
	s_branch .LBB221_28
.LBB221_18:
	v_mov_b64_e32 v[4:5], s[8:9]
	flat_load_dword v3, v[4:5] offset:4
	s_and_b64 vcc, exec, s[4:5]
	v_mov_b32_e32 v4, s6
	s_cbranch_vccnz .LBB221_4
.LBB221_19:
	v_mov_b64_e32 v[4:5], s[6:7]
	flat_load_dword v4, v[4:5]
	s_and_b64 vcc, exec, s[4:5]
	v_mov_b32_e32 v5, s7
	s_cbranch_vccz .LBB221_5
	s_branch .LBB221_6
.LBB221_20:
                                        ; implicit-def: $vgpr11
                                        ; implicit-def: $vgpr9
.LBB221_21:
	s_mov_b32 s14, 0
	v_mov_b32_e32 v11, 0
	v_mov_b32_e32 v10, 0
	;; [unrolled: 1-line block ×4, first 2 shown]
	s_and_saveexec_b64 s[4:5], s[2:3]
	s_cbranch_execz .LBB221_27
; %bb.22:
	v_mul_lo_u32 v1, v12, 30
	v_mad_u32_u24 v1, v7, 30, v1
	s_mul_i32 s2, s12, 30
	s_mov_b32 s15, s14
	v_mul_lo_u32 v14, v0, 30
	v_subrev_u32_e32 v15, s2, v1
	s_mov_b64 s[2:3], 0
	v_mov_b64_e32 v[8:9], s[14:15]
	v_mov_b32_e32 v13, 0
	v_mov_b64_e32 v[10:11], s[14:15]
.LBB221_23:                             ; =>This Loop Header: Depth=1
                                        ;     Child Loop BB221_24 Depth 2
	v_ashrrev_i32_e32 v1, 31, v0
	v_lshl_add_u64 v[16:17], v[0:1], 2, s[6:7]
	global_load_dword v1, v[16:17], off
	s_mov_b32 s13, 0
	s_waitcnt vmcnt(0)
	v_subrev_u32_e32 v1, s12, v1
	v_mul_lo_u32 v1, v1, 15
.LBB221_24:                             ;   Parent Loop BB221_23 Depth=1
                                        ; =>  This Inner Loop Header: Depth=2
	v_add_u32_e32 v12, s13, v15
	v_add_u32_e32 v23, s13, v14
	v_lshl_add_u64 v[40:41], v[12:13], 3, s[8:9]
	v_add_u32_e32 v12, s13, v1
	v_mov_b32_e32 v17, v13
	v_add_u32_e32 v16, 15, v23
	v_lshl_add_u64 v[42:43], v[12:13], 3, s[10:11]
	v_mov_b32_e32 v19, v13
	v_add_u32_e32 v18, 1, v23
	global_load_dwordx2 v[40:41], v[40:41], off
	v_lshl_add_u64 v[16:17], v[16:17], 3, s[8:9]
	global_load_dwordx2 v[42:43], v[42:43], off
	v_mov_b32_e32 v25, v13
	v_add_u32_e32 v24, 16, v23
	v_lshl_add_u64 v[18:19], v[18:19], 3, s[8:9]
	global_load_dwordx2 v[44:45], v[16:17], off
	global_load_dwordx2 v[46:47], v[18:19], off
	v_mov_b32_e32 v27, v13
	v_mov_b32_e32 v29, v13
	v_add_u32_e32 v26, 2, v23
	v_lshl_add_u64 v[24:25], v[24:25], 3, s[8:9]
	v_add_u32_e32 v28, 2, v12
	v_mov_b32_e32 v21, v13
	v_mov_b32_e32 v31, v13
	v_mov_b32_e32 v33, v13
	v_mov_b32_e32 v37, v13
	v_mov_b32_e32 v39, v13
	v_add_u32_e32 v30, 17, v23
	v_add_u32_e32 v32, 3, v23
	;; [unrolled: 1-line block ×5, first 2 shown]
	v_lshl_add_u64 v[26:27], v[26:27], 3, s[8:9]
	v_lshl_add_u64 v[16:17], v[28:29], 3, s[10:11]
	global_load_dwordx2 v[18:19], v[24:25], off
	global_load_dwordx2 v[28:29], v[26:27], off
	v_mov_b32_e32 v35, v13
	v_lshl_add_u64 v[30:31], v[30:31], 3, s[8:9]
	v_lshl_add_u64 v[32:33], v[32:33], 3, s[8:9]
	v_add_u32_e32 v34, 3, v12
	v_lshl_add_u64 v[36:37], v[36:37], 3, s[8:9]
	v_lshl_add_u64 v[38:39], v[38:39], 3, s[8:9]
	v_add_u32_e32 v12, 4, v12
	v_lshl_add_u64 v[20:21], v[20:21], 3, s[10:11]
	v_lshl_add_u64 v[24:25], v[34:35], 3, s[10:11]
	global_load_dwordx2 v[26:27], v[30:31], off
	global_load_dwordx2 v[34:35], v[32:33], off
	v_lshl_add_u64 v[30:31], v[12:13], 3, s[10:11]
	global_load_dwordx2 v[32:33], v[36:37], off
	global_load_dwordx2 v[48:49], v[38:39], off
	s_nop 0
	global_load_dwordx2 v[36:37], v[20:21], off
	global_load_dwordx2 v[38:39], v[16:17], off
	;; [unrolled: 1-line block ×4, first 2 shown]
	v_add_u32_e32 v12, 19, v23
	v_lshl_add_u64 v[16:17], v[12:13], 3, s[8:9]
	global_load_dwordx2 v[16:17], v[16:17], off
	s_add_i32 s13, s13, 5
	s_cmp_eq_u32 s13, 15
	s_waitcnt vmcnt(13)
	v_pk_fma_f32 v[10:11], v[40:41], v[42:43], v[10:11] op_sel_hi:[1,0,1]
	s_nop 0
	v_pk_fma_f32 v[10:11], v[40:41], v[42:43], v[10:11] op_sel:[1,1,0] op_sel_hi:[0,1,1] neg_lo:[1,0,0]
	s_waitcnt vmcnt(12)
	v_pk_fma_f32 v[8:9], v[44:45], v[42:43], v[8:9] op_sel_hi:[1,0,1]
	s_nop 0
	v_pk_fma_f32 v[8:9], v[44:45], v[42:43], v[8:9] op_sel:[1,1,0] op_sel_hi:[0,1,1] neg_lo:[1,0,0]
	s_waitcnt vmcnt(4)
	v_pk_fma_f32 v[10:11], v[46:47], v[36:37], v[10:11] op_sel_hi:[1,0,1]
	v_pk_fma_f32 v[8:9], v[18:19], v[36:37], v[8:9] op_sel_hi:[1,0,1]
	v_pk_fma_f32 v[10:11], v[46:47], v[36:37], v[10:11] op_sel:[1,1,0] op_sel_hi:[0,1,1] neg_lo:[1,0,0]
	v_pk_fma_f32 v[8:9], v[18:19], v[36:37], v[8:9] op_sel:[1,1,0] op_sel_hi:[0,1,1] neg_lo:[1,0,0]
	s_waitcnt vmcnt(3)
	v_pk_fma_f32 v[10:11], v[28:29], v[38:39], v[10:11] op_sel_hi:[1,0,1]
	v_pk_fma_f32 v[8:9], v[26:27], v[38:39], v[8:9] op_sel_hi:[1,0,1]
	v_pk_fma_f32 v[10:11], v[28:29], v[38:39], v[10:11] op_sel:[1,1,0] op_sel_hi:[0,1,1] neg_lo:[1,0,0]
	;; [unrolled: 5-line block ×3, first 2 shown]
	v_pk_fma_f32 v[8:9], v[32:33], v[50:51], v[8:9] op_sel:[1,1,0] op_sel_hi:[0,1,1] neg_lo:[1,0,0]
	s_waitcnt vmcnt(1)
	v_pk_fma_f32 v[10:11], v[48:49], v[52:53], v[10:11] op_sel_hi:[1,0,1]
	s_waitcnt vmcnt(0)
	v_pk_fma_f32 v[8:9], v[16:17], v[52:53], v[8:9] op_sel_hi:[1,0,1]
	v_pk_fma_f32 v[10:11], v[48:49], v[52:53], v[10:11] op_sel:[1,1,0] op_sel_hi:[0,1,1] neg_lo:[1,0,0]
	v_pk_fma_f32 v[8:9], v[16:17], v[52:53], v[8:9] op_sel:[1,1,0] op_sel_hi:[0,1,1] neg_lo:[1,0,0]
	s_cbranch_scc0 .LBB221_24
; %bb.25:                               ;   in Loop: Header=BB221_23 Depth=1
	v_add_u32_e32 v0, 64, v0
	v_cmp_ge_i32_e32 vcc, v0, v22
	v_add_u32_e32 v14, 0x780, v14
	s_or_b64 s[2:3], vcc, s[2:3]
	v_add_u32_e32 v15, 0x780, v15
	s_andn2_b64 exec, exec, s[2:3]
	s_cbranch_execnz .LBB221_23
; %bb.26:
	s_or_b64 exec, exec, s[2:3]
.LBB221_27:
	s_or_b64 exec, exec, s[4:5]
.LBB221_28:
	v_mov_b32_dpp v12, v8 row_shr:1 row_mask:0xf bank_mask:0xf
	v_add_f32_e32 v8, v8, v12
	v_mov_b32_dpp v0, v10 row_shr:1 row_mask:0xf bank_mask:0xf
	v_add_f32_e32 v0, v10, v0
	;; [unrolled: 2-line block ×5, first 2 shown]
	v_mov_b32_dpp v1, v0 row_shr:2 row_mask:0xf bank_mask:0xf
	v_mov_b32_dpp v11, v10 row_shr:2 row_mask:0xf bank_mask:0xf
	;; [unrolled: 1-line block ×3, first 2 shown]
	v_add_f32_e32 v8, v8, v12
	v_add_f32_e32 v0, v0, v1
	;; [unrolled: 1-line block ×3, first 2 shown]
	v_mov_b32_dpp v12, v8 row_bcast:15 row_mask:0xa bank_mask:0xf
	v_add_f32_e32 v13, v8, v12
	v_mov_b32_dpp v8, v9 row_shr:1 row_mask:0xf bank_mask:0xf
	v_add_f32_e32 v8, v9, v8
	v_mov_b32_dpp v1, v0 row_shr:4 row_mask:0xf bank_mask:0xe
	v_mov_b32_dpp v11, v10 row_shr:4 row_mask:0xf bank_mask:0xe
	v_mov_b32_dpp v9, v8 row_shr:2 row_mask:0xf bank_mask:0xf
	v_add_f32_e32 v8, v8, v9
	v_add_f32_e32 v0, v0, v1
	;; [unrolled: 1-line block ×3, first 2 shown]
	v_mov_b32_dpp v9, v8 row_shr:4 row_mask:0xf bank_mask:0xe
	v_add_f32_e32 v8, v8, v9
	v_mov_b32_dpp v1, v0 row_shr:8 row_mask:0xf bank_mask:0xc
	v_mov_b32_dpp v11, v10 row_shr:8 row_mask:0xf bank_mask:0xc
	v_mov_b32_dpp v9, v8 row_shr:8 row_mask:0xf bank_mask:0xc
	v_add_f32_e32 v0, v0, v1
	v_add_f32_e32 v10, v10, v11
	;; [unrolled: 1-line block ×3, first 2 shown]
	v_mov_b32_dpp v1, v0 row_bcast:15 row_mask:0xa bank_mask:0xf
	v_mov_b32_dpp v11, v10 row_bcast:15 row_mask:0xa bank_mask:0xf
	;; [unrolled: 1-line block ×3, first 2 shown]
	v_add_f32_e32 v0, v0, v1
	v_add_f32_e32 v10, v10, v11
	;; [unrolled: 1-line block ×3, first 2 shown]
	v_mov_b32_dpp v1, v0 row_bcast:31 row_mask:0xc bank_mask:0xf
	v_mov_b32_dpp v11, v10 row_bcast:31 row_mask:0xc bank_mask:0xf
	;; [unrolled: 1-line block ×4, first 2 shown]
	v_cmp_eq_u32_e32 vcc, 63, v7
	s_and_b64 exec, exec, vcc
	s_cbranch_execz .LBB221_33
; %bb.29:
	s_load_dwordx2 s[2:3], s[0:1], 0x38
	v_add_f32_e32 v8, v0, v1
	v_and_b32_e32 v1, 0x7fffffff, v4
	v_cmp_eq_u32_e32 vcc, 0, v1
	v_cmp_eq_f32_e64 s[0:1], 0, v5
	v_add_f32_e32 v12, v10, v11
	v_add_f32_e32 v0, v13, v14
	v_add_f32_e32 v10, v9, v15
	s_and_b64 s[0:1], vcc, s[0:1]
	s_and_saveexec_b64 s[4:5], s[0:1]
	s_xor_b64 s[0:1], exec, s[4:5]
	s_cbranch_execz .LBB221_31
; %bb.30:
	v_lshlrev_b32_e32 v4, 1, v6
	v_xor_b32_e32 v14, 0x80000000, v3
	v_ashrrev_i32_e32 v5, 31, v4
	v_mov_b32_e32 v15, v2
	s_waitcnt lgkmcnt(0)
	v_lshl_add_u64 v[16:17], v[4:5], 3, s[2:3]
	v_pk_mul_f32 v[4:5], v[12:13], v[14:15] op_sel_hi:[0,1]
	v_pk_mul_f32 v[6:7], v[10:11], v[14:15] op_sel_hi:[0,1]
	v_pk_fma_f32 v[4:5], v[2:3], v[8:9], v[4:5] op_sel_hi:[1,0,1]
	v_pk_fma_f32 v[6:7], v[2:3], v[0:1], v[6:7] op_sel_hi:[1,0,1]
	global_store_dwordx4 v[16:17], v[4:7], off
                                        ; implicit-def: $vgpr3
                                        ; implicit-def: $vgpr4
                                        ; implicit-def: $vgpr6
                                        ; implicit-def: $vgpr8
                                        ; implicit-def: $vgpr12
                                        ; implicit-def: $vgpr0
                                        ; implicit-def: $vgpr10
.LBB221_31:
	s_andn2_saveexec_b64 s[0:1], s[0:1]
	s_cbranch_execz .LBB221_33
; %bb.32:
	v_lshlrev_b32_e32 v6, 1, v6
	v_ashrrev_i32_e32 v7, 31, v6
	s_waitcnt lgkmcnt(0)
	v_lshl_add_u64 v[6:7], v[6:7], 3, s[2:3]
	global_load_dwordx4 v[14:17], v[6:7], off
	v_xor_b32_e32 v18, 0x80000000, v3
	v_mov_b32_e32 v19, v2
	v_pk_mul_f32 v[12:13], v[12:13], v[18:19] op_sel_hi:[0,1]
	v_pk_mul_f32 v[10:11], v[10:11], v[18:19] op_sel_hi:[0,1]
	v_pk_fma_f32 v[8:9], v[2:3], v[8:9], v[12:13] op_sel_hi:[1,0,1]
	v_pk_fma_f32 v[0:1], v[2:3], v[0:1], v[10:11] op_sel_hi:[1,0,1]
	v_xor_b32_e32 v20, 0x80000000, v5
	v_mov_b32_e32 v21, v4
	s_waitcnt vmcnt(0)
	v_pk_fma_f32 v[2:3], v[4:5], v[14:15], v[8:9] op_sel_hi:[1,0,1]
	v_pk_fma_f32 v[4:5], v[4:5], v[16:17], v[0:1] op_sel_hi:[1,0,1]
	v_mov_b32_e32 v8, v17
	v_pk_fma_f32 v[0:1], v[20:21], v[14:15], v[2:3] op_sel:[0,1,0]
	v_pk_fma_f32 v[2:3], v[20:21], v[8:9], v[4:5] op_sel_hi:[1,0,1]
	global_store_dwordx4 v[6:7], v[0:3], off
.LBB221_33:
	s_endpgm
	.section	.rodata,"a",@progbits
	.p2align	6, 0x0
	.amdhsa_kernel _ZN9rocsparseL19gebsrmvn_2xn_kernelILj128ELj15ELj64E21rocsparse_complex_numIfEEEvi20rocsparse_direction_NS_24const_host_device_scalarIT2_EEPKiS8_PKS5_SA_S6_PS5_21rocsparse_index_base_b
		.amdhsa_group_segment_fixed_size 0
		.amdhsa_private_segment_fixed_size 0
		.amdhsa_kernarg_size 72
		.amdhsa_user_sgpr_count 2
		.amdhsa_user_sgpr_dispatch_ptr 0
		.amdhsa_user_sgpr_queue_ptr 0
		.amdhsa_user_sgpr_kernarg_segment_ptr 1
		.amdhsa_user_sgpr_dispatch_id 0
		.amdhsa_user_sgpr_kernarg_preload_length 0
		.amdhsa_user_sgpr_kernarg_preload_offset 0
		.amdhsa_user_sgpr_private_segment_size 0
		.amdhsa_uses_dynamic_stack 0
		.amdhsa_enable_private_segment 0
		.amdhsa_system_sgpr_workgroup_id_x 1
		.amdhsa_system_sgpr_workgroup_id_y 0
		.amdhsa_system_sgpr_workgroup_id_z 0
		.amdhsa_system_sgpr_workgroup_info 0
		.amdhsa_system_vgpr_workitem_id 0
		.amdhsa_next_free_vgpr 64
		.amdhsa_next_free_sgpr 18
		.amdhsa_accum_offset 64
		.amdhsa_reserve_vcc 1
		.amdhsa_float_round_mode_32 0
		.amdhsa_float_round_mode_16_64 0
		.amdhsa_float_denorm_mode_32 3
		.amdhsa_float_denorm_mode_16_64 3
		.amdhsa_dx10_clamp 1
		.amdhsa_ieee_mode 1
		.amdhsa_fp16_overflow 0
		.amdhsa_tg_split 0
		.amdhsa_exception_fp_ieee_invalid_op 0
		.amdhsa_exception_fp_denorm_src 0
		.amdhsa_exception_fp_ieee_div_zero 0
		.amdhsa_exception_fp_ieee_overflow 0
		.amdhsa_exception_fp_ieee_underflow 0
		.amdhsa_exception_fp_ieee_inexact 0
		.amdhsa_exception_int_div_zero 0
	.end_amdhsa_kernel
	.section	.text._ZN9rocsparseL19gebsrmvn_2xn_kernelILj128ELj15ELj64E21rocsparse_complex_numIfEEEvi20rocsparse_direction_NS_24const_host_device_scalarIT2_EEPKiS8_PKS5_SA_S6_PS5_21rocsparse_index_base_b,"axG",@progbits,_ZN9rocsparseL19gebsrmvn_2xn_kernelILj128ELj15ELj64E21rocsparse_complex_numIfEEEvi20rocsparse_direction_NS_24const_host_device_scalarIT2_EEPKiS8_PKS5_SA_S6_PS5_21rocsparse_index_base_b,comdat
.Lfunc_end221:
	.size	_ZN9rocsparseL19gebsrmvn_2xn_kernelILj128ELj15ELj64E21rocsparse_complex_numIfEEEvi20rocsparse_direction_NS_24const_host_device_scalarIT2_EEPKiS8_PKS5_SA_S6_PS5_21rocsparse_index_base_b, .Lfunc_end221-_ZN9rocsparseL19gebsrmvn_2xn_kernelILj128ELj15ELj64E21rocsparse_complex_numIfEEEvi20rocsparse_direction_NS_24const_host_device_scalarIT2_EEPKiS8_PKS5_SA_S6_PS5_21rocsparse_index_base_b
                                        ; -- End function
	.section	.AMDGPU.csdata,"",@progbits
; Kernel info:
; codeLenInByte = 2292
; NumSgprs: 24
; NumVgprs: 64
; NumAgprs: 0
; TotalNumVgprs: 64
; ScratchSize: 0
; MemoryBound: 0
; FloatMode: 240
; IeeeMode: 1
; LDSByteSize: 0 bytes/workgroup (compile time only)
; SGPRBlocks: 2
; VGPRBlocks: 7
; NumSGPRsForWavesPerEU: 24
; NumVGPRsForWavesPerEU: 64
; AccumOffset: 64
; Occupancy: 8
; WaveLimiterHint : 1
; COMPUTE_PGM_RSRC2:SCRATCH_EN: 0
; COMPUTE_PGM_RSRC2:USER_SGPR: 2
; COMPUTE_PGM_RSRC2:TRAP_HANDLER: 0
; COMPUTE_PGM_RSRC2:TGID_X_EN: 1
; COMPUTE_PGM_RSRC2:TGID_Y_EN: 0
; COMPUTE_PGM_RSRC2:TGID_Z_EN: 0
; COMPUTE_PGM_RSRC2:TIDIG_COMP_CNT: 0
; COMPUTE_PGM_RSRC3_GFX90A:ACCUM_OFFSET: 15
; COMPUTE_PGM_RSRC3_GFX90A:TG_SPLIT: 0
	.section	.text._ZN9rocsparseL19gebsrmvn_2xn_kernelILj128ELj16ELj4E21rocsparse_complex_numIfEEEvi20rocsparse_direction_NS_24const_host_device_scalarIT2_EEPKiS8_PKS5_SA_S6_PS5_21rocsparse_index_base_b,"axG",@progbits,_ZN9rocsparseL19gebsrmvn_2xn_kernelILj128ELj16ELj4E21rocsparse_complex_numIfEEEvi20rocsparse_direction_NS_24const_host_device_scalarIT2_EEPKiS8_PKS5_SA_S6_PS5_21rocsparse_index_base_b,comdat
	.globl	_ZN9rocsparseL19gebsrmvn_2xn_kernelILj128ELj16ELj4E21rocsparse_complex_numIfEEEvi20rocsparse_direction_NS_24const_host_device_scalarIT2_EEPKiS8_PKS5_SA_S6_PS5_21rocsparse_index_base_b ; -- Begin function _ZN9rocsparseL19gebsrmvn_2xn_kernelILj128ELj16ELj4E21rocsparse_complex_numIfEEEvi20rocsparse_direction_NS_24const_host_device_scalarIT2_EEPKiS8_PKS5_SA_S6_PS5_21rocsparse_index_base_b
	.p2align	8
	.type	_ZN9rocsparseL19gebsrmvn_2xn_kernelILj128ELj16ELj4E21rocsparse_complex_numIfEEEvi20rocsparse_direction_NS_24const_host_device_scalarIT2_EEPKiS8_PKS5_SA_S6_PS5_21rocsparse_index_base_b,@function
_ZN9rocsparseL19gebsrmvn_2xn_kernelILj128ELj16ELj4E21rocsparse_complex_numIfEEEvi20rocsparse_direction_NS_24const_host_device_scalarIT2_EEPKiS8_PKS5_SA_S6_PS5_21rocsparse_index_base_b: ; @_ZN9rocsparseL19gebsrmvn_2xn_kernelILj128ELj16ELj4E21rocsparse_complex_numIfEEEvi20rocsparse_direction_NS_24const_host_device_scalarIT2_EEPKiS8_PKS5_SA_S6_PS5_21rocsparse_index_base_b
; %bb.0:
	s_load_dwordx2 s[12:13], s[0:1], 0x40
	s_load_dwordx2 s[8:9], s[0:1], 0x8
	;; [unrolled: 1-line block ×3, first 2 shown]
	s_waitcnt lgkmcnt(0)
	s_bitcmp1_b32 s13, 0
	s_cselect_b64 s[4:5], -1, 0
	s_xor_b64 s[10:11], s[4:5], -1
	s_and_b64 vcc, exec, s[4:5]
	v_mov_b32_e32 v2, s8
	s_cbranch_vccnz .LBB222_2
; %bb.1:
	v_mov_b64_e32 v[2:3], s[8:9]
	flat_load_dword v2, v[2:3]
.LBB222_2:
	v_cndmask_b32_e64 v1, 0, 1, s[10:11]
	v_cmp_ne_u32_e64 s[4:5], 1, v1
	s_andn2_b64 vcc, exec, s[10:11]
	v_mov_b32_e32 v3, s9
	s_cbranch_vccz .LBB222_18
; %bb.3:
	s_and_b64 vcc, exec, s[4:5]
	v_mov_b32_e32 v4, s6
	s_cbranch_vccz .LBB222_19
.LBB222_4:
	s_and_b64 vcc, exec, s[4:5]
	v_mov_b32_e32 v5, s7
	s_cbranch_vccnz .LBB222_6
.LBB222_5:
	v_mov_b64_e32 v[6:7], s[6:7]
	flat_load_dword v5, v[6:7] offset:4
.LBB222_6:
	s_waitcnt vmcnt(0) lgkmcnt(0)
	v_and_b32_e32 v1, 0x7fffffff, v2
	v_cmp_eq_u32_e32 vcc, 0, v1
	v_cmp_eq_f32_e64 s[4:5], 0, v3
	s_and_b64 s[8:9], vcc, s[4:5]
	s_mov_b64 s[4:5], -1
	s_and_saveexec_b64 s[6:7], s[8:9]
; %bb.7:
	v_and_b32_e32 v1, 0x7fffffff, v5
	v_cmp_neq_f32_e32 vcc, 1.0, v4
	v_cmp_ne_u32_e64 s[4:5], 0, v1
	s_or_b64 s[4:5], vcc, s[4:5]
	s_orn2_b64 s[4:5], s[4:5], exec
; %bb.8:
	s_or_b64 exec, exec, s[6:7]
	s_and_saveexec_b64 s[6:7], s[4:5]
	s_cbranch_execz .LBB222_33
; %bb.9:
	s_load_dwordx2 s[14:15], s[0:1], 0x0
	v_lshrrev_b32_e32 v1, 2, v0
	v_lshl_or_b32 v6, s2, 5, v1
	s_waitcnt lgkmcnt(0)
	v_cmp_gt_i32_e32 vcc, s14, v6
	s_and_b64 exec, exec, vcc
	s_cbranch_execz .LBB222_33
; %bb.10:
	s_load_dwordx8 s[4:11], s[0:1], 0x10
	v_ashrrev_i32_e32 v7, 31, v6
	s_cmp_lg_u32 s15, 0
	s_waitcnt lgkmcnt(0)
	v_lshl_add_u64 v[8:9], v[6:7], 2, s[4:5]
	global_load_dwordx2 v[8:9], v[8:9], off
	v_and_b32_e32 v7, 3, v0
	s_waitcnt vmcnt(0)
	v_subrev_u32_e32 v0, s12, v8
	v_subrev_u32_e32 v24, s12, v9
	v_add_u32_e32 v0, v0, v7
	v_cmp_lt_i32_e64 s[2:3], v0, v24
	s_cbranch_scc0 .LBB222_20
; %bb.11:
	s_mov_b32 s18, 0
	v_mov_b32_e32 v11, 0
	v_mov_b32_e32 v10, 0
	v_mov_b32_e32 v9, 0
	v_mov_b32_e32 v8, 0
	s_and_saveexec_b64 s[4:5], s[2:3]
	s_cbranch_execz .LBB222_17
; %bb.12:
	v_lshlrev_b32_e32 v12, 5, v0
	s_add_u32 s14, s8, 8
	s_mov_b32 s19, s18
	v_or_b32_e32 v1, 6, v12
	s_addc_u32 s15, s9, 0
	s_mov_b64 s[16:17], 0
	v_mov_b64_e32 v[8:9], s[18:19]
	v_mov_b32_e32 v15, 0
	v_mov_b32_e32 v16, v0
	v_mov_b64_e32 v[10:11], s[18:19]
.LBB222_13:                             ; =>This Loop Header: Depth=1
                                        ;     Child Loop BB222_14 Depth 2
	v_ashrrev_i32_e32 v17, 31, v16
	v_lshl_add_u64 v[18:19], v[16:17], 2, s[6:7]
	global_load_dword v14, v[18:19], off
	v_mov_b32_e32 v13, v15
	v_lshl_add_u64 v[20:21], v[12:13], 3, s[14:15]
	v_mov_b32_e32 v18, v1
	s_mov_b64 s[18:19], 0
	s_waitcnt vmcnt(0)
	v_subrev_u32_e32 v13, s12, v14
	v_lshlrev_b32_e32 v14, 4, v13
	v_lshl_add_u64 v[22:23], v[14:15], 3, s[10:11]
.LBB222_14:                             ;   Parent Loop BB222_13 Depth=1
                                        ; =>  This Inner Loop Header: Depth=2
	v_lshl_add_u64 v[38:39], v[22:23], 0, s[18:19]
	global_load_dwordx4 v[26:29], v[20:21], off offset:-8
	global_load_dwordx4 v[30:33], v[38:39], off
	global_load_dwordx4 v[34:37], v[38:39], off offset:16
	v_add_u32_e32 v14, -4, v18
	v_mov_b32_e32 v19, v15
	v_lshl_add_u64 v[50:51], v[14:15], 3, s[8:9]
	v_add_u32_e32 v14, -2, v18
	v_lshl_add_u64 v[52:53], v[18:19], 3, s[8:9]
	v_lshl_add_u64 v[54:55], v[14:15], 3, s[8:9]
	global_load_dwordx4 v[38:41], v[50:51], off
	global_load_dwordx4 v[42:45], v[54:55], off
	;; [unrolled: 1-line block ×3, first 2 shown]
	s_add_u32 s18, s18, 32
	s_addc_u32 s19, s19, 0
	v_lshl_add_u64 v[20:21], v[20:21], 0, 64
	v_add_u32_e32 v18, 8, v18
	s_cmpk_eq_i32 s18, 0x80
	s_waitcnt vmcnt(5)
	v_xor_b32_e32 v50, 0x80000000, v29
	v_mov_b32_e32 v51, v28
	s_waitcnt vmcnt(4)
	v_pk_fma_f32 v[10:11], v[26:27], v[30:31], v[10:11] op_sel_hi:[1,0,1]
	v_pk_fma_f32 v[8:9], v[28:29], v[30:31], v[8:9] op_sel_hi:[1,0,1]
	v_pk_fma_f32 v[10:11], v[26:27], v[30:31], v[10:11] op_sel:[1,1,0] op_sel_hi:[0,1,1] neg_lo:[1,0,0]
	v_pk_fma_f32 v[8:9], v[50:51], v[30:31], v[8:9] op_sel:[0,1,0]
	v_mov_b32_e32 v14, v33
	s_waitcnt vmcnt(2)
	v_xor_b32_e32 v26, 0x80000000, v41
	v_mov_b32_e32 v27, v40
	v_pk_fma_f32 v[10:11], v[38:39], v[32:33], v[10:11] op_sel_hi:[1,0,1]
	v_pk_fma_f32 v[8:9], v[40:41], v[32:33], v[8:9] op_sel_hi:[1,0,1]
	v_pk_fma_f32 v[10:11], v[38:39], v[14:15], v[10:11] op_sel:[1,0,0] op_sel_hi:[0,0,1] neg_lo:[1,0,0]
	v_pk_fma_f32 v[8:9], v[26:27], v[14:15], v[8:9] op_sel_hi:[1,0,1]
	s_waitcnt vmcnt(1)
	v_xor_b32_e32 v32, 0x80000000, v45
	v_mov_b32_e32 v33, v44
	v_pk_fma_f32 v[10:11], v[42:43], v[34:35], v[10:11] op_sel_hi:[1,0,1]
	v_pk_fma_f32 v[8:9], v[44:45], v[34:35], v[8:9] op_sel_hi:[1,0,1]
	v_pk_fma_f32 v[10:11], v[42:43], v[34:35], v[10:11] op_sel:[1,1,0] op_sel_hi:[0,1,1] neg_lo:[1,0,0]
	v_pk_fma_f32 v[8:9], v[32:33], v[34:35], v[8:9] op_sel:[0,1,0]
	v_mov_b32_e32 v28, v37
	s_waitcnt vmcnt(0)
	v_xor_b32_e32 v30, 0x80000000, v49
	v_mov_b32_e32 v31, v48
	v_pk_fma_f32 v[10:11], v[46:47], v[36:37], v[10:11] op_sel_hi:[1,0,1]
	v_pk_fma_f32 v[8:9], v[48:49], v[36:37], v[8:9] op_sel_hi:[1,0,1]
	v_pk_fma_f32 v[10:11], v[46:47], v[28:29], v[10:11] op_sel:[1,0,0] op_sel_hi:[0,0,1] neg_lo:[1,0,0]
	v_pk_fma_f32 v[8:9], v[30:31], v[28:29], v[8:9] op_sel_hi:[1,0,1]
	s_cbranch_scc0 .LBB222_14
; %bb.15:                               ;   in Loop: Header=BB222_13 Depth=1
	v_add_u32_e32 v16, 4, v16
	v_cmp_ge_i32_e32 vcc, v16, v24
	v_add_u32_e32 v1, 0x80, v1
	s_or_b64 s[16:17], vcc, s[16:17]
	v_add_u32_e32 v12, 0x80, v12
	s_andn2_b64 exec, exec, s[16:17]
	s_cbranch_execnz .LBB222_13
; %bb.16:
	s_or_b64 exec, exec, s[16:17]
.LBB222_17:
	s_or_b64 exec, exec, s[4:5]
	s_cbranch_execz .LBB222_21
	s_branch .LBB222_28
.LBB222_18:
	v_mov_b64_e32 v[4:5], s[8:9]
	flat_load_dword v3, v[4:5] offset:4
	s_and_b64 vcc, exec, s[4:5]
	v_mov_b32_e32 v4, s6
	s_cbranch_vccnz .LBB222_4
.LBB222_19:
	v_mov_b64_e32 v[4:5], s[6:7]
	flat_load_dword v4, v[4:5]
	s_and_b64 vcc, exec, s[4:5]
	v_mov_b32_e32 v5, s7
	s_cbranch_vccz .LBB222_5
	s_branch .LBB222_6
.LBB222_20:
                                        ; implicit-def: $vgpr11
                                        ; implicit-def: $vgpr9
.LBB222_21:
	s_mov_b32 s14, 0
	v_mov_b32_e32 v11, 0
	v_mov_b32_e32 v10, 0
	;; [unrolled: 1-line block ×4, first 2 shown]
	s_and_saveexec_b64 s[4:5], s[2:3]
	s_cbranch_execz .LBB222_27
; %bb.22:
	s_mov_b32 s15, s14
	v_lshlrev_b32_e32 v12, 5, v0
	s_mov_b64 s[2:3], 0
	v_mov_b64_e32 v[8:9], s[14:15]
	v_mov_b32_e32 v13, 0
	v_mov_b64_e32 v[10:11], s[14:15]
.LBB222_23:                             ; =>This Loop Header: Depth=1
                                        ;     Child Loop BB222_24 Depth 2
	v_ashrrev_i32_e32 v1, 31, v0
	v_lshl_add_u64 v[14:15], v[0:1], 2, s[6:7]
	global_load_dword v1, v[14:15], off
	v_mov_b32_e32 v17, v13
	v_lshl_add_u64 v[14:15], v[12:13], 3, s[8:9]
	s_mov_b64 s[14:15], 0
	s_waitcnt vmcnt(0)
	v_subrev_u32_e32 v1, s12, v1
	v_lshlrev_b32_e32 v16, 4, v1
	v_lshl_add_u64 v[16:17], v[16:17], 3, s[10:11]
.LBB222_24:                             ;   Parent Loop BB222_23 Depth=1
                                        ; =>  This Inner Loop Header: Depth=2
	v_lshl_add_u64 v[46:47], v[16:17], 0, s[14:15]
	v_lshl_add_u64 v[22:23], v[14:15], 0, s[14:15]
	global_load_dwordx4 v[18:21], v[46:47], off
	global_load_dwordx4 v[26:29], v[22:23], off
	global_load_dwordx4 v[30:33], v[22:23], off offset:128
	global_load_dwordx4 v[34:37], v[22:23], off offset:16
	;; [unrolled: 1-line block ×4, first 2 shown]
	s_add_u32 s14, s14, 32
	s_addc_u32 s15, s15, 0
	s_cmpk_eq_i32 s14, 0x80
	s_waitcnt vmcnt(5)
	v_mov_b32_e32 v46, v21
	s_waitcnt vmcnt(4)
	v_pk_fma_f32 v[10:11], v[26:27], v[18:19], v[10:11] op_sel_hi:[1,0,1]
	s_waitcnt vmcnt(3)
	v_pk_fma_f32 v[8:9], v[30:31], v[18:19], v[8:9] op_sel_hi:[1,0,1]
	v_pk_fma_f32 v[10:11], v[26:27], v[18:19], v[10:11] op_sel:[1,1,0] op_sel_hi:[0,1,1] neg_lo:[1,0,0]
	v_pk_fma_f32 v[8:9], v[30:31], v[18:19], v[8:9] op_sel:[1,1,0] op_sel_hi:[0,1,1] neg_lo:[1,0,0]
	v_xor_b32_e32 v22, 0x80000000, v29
	v_mov_b32_e32 v23, v28
	v_xor_b32_e32 v48, 0x80000000, v33
	v_mov_b32_e32 v49, v32
	v_pk_fma_f32 v[10:11], v[28:29], v[20:21], v[10:11] op_sel_hi:[1,0,1]
	v_pk_fma_f32 v[8:9], v[32:33], v[20:21], v[8:9] op_sel_hi:[1,0,1]
	;; [unrolled: 1-line block ×4, first 2 shown]
	s_waitcnt vmcnt(1)
	v_pk_fma_f32 v[10:11], v[34:35], v[38:39], v[10:11] op_sel_hi:[1,0,1]
	s_waitcnt vmcnt(0)
	v_pk_fma_f32 v[8:9], v[42:43], v[38:39], v[8:9] op_sel_hi:[1,0,1]
	v_pk_fma_f32 v[10:11], v[34:35], v[38:39], v[10:11] op_sel:[1,1,0] op_sel_hi:[0,1,1] neg_lo:[1,0,0]
	v_pk_fma_f32 v[8:9], v[42:43], v[38:39], v[8:9] op_sel:[1,1,0] op_sel_hi:[0,1,1] neg_lo:[1,0,0]
	v_xor_b32_e32 v50, 0x80000000, v37
	v_mov_b32_e32 v51, v36
	v_mov_b32_e32 v52, v41
	v_xor_b32_e32 v54, 0x80000000, v45
	v_mov_b32_e32 v55, v44
	v_pk_fma_f32 v[10:11], v[36:37], v[40:41], v[10:11] op_sel_hi:[1,0,1]
	v_pk_fma_f32 v[8:9], v[44:45], v[40:41], v[8:9] op_sel_hi:[1,0,1]
	;; [unrolled: 1-line block ×4, first 2 shown]
	s_cbranch_scc0 .LBB222_24
; %bb.25:                               ;   in Loop: Header=BB222_23 Depth=1
	v_add_u32_e32 v0, 4, v0
	v_cmp_ge_i32_e32 vcc, v0, v24
	s_or_b64 s[2:3], vcc, s[2:3]
	v_add_u32_e32 v12, 0x80, v12
	s_andn2_b64 exec, exec, s[2:3]
	s_cbranch_execnz .LBB222_23
; %bb.26:
	s_or_b64 exec, exec, s[2:3]
.LBB222_27:
	s_or_b64 exec, exec, s[4:5]
.LBB222_28:
	v_mov_b32_dpp v0, v10 row_shr:1 row_mask:0xf bank_mask:0xf
	v_mov_b32_dpp v12, v8 row_shr:1 row_mask:0xf bank_mask:0xf
	v_add_f32_e32 v0, v10, v0
	v_mov_b32_dpp v10, v11 row_shr:1 row_mask:0xf bank_mask:0xf
	v_add_f32_e32 v13, v8, v12
	;; [unrolled: 2-line block ×3, first 2 shown]
	v_add_f32_e32 v9, v9, v8
	v_mov_b32_dpp v1, v0 row_shr:2 row_mask:0xf bank_mask:0xf
	v_mov_b32_dpp v11, v10 row_shr:2 row_mask:0xf bank_mask:0xf
	;; [unrolled: 1-line block ×4, first 2 shown]
	v_cmp_eq_u32_e32 vcc, 3, v7
	s_and_b64 exec, exec, vcc
	s_cbranch_execz .LBB222_33
; %bb.29:
	s_load_dwordx2 s[2:3], s[0:1], 0x38
	v_add_f32_e32 v8, v0, v1
	v_and_b32_e32 v1, 0x7fffffff, v4
	v_cmp_eq_u32_e32 vcc, 0, v1
	v_cmp_eq_f32_e64 s[0:1], 0, v5
	v_add_f32_e32 v12, v10, v11
	v_add_f32_e32 v0, v13, v14
	;; [unrolled: 1-line block ×3, first 2 shown]
	s_and_b64 s[0:1], vcc, s[0:1]
	s_and_saveexec_b64 s[4:5], s[0:1]
	s_xor_b64 s[0:1], exec, s[4:5]
	s_cbranch_execz .LBB222_31
; %bb.30:
	v_lshlrev_b32_e32 v4, 1, v6
	v_xor_b32_e32 v14, 0x80000000, v3
	v_ashrrev_i32_e32 v5, 31, v4
	v_mov_b32_e32 v15, v2
	s_waitcnt lgkmcnt(0)
	v_lshl_add_u64 v[16:17], v[4:5], 3, s[2:3]
	v_pk_mul_f32 v[4:5], v[12:13], v[14:15] op_sel_hi:[0,1]
	v_pk_mul_f32 v[6:7], v[10:11], v[14:15] op_sel_hi:[0,1]
	v_pk_fma_f32 v[4:5], v[2:3], v[8:9], v[4:5] op_sel_hi:[1,0,1]
	v_pk_fma_f32 v[6:7], v[2:3], v[0:1], v[6:7] op_sel_hi:[1,0,1]
	global_store_dwordx4 v[16:17], v[4:7], off
                                        ; implicit-def: $vgpr3
                                        ; implicit-def: $vgpr4
                                        ; implicit-def: $vgpr6
                                        ; implicit-def: $vgpr8
                                        ; implicit-def: $vgpr12
                                        ; implicit-def: $vgpr0
                                        ; implicit-def: $vgpr10
.LBB222_31:
	s_andn2_saveexec_b64 s[0:1], s[0:1]
	s_cbranch_execz .LBB222_33
; %bb.32:
	v_lshlrev_b32_e32 v6, 1, v6
	v_ashrrev_i32_e32 v7, 31, v6
	s_waitcnt lgkmcnt(0)
	v_lshl_add_u64 v[6:7], v[6:7], 3, s[2:3]
	global_load_dwordx4 v[14:17], v[6:7], off
	v_xor_b32_e32 v18, 0x80000000, v3
	v_mov_b32_e32 v19, v2
	v_pk_mul_f32 v[12:13], v[12:13], v[18:19] op_sel_hi:[0,1]
	v_pk_mul_f32 v[10:11], v[10:11], v[18:19] op_sel_hi:[0,1]
	v_pk_fma_f32 v[8:9], v[2:3], v[8:9], v[12:13] op_sel_hi:[1,0,1]
	v_pk_fma_f32 v[0:1], v[2:3], v[0:1], v[10:11] op_sel_hi:[1,0,1]
	v_xor_b32_e32 v20, 0x80000000, v5
	v_mov_b32_e32 v21, v4
	s_waitcnt vmcnt(0)
	v_pk_fma_f32 v[2:3], v[4:5], v[14:15], v[8:9] op_sel_hi:[1,0,1]
	v_pk_fma_f32 v[4:5], v[4:5], v[16:17], v[0:1] op_sel_hi:[1,0,1]
	v_mov_b32_e32 v8, v17
	v_pk_fma_f32 v[0:1], v[20:21], v[14:15], v[2:3] op_sel:[0,1,0]
	v_pk_fma_f32 v[2:3], v[20:21], v[8:9], v[4:5] op_sel_hi:[1,0,1]
	global_store_dwordx4 v[6:7], v[0:3], off
.LBB222_33:
	s_endpgm
	.section	.rodata,"a",@progbits
	.p2align	6, 0x0
	.amdhsa_kernel _ZN9rocsparseL19gebsrmvn_2xn_kernelILj128ELj16ELj4E21rocsparse_complex_numIfEEEvi20rocsparse_direction_NS_24const_host_device_scalarIT2_EEPKiS8_PKS5_SA_S6_PS5_21rocsparse_index_base_b
		.amdhsa_group_segment_fixed_size 0
		.amdhsa_private_segment_fixed_size 0
		.amdhsa_kernarg_size 72
		.amdhsa_user_sgpr_count 2
		.amdhsa_user_sgpr_dispatch_ptr 0
		.amdhsa_user_sgpr_queue_ptr 0
		.amdhsa_user_sgpr_kernarg_segment_ptr 1
		.amdhsa_user_sgpr_dispatch_id 0
		.amdhsa_user_sgpr_kernarg_preload_length 0
		.amdhsa_user_sgpr_kernarg_preload_offset 0
		.amdhsa_user_sgpr_private_segment_size 0
		.amdhsa_uses_dynamic_stack 0
		.amdhsa_enable_private_segment 0
		.amdhsa_system_sgpr_workgroup_id_x 1
		.amdhsa_system_sgpr_workgroup_id_y 0
		.amdhsa_system_sgpr_workgroup_id_z 0
		.amdhsa_system_sgpr_workgroup_info 0
		.amdhsa_system_vgpr_workitem_id 0
		.amdhsa_next_free_vgpr 56
		.amdhsa_next_free_sgpr 20
		.amdhsa_accum_offset 56
		.amdhsa_reserve_vcc 1
		.amdhsa_float_round_mode_32 0
		.amdhsa_float_round_mode_16_64 0
		.amdhsa_float_denorm_mode_32 3
		.amdhsa_float_denorm_mode_16_64 3
		.amdhsa_dx10_clamp 1
		.amdhsa_ieee_mode 1
		.amdhsa_fp16_overflow 0
		.amdhsa_tg_split 0
		.amdhsa_exception_fp_ieee_invalid_op 0
		.amdhsa_exception_fp_denorm_src 0
		.amdhsa_exception_fp_ieee_div_zero 0
		.amdhsa_exception_fp_ieee_overflow 0
		.amdhsa_exception_fp_ieee_underflow 0
		.amdhsa_exception_fp_ieee_inexact 0
		.amdhsa_exception_int_div_zero 0
	.end_amdhsa_kernel
	.section	.text._ZN9rocsparseL19gebsrmvn_2xn_kernelILj128ELj16ELj4E21rocsparse_complex_numIfEEEvi20rocsparse_direction_NS_24const_host_device_scalarIT2_EEPKiS8_PKS5_SA_S6_PS5_21rocsparse_index_base_b,"axG",@progbits,_ZN9rocsparseL19gebsrmvn_2xn_kernelILj128ELj16ELj4E21rocsparse_complex_numIfEEEvi20rocsparse_direction_NS_24const_host_device_scalarIT2_EEPKiS8_PKS5_SA_S6_PS5_21rocsparse_index_base_b,comdat
.Lfunc_end222:
	.size	_ZN9rocsparseL19gebsrmvn_2xn_kernelILj128ELj16ELj4E21rocsparse_complex_numIfEEEvi20rocsparse_direction_NS_24const_host_device_scalarIT2_EEPKiS8_PKS5_SA_S6_PS5_21rocsparse_index_base_b, .Lfunc_end222-_ZN9rocsparseL19gebsrmvn_2xn_kernelILj128ELj16ELj4E21rocsparse_complex_numIfEEEvi20rocsparse_direction_NS_24const_host_device_scalarIT2_EEPKiS8_PKS5_SA_S6_PS5_21rocsparse_index_base_b
                                        ; -- End function
	.section	.AMDGPU.csdata,"",@progbits
; Kernel info:
; codeLenInByte = 1660
; NumSgprs: 26
; NumVgprs: 56
; NumAgprs: 0
; TotalNumVgprs: 56
; ScratchSize: 0
; MemoryBound: 0
; FloatMode: 240
; IeeeMode: 1
; LDSByteSize: 0 bytes/workgroup (compile time only)
; SGPRBlocks: 3
; VGPRBlocks: 6
; NumSGPRsForWavesPerEU: 26
; NumVGPRsForWavesPerEU: 56
; AccumOffset: 56
; Occupancy: 8
; WaveLimiterHint : 1
; COMPUTE_PGM_RSRC2:SCRATCH_EN: 0
; COMPUTE_PGM_RSRC2:USER_SGPR: 2
; COMPUTE_PGM_RSRC2:TRAP_HANDLER: 0
; COMPUTE_PGM_RSRC2:TGID_X_EN: 1
; COMPUTE_PGM_RSRC2:TGID_Y_EN: 0
; COMPUTE_PGM_RSRC2:TGID_Z_EN: 0
; COMPUTE_PGM_RSRC2:TIDIG_COMP_CNT: 0
; COMPUTE_PGM_RSRC3_GFX90A:ACCUM_OFFSET: 13
; COMPUTE_PGM_RSRC3_GFX90A:TG_SPLIT: 0
	.section	.text._ZN9rocsparseL19gebsrmvn_2xn_kernelILj128ELj16ELj8E21rocsparse_complex_numIfEEEvi20rocsparse_direction_NS_24const_host_device_scalarIT2_EEPKiS8_PKS5_SA_S6_PS5_21rocsparse_index_base_b,"axG",@progbits,_ZN9rocsparseL19gebsrmvn_2xn_kernelILj128ELj16ELj8E21rocsparse_complex_numIfEEEvi20rocsparse_direction_NS_24const_host_device_scalarIT2_EEPKiS8_PKS5_SA_S6_PS5_21rocsparse_index_base_b,comdat
	.globl	_ZN9rocsparseL19gebsrmvn_2xn_kernelILj128ELj16ELj8E21rocsparse_complex_numIfEEEvi20rocsparse_direction_NS_24const_host_device_scalarIT2_EEPKiS8_PKS5_SA_S6_PS5_21rocsparse_index_base_b ; -- Begin function _ZN9rocsparseL19gebsrmvn_2xn_kernelILj128ELj16ELj8E21rocsparse_complex_numIfEEEvi20rocsparse_direction_NS_24const_host_device_scalarIT2_EEPKiS8_PKS5_SA_S6_PS5_21rocsparse_index_base_b
	.p2align	8
	.type	_ZN9rocsparseL19gebsrmvn_2xn_kernelILj128ELj16ELj8E21rocsparse_complex_numIfEEEvi20rocsparse_direction_NS_24const_host_device_scalarIT2_EEPKiS8_PKS5_SA_S6_PS5_21rocsparse_index_base_b,@function
_ZN9rocsparseL19gebsrmvn_2xn_kernelILj128ELj16ELj8E21rocsparse_complex_numIfEEEvi20rocsparse_direction_NS_24const_host_device_scalarIT2_EEPKiS8_PKS5_SA_S6_PS5_21rocsparse_index_base_b: ; @_ZN9rocsparseL19gebsrmvn_2xn_kernelILj128ELj16ELj8E21rocsparse_complex_numIfEEEvi20rocsparse_direction_NS_24const_host_device_scalarIT2_EEPKiS8_PKS5_SA_S6_PS5_21rocsparse_index_base_b
; %bb.0:
	s_load_dwordx2 s[12:13], s[0:1], 0x40
	s_load_dwordx2 s[8:9], s[0:1], 0x8
	;; [unrolled: 1-line block ×3, first 2 shown]
	s_waitcnt lgkmcnt(0)
	s_bitcmp1_b32 s13, 0
	s_cselect_b64 s[4:5], -1, 0
	s_xor_b64 s[10:11], s[4:5], -1
	s_and_b64 vcc, exec, s[4:5]
	v_mov_b32_e32 v2, s8
	s_cbranch_vccnz .LBB223_2
; %bb.1:
	v_mov_b64_e32 v[2:3], s[8:9]
	flat_load_dword v2, v[2:3]
.LBB223_2:
	v_cndmask_b32_e64 v1, 0, 1, s[10:11]
	v_cmp_ne_u32_e64 s[4:5], 1, v1
	s_andn2_b64 vcc, exec, s[10:11]
	v_mov_b32_e32 v3, s9
	s_cbranch_vccz .LBB223_18
; %bb.3:
	s_and_b64 vcc, exec, s[4:5]
	v_mov_b32_e32 v4, s6
	s_cbranch_vccz .LBB223_19
.LBB223_4:
	s_and_b64 vcc, exec, s[4:5]
	v_mov_b32_e32 v5, s7
	s_cbranch_vccnz .LBB223_6
.LBB223_5:
	v_mov_b64_e32 v[6:7], s[6:7]
	flat_load_dword v5, v[6:7] offset:4
.LBB223_6:
	s_waitcnt vmcnt(0) lgkmcnt(0)
	v_and_b32_e32 v1, 0x7fffffff, v2
	v_cmp_eq_u32_e32 vcc, 0, v1
	v_cmp_eq_f32_e64 s[4:5], 0, v3
	s_and_b64 s[8:9], vcc, s[4:5]
	s_mov_b64 s[4:5], -1
	s_and_saveexec_b64 s[6:7], s[8:9]
; %bb.7:
	v_and_b32_e32 v1, 0x7fffffff, v5
	v_cmp_neq_f32_e32 vcc, 1.0, v4
	v_cmp_ne_u32_e64 s[4:5], 0, v1
	s_or_b64 s[4:5], vcc, s[4:5]
	s_orn2_b64 s[4:5], s[4:5], exec
; %bb.8:
	s_or_b64 exec, exec, s[6:7]
	s_and_saveexec_b64 s[6:7], s[4:5]
	s_cbranch_execz .LBB223_33
; %bb.9:
	s_load_dwordx2 s[14:15], s[0:1], 0x0
	v_lshrrev_b32_e32 v1, 3, v0
	v_lshl_or_b32 v6, s2, 4, v1
	s_waitcnt lgkmcnt(0)
	v_cmp_gt_i32_e32 vcc, s14, v6
	s_and_b64 exec, exec, vcc
	s_cbranch_execz .LBB223_33
; %bb.10:
	s_load_dwordx8 s[4:11], s[0:1], 0x10
	v_ashrrev_i32_e32 v7, 31, v6
	s_cmp_lg_u32 s15, 0
	s_waitcnt lgkmcnt(0)
	v_lshl_add_u64 v[8:9], v[6:7], 2, s[4:5]
	global_load_dwordx2 v[8:9], v[8:9], off
	v_and_b32_e32 v7, 7, v0
	s_waitcnt vmcnt(0)
	v_subrev_u32_e32 v0, s12, v8
	v_subrev_u32_e32 v24, s12, v9
	v_add_u32_e32 v0, v0, v7
	v_cmp_lt_i32_e64 s[2:3], v0, v24
	s_cbranch_scc0 .LBB223_20
; %bb.11:
	s_mov_b32 s18, 0
	v_mov_b32_e32 v11, 0
	v_mov_b32_e32 v10, 0
	;; [unrolled: 1-line block ×4, first 2 shown]
	s_and_saveexec_b64 s[4:5], s[2:3]
	s_cbranch_execz .LBB223_17
; %bb.12:
	v_lshlrev_b32_e32 v12, 5, v0
	s_add_u32 s14, s8, 8
	s_mov_b32 s19, s18
	v_or_b32_e32 v1, 6, v12
	s_addc_u32 s15, s9, 0
	s_mov_b64 s[16:17], 0
	v_mov_b64_e32 v[8:9], s[18:19]
	v_mov_b32_e32 v15, 0
	v_mov_b32_e32 v16, v0
	v_mov_b64_e32 v[10:11], s[18:19]
.LBB223_13:                             ; =>This Loop Header: Depth=1
                                        ;     Child Loop BB223_14 Depth 2
	v_ashrrev_i32_e32 v17, 31, v16
	v_lshl_add_u64 v[18:19], v[16:17], 2, s[6:7]
	global_load_dword v14, v[18:19], off
	v_mov_b32_e32 v13, v15
	v_lshl_add_u64 v[20:21], v[12:13], 3, s[14:15]
	v_mov_b32_e32 v18, v1
	s_mov_b64 s[18:19], 0
	s_waitcnt vmcnt(0)
	v_subrev_u32_e32 v13, s12, v14
	v_lshlrev_b32_e32 v14, 4, v13
	v_lshl_add_u64 v[22:23], v[14:15], 3, s[10:11]
.LBB223_14:                             ;   Parent Loop BB223_13 Depth=1
                                        ; =>  This Inner Loop Header: Depth=2
	v_lshl_add_u64 v[38:39], v[22:23], 0, s[18:19]
	global_load_dwordx4 v[26:29], v[20:21], off offset:-8
	global_load_dwordx4 v[30:33], v[38:39], off
	global_load_dwordx4 v[34:37], v[38:39], off offset:16
	v_add_u32_e32 v14, -4, v18
	v_mov_b32_e32 v19, v15
	v_lshl_add_u64 v[50:51], v[14:15], 3, s[8:9]
	v_add_u32_e32 v14, -2, v18
	v_lshl_add_u64 v[52:53], v[18:19], 3, s[8:9]
	v_lshl_add_u64 v[54:55], v[14:15], 3, s[8:9]
	global_load_dwordx4 v[38:41], v[50:51], off
	global_load_dwordx4 v[42:45], v[54:55], off
	;; [unrolled: 1-line block ×3, first 2 shown]
	s_add_u32 s18, s18, 32
	s_addc_u32 s19, s19, 0
	v_lshl_add_u64 v[20:21], v[20:21], 0, 64
	v_add_u32_e32 v18, 8, v18
	s_cmpk_eq_i32 s18, 0x80
	s_waitcnt vmcnt(5)
	v_xor_b32_e32 v50, 0x80000000, v29
	v_mov_b32_e32 v51, v28
	s_waitcnt vmcnt(4)
	v_pk_fma_f32 v[10:11], v[26:27], v[30:31], v[10:11] op_sel_hi:[1,0,1]
	v_pk_fma_f32 v[8:9], v[28:29], v[30:31], v[8:9] op_sel_hi:[1,0,1]
	v_pk_fma_f32 v[10:11], v[26:27], v[30:31], v[10:11] op_sel:[1,1,0] op_sel_hi:[0,1,1] neg_lo:[1,0,0]
	v_pk_fma_f32 v[8:9], v[50:51], v[30:31], v[8:9] op_sel:[0,1,0]
	v_mov_b32_e32 v14, v33
	s_waitcnt vmcnt(2)
	v_xor_b32_e32 v26, 0x80000000, v41
	v_mov_b32_e32 v27, v40
	v_pk_fma_f32 v[10:11], v[38:39], v[32:33], v[10:11] op_sel_hi:[1,0,1]
	v_pk_fma_f32 v[8:9], v[40:41], v[32:33], v[8:9] op_sel_hi:[1,0,1]
	v_pk_fma_f32 v[10:11], v[38:39], v[14:15], v[10:11] op_sel:[1,0,0] op_sel_hi:[0,0,1] neg_lo:[1,0,0]
	v_pk_fma_f32 v[8:9], v[26:27], v[14:15], v[8:9] op_sel_hi:[1,0,1]
	s_waitcnt vmcnt(1)
	v_xor_b32_e32 v32, 0x80000000, v45
	v_mov_b32_e32 v33, v44
	v_pk_fma_f32 v[10:11], v[42:43], v[34:35], v[10:11] op_sel_hi:[1,0,1]
	v_pk_fma_f32 v[8:9], v[44:45], v[34:35], v[8:9] op_sel_hi:[1,0,1]
	v_pk_fma_f32 v[10:11], v[42:43], v[34:35], v[10:11] op_sel:[1,1,0] op_sel_hi:[0,1,1] neg_lo:[1,0,0]
	v_pk_fma_f32 v[8:9], v[32:33], v[34:35], v[8:9] op_sel:[0,1,0]
	v_mov_b32_e32 v28, v37
	s_waitcnt vmcnt(0)
	v_xor_b32_e32 v30, 0x80000000, v49
	v_mov_b32_e32 v31, v48
	v_pk_fma_f32 v[10:11], v[46:47], v[36:37], v[10:11] op_sel_hi:[1,0,1]
	v_pk_fma_f32 v[8:9], v[48:49], v[36:37], v[8:9] op_sel_hi:[1,0,1]
	v_pk_fma_f32 v[10:11], v[46:47], v[28:29], v[10:11] op_sel:[1,0,0] op_sel_hi:[0,0,1] neg_lo:[1,0,0]
	v_pk_fma_f32 v[8:9], v[30:31], v[28:29], v[8:9] op_sel_hi:[1,0,1]
	s_cbranch_scc0 .LBB223_14
; %bb.15:                               ;   in Loop: Header=BB223_13 Depth=1
	v_add_u32_e32 v16, 8, v16
	v_cmp_ge_i32_e32 vcc, v16, v24
	v_add_u32_e32 v1, 0x100, v1
	s_or_b64 s[16:17], vcc, s[16:17]
	v_add_u32_e32 v12, 0x100, v12
	s_andn2_b64 exec, exec, s[16:17]
	s_cbranch_execnz .LBB223_13
; %bb.16:
	s_or_b64 exec, exec, s[16:17]
.LBB223_17:
	s_or_b64 exec, exec, s[4:5]
	s_cbranch_execz .LBB223_21
	s_branch .LBB223_28
.LBB223_18:
	v_mov_b64_e32 v[4:5], s[8:9]
	flat_load_dword v3, v[4:5] offset:4
	s_and_b64 vcc, exec, s[4:5]
	v_mov_b32_e32 v4, s6
	s_cbranch_vccnz .LBB223_4
.LBB223_19:
	v_mov_b64_e32 v[4:5], s[6:7]
	flat_load_dword v4, v[4:5]
	s_and_b64 vcc, exec, s[4:5]
	v_mov_b32_e32 v5, s7
	s_cbranch_vccz .LBB223_5
	s_branch .LBB223_6
.LBB223_20:
                                        ; implicit-def: $vgpr11
                                        ; implicit-def: $vgpr9
.LBB223_21:
	s_mov_b32 s14, 0
	v_mov_b32_e32 v11, 0
	v_mov_b32_e32 v10, 0
	;; [unrolled: 1-line block ×4, first 2 shown]
	s_and_saveexec_b64 s[4:5], s[2:3]
	s_cbranch_execz .LBB223_27
; %bb.22:
	s_mov_b32 s15, s14
	v_lshlrev_b32_e32 v12, 5, v0
	s_mov_b64 s[2:3], 0
	v_mov_b64_e32 v[8:9], s[14:15]
	v_mov_b32_e32 v13, 0
	v_mov_b64_e32 v[10:11], s[14:15]
.LBB223_23:                             ; =>This Loop Header: Depth=1
                                        ;     Child Loop BB223_24 Depth 2
	v_ashrrev_i32_e32 v1, 31, v0
	v_lshl_add_u64 v[14:15], v[0:1], 2, s[6:7]
	global_load_dword v1, v[14:15], off
	v_mov_b32_e32 v17, v13
	v_lshl_add_u64 v[14:15], v[12:13], 3, s[8:9]
	s_mov_b64 s[14:15], 0
	s_waitcnt vmcnt(0)
	v_subrev_u32_e32 v1, s12, v1
	v_lshlrev_b32_e32 v16, 4, v1
	v_lshl_add_u64 v[16:17], v[16:17], 3, s[10:11]
.LBB223_24:                             ;   Parent Loop BB223_23 Depth=1
                                        ; =>  This Inner Loop Header: Depth=2
	v_lshl_add_u64 v[46:47], v[16:17], 0, s[14:15]
	v_lshl_add_u64 v[22:23], v[14:15], 0, s[14:15]
	global_load_dwordx4 v[18:21], v[46:47], off
	global_load_dwordx4 v[26:29], v[22:23], off
	global_load_dwordx4 v[30:33], v[22:23], off offset:128
	global_load_dwordx4 v[34:37], v[22:23], off offset:16
	;; [unrolled: 1-line block ×4, first 2 shown]
	s_add_u32 s14, s14, 32
	s_addc_u32 s15, s15, 0
	s_cmpk_eq_i32 s14, 0x80
	s_waitcnt vmcnt(5)
	v_mov_b32_e32 v46, v21
	s_waitcnt vmcnt(4)
	v_pk_fma_f32 v[10:11], v[26:27], v[18:19], v[10:11] op_sel_hi:[1,0,1]
	s_waitcnt vmcnt(3)
	v_pk_fma_f32 v[8:9], v[30:31], v[18:19], v[8:9] op_sel_hi:[1,0,1]
	v_pk_fma_f32 v[10:11], v[26:27], v[18:19], v[10:11] op_sel:[1,1,0] op_sel_hi:[0,1,1] neg_lo:[1,0,0]
	v_pk_fma_f32 v[8:9], v[30:31], v[18:19], v[8:9] op_sel:[1,1,0] op_sel_hi:[0,1,1] neg_lo:[1,0,0]
	v_xor_b32_e32 v22, 0x80000000, v29
	v_mov_b32_e32 v23, v28
	v_xor_b32_e32 v48, 0x80000000, v33
	v_mov_b32_e32 v49, v32
	v_pk_fma_f32 v[10:11], v[28:29], v[20:21], v[10:11] op_sel_hi:[1,0,1]
	v_pk_fma_f32 v[8:9], v[32:33], v[20:21], v[8:9] op_sel_hi:[1,0,1]
	;; [unrolled: 1-line block ×4, first 2 shown]
	s_waitcnt vmcnt(1)
	v_pk_fma_f32 v[10:11], v[34:35], v[38:39], v[10:11] op_sel_hi:[1,0,1]
	s_waitcnt vmcnt(0)
	v_pk_fma_f32 v[8:9], v[42:43], v[38:39], v[8:9] op_sel_hi:[1,0,1]
	v_pk_fma_f32 v[10:11], v[34:35], v[38:39], v[10:11] op_sel:[1,1,0] op_sel_hi:[0,1,1] neg_lo:[1,0,0]
	v_pk_fma_f32 v[8:9], v[42:43], v[38:39], v[8:9] op_sel:[1,1,0] op_sel_hi:[0,1,1] neg_lo:[1,0,0]
	v_xor_b32_e32 v50, 0x80000000, v37
	v_mov_b32_e32 v51, v36
	v_mov_b32_e32 v52, v41
	v_xor_b32_e32 v54, 0x80000000, v45
	v_mov_b32_e32 v55, v44
	v_pk_fma_f32 v[10:11], v[36:37], v[40:41], v[10:11] op_sel_hi:[1,0,1]
	v_pk_fma_f32 v[8:9], v[44:45], v[40:41], v[8:9] op_sel_hi:[1,0,1]
	;; [unrolled: 1-line block ×4, first 2 shown]
	s_cbranch_scc0 .LBB223_24
; %bb.25:                               ;   in Loop: Header=BB223_23 Depth=1
	v_add_u32_e32 v0, 8, v0
	v_cmp_ge_i32_e32 vcc, v0, v24
	s_or_b64 s[2:3], vcc, s[2:3]
	v_add_u32_e32 v12, 0x100, v12
	s_andn2_b64 exec, exec, s[2:3]
	s_cbranch_execnz .LBB223_23
; %bb.26:
	s_or_b64 exec, exec, s[2:3]
.LBB223_27:
	s_or_b64 exec, exec, s[4:5]
.LBB223_28:
	v_mov_b32_dpp v12, v8 row_shr:1 row_mask:0xf bank_mask:0xf
	v_add_f32_e32 v8, v8, v12
	v_mov_b32_dpp v0, v10 row_shr:1 row_mask:0xf bank_mask:0xf
	v_add_f32_e32 v0, v10, v0
	v_mov_b32_dpp v12, v8 row_shr:2 row_mask:0xf bank_mask:0xf
	v_mov_b32_dpp v10, v11 row_shr:1 row_mask:0xf bank_mask:0xf
	v_add_f32_e32 v13, v8, v12
	v_mov_b32_dpp v8, v9 row_shr:1 row_mask:0xf bank_mask:0xf
	v_add_f32_e32 v10, v11, v10
	v_add_f32_e32 v8, v9, v8
	v_mov_b32_dpp v1, v0 row_shr:2 row_mask:0xf bank_mask:0xf
	v_mov_b32_dpp v11, v10 row_shr:2 row_mask:0xf bank_mask:0xf
	;; [unrolled: 1-line block ×3, first 2 shown]
	v_add_f32_e32 v0, v0, v1
	v_add_f32_e32 v10, v10, v11
	;; [unrolled: 1-line block ×3, first 2 shown]
	v_mov_b32_dpp v1, v0 row_shr:4 row_mask:0xf bank_mask:0xe
	v_mov_b32_dpp v11, v10 row_shr:4 row_mask:0xf bank_mask:0xe
	;; [unrolled: 1-line block ×4, first 2 shown]
	v_cmp_eq_u32_e32 vcc, 7, v7
	s_and_b64 exec, exec, vcc
	s_cbranch_execz .LBB223_33
; %bb.29:
	s_load_dwordx2 s[2:3], s[0:1], 0x38
	v_add_f32_e32 v8, v0, v1
	v_and_b32_e32 v1, 0x7fffffff, v4
	v_cmp_eq_u32_e32 vcc, 0, v1
	v_cmp_eq_f32_e64 s[0:1], 0, v5
	v_add_f32_e32 v12, v10, v11
	v_add_f32_e32 v0, v13, v14
	;; [unrolled: 1-line block ×3, first 2 shown]
	s_and_b64 s[0:1], vcc, s[0:1]
	s_and_saveexec_b64 s[4:5], s[0:1]
	s_xor_b64 s[0:1], exec, s[4:5]
	s_cbranch_execz .LBB223_31
; %bb.30:
	v_lshlrev_b32_e32 v4, 1, v6
	v_xor_b32_e32 v14, 0x80000000, v3
	v_ashrrev_i32_e32 v5, 31, v4
	v_mov_b32_e32 v15, v2
	s_waitcnt lgkmcnt(0)
	v_lshl_add_u64 v[16:17], v[4:5], 3, s[2:3]
	v_pk_mul_f32 v[4:5], v[12:13], v[14:15] op_sel_hi:[0,1]
	v_pk_mul_f32 v[6:7], v[10:11], v[14:15] op_sel_hi:[0,1]
	v_pk_fma_f32 v[4:5], v[2:3], v[8:9], v[4:5] op_sel_hi:[1,0,1]
	v_pk_fma_f32 v[6:7], v[2:3], v[0:1], v[6:7] op_sel_hi:[1,0,1]
	global_store_dwordx4 v[16:17], v[4:7], off
                                        ; implicit-def: $vgpr3
                                        ; implicit-def: $vgpr4
                                        ; implicit-def: $vgpr6
                                        ; implicit-def: $vgpr8
                                        ; implicit-def: $vgpr12
                                        ; implicit-def: $vgpr0
                                        ; implicit-def: $vgpr10
.LBB223_31:
	s_andn2_saveexec_b64 s[0:1], s[0:1]
	s_cbranch_execz .LBB223_33
; %bb.32:
	v_lshlrev_b32_e32 v6, 1, v6
	v_ashrrev_i32_e32 v7, 31, v6
	s_waitcnt lgkmcnt(0)
	v_lshl_add_u64 v[6:7], v[6:7], 3, s[2:3]
	global_load_dwordx4 v[14:17], v[6:7], off
	v_xor_b32_e32 v18, 0x80000000, v3
	v_mov_b32_e32 v19, v2
	v_pk_mul_f32 v[12:13], v[12:13], v[18:19] op_sel_hi:[0,1]
	v_pk_mul_f32 v[10:11], v[10:11], v[18:19] op_sel_hi:[0,1]
	v_pk_fma_f32 v[8:9], v[2:3], v[8:9], v[12:13] op_sel_hi:[1,0,1]
	v_pk_fma_f32 v[0:1], v[2:3], v[0:1], v[10:11] op_sel_hi:[1,0,1]
	v_xor_b32_e32 v20, 0x80000000, v5
	v_mov_b32_e32 v21, v4
	s_waitcnt vmcnt(0)
	v_pk_fma_f32 v[2:3], v[4:5], v[14:15], v[8:9] op_sel_hi:[1,0,1]
	v_pk_fma_f32 v[4:5], v[4:5], v[16:17], v[0:1] op_sel_hi:[1,0,1]
	v_mov_b32_e32 v8, v17
	v_pk_fma_f32 v[0:1], v[20:21], v[14:15], v[2:3] op_sel:[0,1,0]
	v_pk_fma_f32 v[2:3], v[20:21], v[8:9], v[4:5] op_sel_hi:[1,0,1]
	global_store_dwordx4 v[6:7], v[0:3], off
.LBB223_33:
	s_endpgm
	.section	.rodata,"a",@progbits
	.p2align	6, 0x0
	.amdhsa_kernel _ZN9rocsparseL19gebsrmvn_2xn_kernelILj128ELj16ELj8E21rocsparse_complex_numIfEEEvi20rocsparse_direction_NS_24const_host_device_scalarIT2_EEPKiS8_PKS5_SA_S6_PS5_21rocsparse_index_base_b
		.amdhsa_group_segment_fixed_size 0
		.amdhsa_private_segment_fixed_size 0
		.amdhsa_kernarg_size 72
		.amdhsa_user_sgpr_count 2
		.amdhsa_user_sgpr_dispatch_ptr 0
		.amdhsa_user_sgpr_queue_ptr 0
		.amdhsa_user_sgpr_kernarg_segment_ptr 1
		.amdhsa_user_sgpr_dispatch_id 0
		.amdhsa_user_sgpr_kernarg_preload_length 0
		.amdhsa_user_sgpr_kernarg_preload_offset 0
		.amdhsa_user_sgpr_private_segment_size 0
		.amdhsa_uses_dynamic_stack 0
		.amdhsa_enable_private_segment 0
		.amdhsa_system_sgpr_workgroup_id_x 1
		.amdhsa_system_sgpr_workgroup_id_y 0
		.amdhsa_system_sgpr_workgroup_id_z 0
		.amdhsa_system_sgpr_workgroup_info 0
		.amdhsa_system_vgpr_workitem_id 0
		.amdhsa_next_free_vgpr 56
		.amdhsa_next_free_sgpr 20
		.amdhsa_accum_offset 56
		.amdhsa_reserve_vcc 1
		.amdhsa_float_round_mode_32 0
		.amdhsa_float_round_mode_16_64 0
		.amdhsa_float_denorm_mode_32 3
		.amdhsa_float_denorm_mode_16_64 3
		.amdhsa_dx10_clamp 1
		.amdhsa_ieee_mode 1
		.amdhsa_fp16_overflow 0
		.amdhsa_tg_split 0
		.amdhsa_exception_fp_ieee_invalid_op 0
		.amdhsa_exception_fp_denorm_src 0
		.amdhsa_exception_fp_ieee_div_zero 0
		.amdhsa_exception_fp_ieee_overflow 0
		.amdhsa_exception_fp_ieee_underflow 0
		.amdhsa_exception_fp_ieee_inexact 0
		.amdhsa_exception_int_div_zero 0
	.end_amdhsa_kernel
	.section	.text._ZN9rocsparseL19gebsrmvn_2xn_kernelILj128ELj16ELj8E21rocsparse_complex_numIfEEEvi20rocsparse_direction_NS_24const_host_device_scalarIT2_EEPKiS8_PKS5_SA_S6_PS5_21rocsparse_index_base_b,"axG",@progbits,_ZN9rocsparseL19gebsrmvn_2xn_kernelILj128ELj16ELj8E21rocsparse_complex_numIfEEEvi20rocsparse_direction_NS_24const_host_device_scalarIT2_EEPKiS8_PKS5_SA_S6_PS5_21rocsparse_index_base_b,comdat
.Lfunc_end223:
	.size	_ZN9rocsparseL19gebsrmvn_2xn_kernelILj128ELj16ELj8E21rocsparse_complex_numIfEEEvi20rocsparse_direction_NS_24const_host_device_scalarIT2_EEPKiS8_PKS5_SA_S6_PS5_21rocsparse_index_base_b, .Lfunc_end223-_ZN9rocsparseL19gebsrmvn_2xn_kernelILj128ELj16ELj8E21rocsparse_complex_numIfEEEvi20rocsparse_direction_NS_24const_host_device_scalarIT2_EEPKiS8_PKS5_SA_S6_PS5_21rocsparse_index_base_b
                                        ; -- End function
	.section	.AMDGPU.csdata,"",@progbits
; Kernel info:
; codeLenInByte = 1708
; NumSgprs: 26
; NumVgprs: 56
; NumAgprs: 0
; TotalNumVgprs: 56
; ScratchSize: 0
; MemoryBound: 0
; FloatMode: 240
; IeeeMode: 1
; LDSByteSize: 0 bytes/workgroup (compile time only)
; SGPRBlocks: 3
; VGPRBlocks: 6
; NumSGPRsForWavesPerEU: 26
; NumVGPRsForWavesPerEU: 56
; AccumOffset: 56
; Occupancy: 8
; WaveLimiterHint : 1
; COMPUTE_PGM_RSRC2:SCRATCH_EN: 0
; COMPUTE_PGM_RSRC2:USER_SGPR: 2
; COMPUTE_PGM_RSRC2:TRAP_HANDLER: 0
; COMPUTE_PGM_RSRC2:TGID_X_EN: 1
; COMPUTE_PGM_RSRC2:TGID_Y_EN: 0
; COMPUTE_PGM_RSRC2:TGID_Z_EN: 0
; COMPUTE_PGM_RSRC2:TIDIG_COMP_CNT: 0
; COMPUTE_PGM_RSRC3_GFX90A:ACCUM_OFFSET: 13
; COMPUTE_PGM_RSRC3_GFX90A:TG_SPLIT: 0
	.section	.text._ZN9rocsparseL19gebsrmvn_2xn_kernelILj128ELj16ELj16E21rocsparse_complex_numIfEEEvi20rocsparse_direction_NS_24const_host_device_scalarIT2_EEPKiS8_PKS5_SA_S6_PS5_21rocsparse_index_base_b,"axG",@progbits,_ZN9rocsparseL19gebsrmvn_2xn_kernelILj128ELj16ELj16E21rocsparse_complex_numIfEEEvi20rocsparse_direction_NS_24const_host_device_scalarIT2_EEPKiS8_PKS5_SA_S6_PS5_21rocsparse_index_base_b,comdat
	.globl	_ZN9rocsparseL19gebsrmvn_2xn_kernelILj128ELj16ELj16E21rocsparse_complex_numIfEEEvi20rocsparse_direction_NS_24const_host_device_scalarIT2_EEPKiS8_PKS5_SA_S6_PS5_21rocsparse_index_base_b ; -- Begin function _ZN9rocsparseL19gebsrmvn_2xn_kernelILj128ELj16ELj16E21rocsparse_complex_numIfEEEvi20rocsparse_direction_NS_24const_host_device_scalarIT2_EEPKiS8_PKS5_SA_S6_PS5_21rocsparse_index_base_b
	.p2align	8
	.type	_ZN9rocsparseL19gebsrmvn_2xn_kernelILj128ELj16ELj16E21rocsparse_complex_numIfEEEvi20rocsparse_direction_NS_24const_host_device_scalarIT2_EEPKiS8_PKS5_SA_S6_PS5_21rocsparse_index_base_b,@function
_ZN9rocsparseL19gebsrmvn_2xn_kernelILj128ELj16ELj16E21rocsparse_complex_numIfEEEvi20rocsparse_direction_NS_24const_host_device_scalarIT2_EEPKiS8_PKS5_SA_S6_PS5_21rocsparse_index_base_b: ; @_ZN9rocsparseL19gebsrmvn_2xn_kernelILj128ELj16ELj16E21rocsparse_complex_numIfEEEvi20rocsparse_direction_NS_24const_host_device_scalarIT2_EEPKiS8_PKS5_SA_S6_PS5_21rocsparse_index_base_b
; %bb.0:
	s_load_dwordx2 s[12:13], s[0:1], 0x40
	s_load_dwordx2 s[8:9], s[0:1], 0x8
	;; [unrolled: 1-line block ×3, first 2 shown]
	s_waitcnt lgkmcnt(0)
	s_bitcmp1_b32 s13, 0
	s_cselect_b64 s[4:5], -1, 0
	s_xor_b64 s[10:11], s[4:5], -1
	s_and_b64 vcc, exec, s[4:5]
	v_mov_b32_e32 v2, s8
	s_cbranch_vccnz .LBB224_2
; %bb.1:
	v_mov_b64_e32 v[2:3], s[8:9]
	flat_load_dword v2, v[2:3]
.LBB224_2:
	v_cndmask_b32_e64 v1, 0, 1, s[10:11]
	v_cmp_ne_u32_e64 s[4:5], 1, v1
	s_andn2_b64 vcc, exec, s[10:11]
	v_mov_b32_e32 v3, s9
	s_cbranch_vccz .LBB224_18
; %bb.3:
	s_and_b64 vcc, exec, s[4:5]
	v_mov_b32_e32 v4, s6
	s_cbranch_vccz .LBB224_19
.LBB224_4:
	s_and_b64 vcc, exec, s[4:5]
	v_mov_b32_e32 v5, s7
	s_cbranch_vccnz .LBB224_6
.LBB224_5:
	v_mov_b64_e32 v[6:7], s[6:7]
	flat_load_dword v5, v[6:7] offset:4
.LBB224_6:
	s_waitcnt vmcnt(0) lgkmcnt(0)
	v_and_b32_e32 v1, 0x7fffffff, v2
	v_cmp_eq_u32_e32 vcc, 0, v1
	v_cmp_eq_f32_e64 s[4:5], 0, v3
	s_and_b64 s[8:9], vcc, s[4:5]
	s_mov_b64 s[4:5], -1
	s_and_saveexec_b64 s[6:7], s[8:9]
; %bb.7:
	v_and_b32_e32 v1, 0x7fffffff, v5
	v_cmp_neq_f32_e32 vcc, 1.0, v4
	v_cmp_ne_u32_e64 s[4:5], 0, v1
	s_or_b64 s[4:5], vcc, s[4:5]
	s_orn2_b64 s[4:5], s[4:5], exec
; %bb.8:
	s_or_b64 exec, exec, s[6:7]
	s_and_saveexec_b64 s[6:7], s[4:5]
	s_cbranch_execz .LBB224_33
; %bb.9:
	s_load_dwordx2 s[14:15], s[0:1], 0x0
	v_lshrrev_b32_e32 v1, 4, v0
	v_lshl_or_b32 v6, s2, 3, v1
	s_waitcnt lgkmcnt(0)
	v_cmp_gt_i32_e32 vcc, s14, v6
	s_and_b64 exec, exec, vcc
	s_cbranch_execz .LBB224_33
; %bb.10:
	s_load_dwordx8 s[4:11], s[0:1], 0x10
	v_ashrrev_i32_e32 v7, 31, v6
	s_cmp_lg_u32 s15, 0
	s_waitcnt lgkmcnt(0)
	v_lshl_add_u64 v[8:9], v[6:7], 2, s[4:5]
	global_load_dwordx2 v[8:9], v[8:9], off
	v_and_b32_e32 v7, 15, v0
	s_waitcnt vmcnt(0)
	v_subrev_u32_e32 v0, s12, v8
	v_subrev_u32_e32 v24, s12, v9
	v_add_u32_e32 v0, v0, v7
	v_cmp_lt_i32_e64 s[2:3], v0, v24
	s_cbranch_scc0 .LBB224_20
; %bb.11:
	s_mov_b32 s18, 0
	v_mov_b32_e32 v11, 0
	v_mov_b32_e32 v10, 0
	;; [unrolled: 1-line block ×4, first 2 shown]
	s_and_saveexec_b64 s[4:5], s[2:3]
	s_cbranch_execz .LBB224_17
; %bb.12:
	v_lshlrev_b32_e32 v12, 5, v0
	s_add_u32 s14, s8, 8
	s_mov_b32 s19, s18
	v_or_b32_e32 v1, 6, v12
	s_addc_u32 s15, s9, 0
	s_mov_b64 s[16:17], 0
	v_mov_b64_e32 v[8:9], s[18:19]
	v_mov_b32_e32 v15, 0
	v_mov_b32_e32 v16, v0
	v_mov_b64_e32 v[10:11], s[18:19]
.LBB224_13:                             ; =>This Loop Header: Depth=1
                                        ;     Child Loop BB224_14 Depth 2
	v_ashrrev_i32_e32 v17, 31, v16
	v_lshl_add_u64 v[18:19], v[16:17], 2, s[6:7]
	global_load_dword v14, v[18:19], off
	v_mov_b32_e32 v13, v15
	v_lshl_add_u64 v[20:21], v[12:13], 3, s[14:15]
	v_mov_b32_e32 v18, v1
	s_mov_b64 s[18:19], 0
	s_waitcnt vmcnt(0)
	v_subrev_u32_e32 v13, s12, v14
	v_lshlrev_b32_e32 v14, 4, v13
	v_lshl_add_u64 v[22:23], v[14:15], 3, s[10:11]
.LBB224_14:                             ;   Parent Loop BB224_13 Depth=1
                                        ; =>  This Inner Loop Header: Depth=2
	v_lshl_add_u64 v[38:39], v[22:23], 0, s[18:19]
	global_load_dwordx4 v[26:29], v[20:21], off offset:-8
	global_load_dwordx4 v[30:33], v[38:39], off
	global_load_dwordx4 v[34:37], v[38:39], off offset:16
	v_add_u32_e32 v14, -4, v18
	v_mov_b32_e32 v19, v15
	v_lshl_add_u64 v[50:51], v[14:15], 3, s[8:9]
	v_add_u32_e32 v14, -2, v18
	v_lshl_add_u64 v[52:53], v[18:19], 3, s[8:9]
	v_lshl_add_u64 v[54:55], v[14:15], 3, s[8:9]
	global_load_dwordx4 v[38:41], v[50:51], off
	global_load_dwordx4 v[42:45], v[54:55], off
	global_load_dwordx4 v[46:49], v[52:53], off
	s_add_u32 s18, s18, 32
	s_addc_u32 s19, s19, 0
	v_lshl_add_u64 v[20:21], v[20:21], 0, 64
	v_add_u32_e32 v18, 8, v18
	s_cmpk_eq_i32 s18, 0x80
	s_waitcnt vmcnt(5)
	v_xor_b32_e32 v50, 0x80000000, v29
	v_mov_b32_e32 v51, v28
	s_waitcnt vmcnt(4)
	v_pk_fma_f32 v[10:11], v[26:27], v[30:31], v[10:11] op_sel_hi:[1,0,1]
	v_pk_fma_f32 v[8:9], v[28:29], v[30:31], v[8:9] op_sel_hi:[1,0,1]
	v_pk_fma_f32 v[10:11], v[26:27], v[30:31], v[10:11] op_sel:[1,1,0] op_sel_hi:[0,1,1] neg_lo:[1,0,0]
	v_pk_fma_f32 v[8:9], v[50:51], v[30:31], v[8:9] op_sel:[0,1,0]
	v_mov_b32_e32 v14, v33
	s_waitcnt vmcnt(2)
	v_xor_b32_e32 v26, 0x80000000, v41
	v_mov_b32_e32 v27, v40
	v_pk_fma_f32 v[10:11], v[38:39], v[32:33], v[10:11] op_sel_hi:[1,0,1]
	v_pk_fma_f32 v[8:9], v[40:41], v[32:33], v[8:9] op_sel_hi:[1,0,1]
	v_pk_fma_f32 v[10:11], v[38:39], v[14:15], v[10:11] op_sel:[1,0,0] op_sel_hi:[0,0,1] neg_lo:[1,0,0]
	v_pk_fma_f32 v[8:9], v[26:27], v[14:15], v[8:9] op_sel_hi:[1,0,1]
	s_waitcnt vmcnt(1)
	v_xor_b32_e32 v32, 0x80000000, v45
	v_mov_b32_e32 v33, v44
	v_pk_fma_f32 v[10:11], v[42:43], v[34:35], v[10:11] op_sel_hi:[1,0,1]
	v_pk_fma_f32 v[8:9], v[44:45], v[34:35], v[8:9] op_sel_hi:[1,0,1]
	v_pk_fma_f32 v[10:11], v[42:43], v[34:35], v[10:11] op_sel:[1,1,0] op_sel_hi:[0,1,1] neg_lo:[1,0,0]
	v_pk_fma_f32 v[8:9], v[32:33], v[34:35], v[8:9] op_sel:[0,1,0]
	v_mov_b32_e32 v28, v37
	s_waitcnt vmcnt(0)
	v_xor_b32_e32 v30, 0x80000000, v49
	v_mov_b32_e32 v31, v48
	v_pk_fma_f32 v[10:11], v[46:47], v[36:37], v[10:11] op_sel_hi:[1,0,1]
	v_pk_fma_f32 v[8:9], v[48:49], v[36:37], v[8:9] op_sel_hi:[1,0,1]
	v_pk_fma_f32 v[10:11], v[46:47], v[28:29], v[10:11] op_sel:[1,0,0] op_sel_hi:[0,0,1] neg_lo:[1,0,0]
	v_pk_fma_f32 v[8:9], v[30:31], v[28:29], v[8:9] op_sel_hi:[1,0,1]
	s_cbranch_scc0 .LBB224_14
; %bb.15:                               ;   in Loop: Header=BB224_13 Depth=1
	v_add_u32_e32 v16, 16, v16
	v_cmp_ge_i32_e32 vcc, v16, v24
	v_add_u32_e32 v1, 0x200, v1
	s_or_b64 s[16:17], vcc, s[16:17]
	v_add_u32_e32 v12, 0x200, v12
	s_andn2_b64 exec, exec, s[16:17]
	s_cbranch_execnz .LBB224_13
; %bb.16:
	s_or_b64 exec, exec, s[16:17]
.LBB224_17:
	s_or_b64 exec, exec, s[4:5]
	s_cbranch_execz .LBB224_21
	s_branch .LBB224_28
.LBB224_18:
	v_mov_b64_e32 v[4:5], s[8:9]
	flat_load_dword v3, v[4:5] offset:4
	s_and_b64 vcc, exec, s[4:5]
	v_mov_b32_e32 v4, s6
	s_cbranch_vccnz .LBB224_4
.LBB224_19:
	v_mov_b64_e32 v[4:5], s[6:7]
	flat_load_dword v4, v[4:5]
	s_and_b64 vcc, exec, s[4:5]
	v_mov_b32_e32 v5, s7
	s_cbranch_vccz .LBB224_5
	s_branch .LBB224_6
.LBB224_20:
                                        ; implicit-def: $vgpr11
                                        ; implicit-def: $vgpr9
.LBB224_21:
	s_mov_b32 s14, 0
	v_mov_b32_e32 v11, 0
	v_mov_b32_e32 v10, 0
	;; [unrolled: 1-line block ×4, first 2 shown]
	s_and_saveexec_b64 s[4:5], s[2:3]
	s_cbranch_execz .LBB224_27
; %bb.22:
	s_mov_b32 s15, s14
	v_lshlrev_b32_e32 v12, 5, v0
	s_mov_b64 s[2:3], 0
	v_mov_b64_e32 v[8:9], s[14:15]
	v_mov_b32_e32 v13, 0
	v_mov_b64_e32 v[10:11], s[14:15]
.LBB224_23:                             ; =>This Loop Header: Depth=1
                                        ;     Child Loop BB224_24 Depth 2
	v_ashrrev_i32_e32 v1, 31, v0
	v_lshl_add_u64 v[14:15], v[0:1], 2, s[6:7]
	global_load_dword v1, v[14:15], off
	v_mov_b32_e32 v17, v13
	v_lshl_add_u64 v[14:15], v[12:13], 3, s[8:9]
	s_mov_b64 s[14:15], 0
	s_waitcnt vmcnt(0)
	v_subrev_u32_e32 v1, s12, v1
	v_lshlrev_b32_e32 v16, 4, v1
	v_lshl_add_u64 v[16:17], v[16:17], 3, s[10:11]
.LBB224_24:                             ;   Parent Loop BB224_23 Depth=1
                                        ; =>  This Inner Loop Header: Depth=2
	v_lshl_add_u64 v[46:47], v[16:17], 0, s[14:15]
	v_lshl_add_u64 v[22:23], v[14:15], 0, s[14:15]
	global_load_dwordx4 v[18:21], v[46:47], off
	global_load_dwordx4 v[26:29], v[22:23], off
	global_load_dwordx4 v[30:33], v[22:23], off offset:128
	global_load_dwordx4 v[34:37], v[22:23], off offset:16
	;; [unrolled: 1-line block ×4, first 2 shown]
	s_add_u32 s14, s14, 32
	s_addc_u32 s15, s15, 0
	s_cmpk_eq_i32 s14, 0x80
	s_waitcnt vmcnt(5)
	v_mov_b32_e32 v46, v21
	s_waitcnt vmcnt(4)
	v_pk_fma_f32 v[10:11], v[26:27], v[18:19], v[10:11] op_sel_hi:[1,0,1]
	s_waitcnt vmcnt(3)
	v_pk_fma_f32 v[8:9], v[30:31], v[18:19], v[8:9] op_sel_hi:[1,0,1]
	v_pk_fma_f32 v[10:11], v[26:27], v[18:19], v[10:11] op_sel:[1,1,0] op_sel_hi:[0,1,1] neg_lo:[1,0,0]
	v_pk_fma_f32 v[8:9], v[30:31], v[18:19], v[8:9] op_sel:[1,1,0] op_sel_hi:[0,1,1] neg_lo:[1,0,0]
	v_xor_b32_e32 v22, 0x80000000, v29
	v_mov_b32_e32 v23, v28
	v_xor_b32_e32 v48, 0x80000000, v33
	v_mov_b32_e32 v49, v32
	v_pk_fma_f32 v[10:11], v[28:29], v[20:21], v[10:11] op_sel_hi:[1,0,1]
	v_pk_fma_f32 v[8:9], v[32:33], v[20:21], v[8:9] op_sel_hi:[1,0,1]
	v_pk_fma_f32 v[10:11], v[22:23], v[46:47], v[10:11] op_sel_hi:[1,0,1]
	v_pk_fma_f32 v[8:9], v[48:49], v[46:47], v[8:9] op_sel_hi:[1,0,1]
	s_waitcnt vmcnt(1)
	v_pk_fma_f32 v[10:11], v[34:35], v[38:39], v[10:11] op_sel_hi:[1,0,1]
	s_waitcnt vmcnt(0)
	v_pk_fma_f32 v[8:9], v[42:43], v[38:39], v[8:9] op_sel_hi:[1,0,1]
	v_pk_fma_f32 v[10:11], v[34:35], v[38:39], v[10:11] op_sel:[1,1,0] op_sel_hi:[0,1,1] neg_lo:[1,0,0]
	v_pk_fma_f32 v[8:9], v[42:43], v[38:39], v[8:9] op_sel:[1,1,0] op_sel_hi:[0,1,1] neg_lo:[1,0,0]
	v_xor_b32_e32 v50, 0x80000000, v37
	v_mov_b32_e32 v51, v36
	v_mov_b32_e32 v52, v41
	v_xor_b32_e32 v54, 0x80000000, v45
	v_mov_b32_e32 v55, v44
	v_pk_fma_f32 v[10:11], v[36:37], v[40:41], v[10:11] op_sel_hi:[1,0,1]
	v_pk_fma_f32 v[8:9], v[44:45], v[40:41], v[8:9] op_sel_hi:[1,0,1]
	;; [unrolled: 1-line block ×4, first 2 shown]
	s_cbranch_scc0 .LBB224_24
; %bb.25:                               ;   in Loop: Header=BB224_23 Depth=1
	v_add_u32_e32 v0, 16, v0
	v_cmp_ge_i32_e32 vcc, v0, v24
	s_or_b64 s[2:3], vcc, s[2:3]
	v_add_u32_e32 v12, 0x200, v12
	s_andn2_b64 exec, exec, s[2:3]
	s_cbranch_execnz .LBB224_23
; %bb.26:
	s_or_b64 exec, exec, s[2:3]
.LBB224_27:
	s_or_b64 exec, exec, s[4:5]
.LBB224_28:
	v_mov_b32_dpp v12, v8 row_shr:1 row_mask:0xf bank_mask:0xf
	v_add_f32_e32 v8, v8, v12
	v_mov_b32_dpp v0, v10 row_shr:1 row_mask:0xf bank_mask:0xf
	v_add_f32_e32 v0, v10, v0
	v_mov_b32_dpp v12, v8 row_shr:2 row_mask:0xf bank_mask:0xf
	v_add_f32_e32 v8, v8, v12
	v_mov_b32_dpp v10, v11 row_shr:1 row_mask:0xf bank_mask:0xf
	v_add_f32_e32 v10, v11, v10
	v_mov_b32_dpp v12, v8 row_shr:4 row_mask:0xf bank_mask:0xe
	v_add_f32_e32 v13, v8, v12
	v_mov_b32_dpp v8, v9 row_shr:1 row_mask:0xf bank_mask:0xf
	v_add_f32_e32 v8, v9, v8
	v_mov_b32_dpp v1, v0 row_shr:2 row_mask:0xf bank_mask:0xf
	v_mov_b32_dpp v11, v10 row_shr:2 row_mask:0xf bank_mask:0xf
	;; [unrolled: 1-line block ×3, first 2 shown]
	v_add_f32_e32 v0, v0, v1
	v_add_f32_e32 v10, v10, v11
	;; [unrolled: 1-line block ×3, first 2 shown]
	v_mov_b32_dpp v1, v0 row_shr:4 row_mask:0xf bank_mask:0xe
	v_mov_b32_dpp v11, v10 row_shr:4 row_mask:0xf bank_mask:0xe
	;; [unrolled: 1-line block ×3, first 2 shown]
	v_add_f32_e32 v0, v0, v1
	v_add_f32_e32 v10, v10, v11
	;; [unrolled: 1-line block ×3, first 2 shown]
	v_mov_b32_dpp v1, v0 row_shr:8 row_mask:0xf bank_mask:0xc
	v_mov_b32_dpp v11, v10 row_shr:8 row_mask:0xf bank_mask:0xc
	;; [unrolled: 1-line block ×4, first 2 shown]
	v_cmp_eq_u32_e32 vcc, 15, v7
	s_and_b64 exec, exec, vcc
	s_cbranch_execz .LBB224_33
; %bb.29:
	s_load_dwordx2 s[2:3], s[0:1], 0x38
	v_add_f32_e32 v8, v0, v1
	v_and_b32_e32 v1, 0x7fffffff, v4
	v_cmp_eq_u32_e32 vcc, 0, v1
	v_cmp_eq_f32_e64 s[0:1], 0, v5
	v_add_f32_e32 v12, v10, v11
	v_add_f32_e32 v0, v13, v14
	;; [unrolled: 1-line block ×3, first 2 shown]
	s_and_b64 s[0:1], vcc, s[0:1]
	s_and_saveexec_b64 s[4:5], s[0:1]
	s_xor_b64 s[0:1], exec, s[4:5]
	s_cbranch_execz .LBB224_31
; %bb.30:
	v_lshlrev_b32_e32 v4, 1, v6
	v_xor_b32_e32 v14, 0x80000000, v3
	v_ashrrev_i32_e32 v5, 31, v4
	v_mov_b32_e32 v15, v2
	s_waitcnt lgkmcnt(0)
	v_lshl_add_u64 v[16:17], v[4:5], 3, s[2:3]
	v_pk_mul_f32 v[4:5], v[12:13], v[14:15] op_sel_hi:[0,1]
	v_pk_mul_f32 v[6:7], v[10:11], v[14:15] op_sel_hi:[0,1]
	v_pk_fma_f32 v[4:5], v[2:3], v[8:9], v[4:5] op_sel_hi:[1,0,1]
	v_pk_fma_f32 v[6:7], v[2:3], v[0:1], v[6:7] op_sel_hi:[1,0,1]
	global_store_dwordx4 v[16:17], v[4:7], off
                                        ; implicit-def: $vgpr3
                                        ; implicit-def: $vgpr4
                                        ; implicit-def: $vgpr6
                                        ; implicit-def: $vgpr8
                                        ; implicit-def: $vgpr12
                                        ; implicit-def: $vgpr0
                                        ; implicit-def: $vgpr10
.LBB224_31:
	s_andn2_saveexec_b64 s[0:1], s[0:1]
	s_cbranch_execz .LBB224_33
; %bb.32:
	v_lshlrev_b32_e32 v6, 1, v6
	v_ashrrev_i32_e32 v7, 31, v6
	s_waitcnt lgkmcnt(0)
	v_lshl_add_u64 v[6:7], v[6:7], 3, s[2:3]
	global_load_dwordx4 v[14:17], v[6:7], off
	v_xor_b32_e32 v18, 0x80000000, v3
	v_mov_b32_e32 v19, v2
	v_pk_mul_f32 v[12:13], v[12:13], v[18:19] op_sel_hi:[0,1]
	v_pk_mul_f32 v[10:11], v[10:11], v[18:19] op_sel_hi:[0,1]
	v_pk_fma_f32 v[8:9], v[2:3], v[8:9], v[12:13] op_sel_hi:[1,0,1]
	v_pk_fma_f32 v[0:1], v[2:3], v[0:1], v[10:11] op_sel_hi:[1,0,1]
	v_xor_b32_e32 v20, 0x80000000, v5
	v_mov_b32_e32 v21, v4
	s_waitcnt vmcnt(0)
	v_pk_fma_f32 v[2:3], v[4:5], v[14:15], v[8:9] op_sel_hi:[1,0,1]
	v_pk_fma_f32 v[4:5], v[4:5], v[16:17], v[0:1] op_sel_hi:[1,0,1]
	v_mov_b32_e32 v8, v17
	v_pk_fma_f32 v[0:1], v[20:21], v[14:15], v[2:3] op_sel:[0,1,0]
	v_pk_fma_f32 v[2:3], v[20:21], v[8:9], v[4:5] op_sel_hi:[1,0,1]
	global_store_dwordx4 v[6:7], v[0:3], off
.LBB224_33:
	s_endpgm
	.section	.rodata,"a",@progbits
	.p2align	6, 0x0
	.amdhsa_kernel _ZN9rocsparseL19gebsrmvn_2xn_kernelILj128ELj16ELj16E21rocsparse_complex_numIfEEEvi20rocsparse_direction_NS_24const_host_device_scalarIT2_EEPKiS8_PKS5_SA_S6_PS5_21rocsparse_index_base_b
		.amdhsa_group_segment_fixed_size 0
		.amdhsa_private_segment_fixed_size 0
		.amdhsa_kernarg_size 72
		.amdhsa_user_sgpr_count 2
		.amdhsa_user_sgpr_dispatch_ptr 0
		.amdhsa_user_sgpr_queue_ptr 0
		.amdhsa_user_sgpr_kernarg_segment_ptr 1
		.amdhsa_user_sgpr_dispatch_id 0
		.amdhsa_user_sgpr_kernarg_preload_length 0
		.amdhsa_user_sgpr_kernarg_preload_offset 0
		.amdhsa_user_sgpr_private_segment_size 0
		.amdhsa_uses_dynamic_stack 0
		.amdhsa_enable_private_segment 0
		.amdhsa_system_sgpr_workgroup_id_x 1
		.amdhsa_system_sgpr_workgroup_id_y 0
		.amdhsa_system_sgpr_workgroup_id_z 0
		.amdhsa_system_sgpr_workgroup_info 0
		.amdhsa_system_vgpr_workitem_id 0
		.amdhsa_next_free_vgpr 56
		.amdhsa_next_free_sgpr 20
		.amdhsa_accum_offset 56
		.amdhsa_reserve_vcc 1
		.amdhsa_float_round_mode_32 0
		.amdhsa_float_round_mode_16_64 0
		.amdhsa_float_denorm_mode_32 3
		.amdhsa_float_denorm_mode_16_64 3
		.amdhsa_dx10_clamp 1
		.amdhsa_ieee_mode 1
		.amdhsa_fp16_overflow 0
		.amdhsa_tg_split 0
		.amdhsa_exception_fp_ieee_invalid_op 0
		.amdhsa_exception_fp_denorm_src 0
		.amdhsa_exception_fp_ieee_div_zero 0
		.amdhsa_exception_fp_ieee_overflow 0
		.amdhsa_exception_fp_ieee_underflow 0
		.amdhsa_exception_fp_ieee_inexact 0
		.amdhsa_exception_int_div_zero 0
	.end_amdhsa_kernel
	.section	.text._ZN9rocsparseL19gebsrmvn_2xn_kernelILj128ELj16ELj16E21rocsparse_complex_numIfEEEvi20rocsparse_direction_NS_24const_host_device_scalarIT2_EEPKiS8_PKS5_SA_S6_PS5_21rocsparse_index_base_b,"axG",@progbits,_ZN9rocsparseL19gebsrmvn_2xn_kernelILj128ELj16ELj16E21rocsparse_complex_numIfEEEvi20rocsparse_direction_NS_24const_host_device_scalarIT2_EEPKiS8_PKS5_SA_S6_PS5_21rocsparse_index_base_b,comdat
.Lfunc_end224:
	.size	_ZN9rocsparseL19gebsrmvn_2xn_kernelILj128ELj16ELj16E21rocsparse_complex_numIfEEEvi20rocsparse_direction_NS_24const_host_device_scalarIT2_EEPKiS8_PKS5_SA_S6_PS5_21rocsparse_index_base_b, .Lfunc_end224-_ZN9rocsparseL19gebsrmvn_2xn_kernelILj128ELj16ELj16E21rocsparse_complex_numIfEEEvi20rocsparse_direction_NS_24const_host_device_scalarIT2_EEPKiS8_PKS5_SA_S6_PS5_21rocsparse_index_base_b
                                        ; -- End function
	.section	.AMDGPU.csdata,"",@progbits
; Kernel info:
; codeLenInByte = 1756
; NumSgprs: 26
; NumVgprs: 56
; NumAgprs: 0
; TotalNumVgprs: 56
; ScratchSize: 0
; MemoryBound: 0
; FloatMode: 240
; IeeeMode: 1
; LDSByteSize: 0 bytes/workgroup (compile time only)
; SGPRBlocks: 3
; VGPRBlocks: 6
; NumSGPRsForWavesPerEU: 26
; NumVGPRsForWavesPerEU: 56
; AccumOffset: 56
; Occupancy: 8
; WaveLimiterHint : 1
; COMPUTE_PGM_RSRC2:SCRATCH_EN: 0
; COMPUTE_PGM_RSRC2:USER_SGPR: 2
; COMPUTE_PGM_RSRC2:TRAP_HANDLER: 0
; COMPUTE_PGM_RSRC2:TGID_X_EN: 1
; COMPUTE_PGM_RSRC2:TGID_Y_EN: 0
; COMPUTE_PGM_RSRC2:TGID_Z_EN: 0
; COMPUTE_PGM_RSRC2:TIDIG_COMP_CNT: 0
; COMPUTE_PGM_RSRC3_GFX90A:ACCUM_OFFSET: 13
; COMPUTE_PGM_RSRC3_GFX90A:TG_SPLIT: 0
	.section	.text._ZN9rocsparseL19gebsrmvn_2xn_kernelILj128ELj16ELj32E21rocsparse_complex_numIfEEEvi20rocsparse_direction_NS_24const_host_device_scalarIT2_EEPKiS8_PKS5_SA_S6_PS5_21rocsparse_index_base_b,"axG",@progbits,_ZN9rocsparseL19gebsrmvn_2xn_kernelILj128ELj16ELj32E21rocsparse_complex_numIfEEEvi20rocsparse_direction_NS_24const_host_device_scalarIT2_EEPKiS8_PKS5_SA_S6_PS5_21rocsparse_index_base_b,comdat
	.globl	_ZN9rocsparseL19gebsrmvn_2xn_kernelILj128ELj16ELj32E21rocsparse_complex_numIfEEEvi20rocsparse_direction_NS_24const_host_device_scalarIT2_EEPKiS8_PKS5_SA_S6_PS5_21rocsparse_index_base_b ; -- Begin function _ZN9rocsparseL19gebsrmvn_2xn_kernelILj128ELj16ELj32E21rocsparse_complex_numIfEEEvi20rocsparse_direction_NS_24const_host_device_scalarIT2_EEPKiS8_PKS5_SA_S6_PS5_21rocsparse_index_base_b
	.p2align	8
	.type	_ZN9rocsparseL19gebsrmvn_2xn_kernelILj128ELj16ELj32E21rocsparse_complex_numIfEEEvi20rocsparse_direction_NS_24const_host_device_scalarIT2_EEPKiS8_PKS5_SA_S6_PS5_21rocsparse_index_base_b,@function
_ZN9rocsparseL19gebsrmvn_2xn_kernelILj128ELj16ELj32E21rocsparse_complex_numIfEEEvi20rocsparse_direction_NS_24const_host_device_scalarIT2_EEPKiS8_PKS5_SA_S6_PS5_21rocsparse_index_base_b: ; @_ZN9rocsparseL19gebsrmvn_2xn_kernelILj128ELj16ELj32E21rocsparse_complex_numIfEEEvi20rocsparse_direction_NS_24const_host_device_scalarIT2_EEPKiS8_PKS5_SA_S6_PS5_21rocsparse_index_base_b
; %bb.0:
	s_load_dwordx2 s[12:13], s[0:1], 0x40
	s_load_dwordx2 s[8:9], s[0:1], 0x8
	;; [unrolled: 1-line block ×3, first 2 shown]
	s_waitcnt lgkmcnt(0)
	s_bitcmp1_b32 s13, 0
	s_cselect_b64 s[4:5], -1, 0
	s_xor_b64 s[10:11], s[4:5], -1
	s_and_b64 vcc, exec, s[4:5]
	v_mov_b32_e32 v2, s8
	s_cbranch_vccnz .LBB225_2
; %bb.1:
	v_mov_b64_e32 v[2:3], s[8:9]
	flat_load_dword v2, v[2:3]
.LBB225_2:
	v_cndmask_b32_e64 v1, 0, 1, s[10:11]
	v_cmp_ne_u32_e64 s[4:5], 1, v1
	s_andn2_b64 vcc, exec, s[10:11]
	v_mov_b32_e32 v3, s9
	s_cbranch_vccz .LBB225_18
; %bb.3:
	s_and_b64 vcc, exec, s[4:5]
	v_mov_b32_e32 v4, s6
	s_cbranch_vccz .LBB225_19
.LBB225_4:
	s_and_b64 vcc, exec, s[4:5]
	v_mov_b32_e32 v5, s7
	s_cbranch_vccnz .LBB225_6
.LBB225_5:
	v_mov_b64_e32 v[6:7], s[6:7]
	flat_load_dword v5, v[6:7] offset:4
.LBB225_6:
	s_waitcnt vmcnt(0) lgkmcnt(0)
	v_and_b32_e32 v1, 0x7fffffff, v2
	v_cmp_eq_u32_e32 vcc, 0, v1
	v_cmp_eq_f32_e64 s[4:5], 0, v3
	s_and_b64 s[8:9], vcc, s[4:5]
	s_mov_b64 s[4:5], -1
	s_and_saveexec_b64 s[6:7], s[8:9]
; %bb.7:
	v_and_b32_e32 v1, 0x7fffffff, v5
	v_cmp_neq_f32_e32 vcc, 1.0, v4
	v_cmp_ne_u32_e64 s[4:5], 0, v1
	s_or_b64 s[4:5], vcc, s[4:5]
	s_orn2_b64 s[4:5], s[4:5], exec
; %bb.8:
	s_or_b64 exec, exec, s[6:7]
	s_and_saveexec_b64 s[6:7], s[4:5]
	s_cbranch_execz .LBB225_33
; %bb.9:
	s_load_dwordx2 s[14:15], s[0:1], 0x0
	v_lshrrev_b32_e32 v1, 5, v0
	v_lshl_or_b32 v6, s2, 2, v1
	s_waitcnt lgkmcnt(0)
	v_cmp_gt_i32_e32 vcc, s14, v6
	s_and_b64 exec, exec, vcc
	s_cbranch_execz .LBB225_33
; %bb.10:
	s_load_dwordx8 s[4:11], s[0:1], 0x10
	v_ashrrev_i32_e32 v7, 31, v6
	s_cmp_lg_u32 s15, 0
	s_waitcnt lgkmcnt(0)
	v_lshl_add_u64 v[8:9], v[6:7], 2, s[4:5]
	global_load_dwordx2 v[8:9], v[8:9], off
	v_and_b32_e32 v7, 31, v0
	s_waitcnt vmcnt(0)
	v_subrev_u32_e32 v0, s12, v8
	v_subrev_u32_e32 v24, s12, v9
	v_add_u32_e32 v0, v0, v7
	v_cmp_lt_i32_e64 s[2:3], v0, v24
	s_cbranch_scc0 .LBB225_20
; %bb.11:
	s_mov_b32 s18, 0
	v_mov_b32_e32 v11, 0
	v_mov_b32_e32 v10, 0
	v_mov_b32_e32 v9, 0
	v_mov_b32_e32 v8, 0
	s_and_saveexec_b64 s[4:5], s[2:3]
	s_cbranch_execz .LBB225_17
; %bb.12:
	v_lshlrev_b32_e32 v12, 5, v0
	s_add_u32 s14, s8, 8
	s_mov_b32 s19, s18
	v_or_b32_e32 v1, 6, v12
	s_addc_u32 s15, s9, 0
	s_mov_b64 s[16:17], 0
	v_mov_b64_e32 v[8:9], s[18:19]
	v_mov_b32_e32 v15, 0
	v_mov_b32_e32 v16, v0
	v_mov_b64_e32 v[10:11], s[18:19]
.LBB225_13:                             ; =>This Loop Header: Depth=1
                                        ;     Child Loop BB225_14 Depth 2
	v_ashrrev_i32_e32 v17, 31, v16
	v_lshl_add_u64 v[18:19], v[16:17], 2, s[6:7]
	global_load_dword v14, v[18:19], off
	v_mov_b32_e32 v13, v15
	v_lshl_add_u64 v[20:21], v[12:13], 3, s[14:15]
	v_mov_b32_e32 v18, v1
	s_mov_b64 s[18:19], 0
	s_waitcnt vmcnt(0)
	v_subrev_u32_e32 v13, s12, v14
	v_lshlrev_b32_e32 v14, 4, v13
	v_lshl_add_u64 v[22:23], v[14:15], 3, s[10:11]
.LBB225_14:                             ;   Parent Loop BB225_13 Depth=1
                                        ; =>  This Inner Loop Header: Depth=2
	v_lshl_add_u64 v[38:39], v[22:23], 0, s[18:19]
	global_load_dwordx4 v[26:29], v[20:21], off offset:-8
	global_load_dwordx4 v[30:33], v[38:39], off
	global_load_dwordx4 v[34:37], v[38:39], off offset:16
	v_add_u32_e32 v14, -4, v18
	v_mov_b32_e32 v19, v15
	v_lshl_add_u64 v[50:51], v[14:15], 3, s[8:9]
	v_add_u32_e32 v14, -2, v18
	v_lshl_add_u64 v[52:53], v[18:19], 3, s[8:9]
	v_lshl_add_u64 v[54:55], v[14:15], 3, s[8:9]
	global_load_dwordx4 v[38:41], v[50:51], off
	global_load_dwordx4 v[42:45], v[54:55], off
	;; [unrolled: 1-line block ×3, first 2 shown]
	s_add_u32 s18, s18, 32
	s_addc_u32 s19, s19, 0
	v_lshl_add_u64 v[20:21], v[20:21], 0, 64
	v_add_u32_e32 v18, 8, v18
	s_cmpk_eq_i32 s18, 0x80
	s_waitcnt vmcnt(5)
	v_xor_b32_e32 v50, 0x80000000, v29
	v_mov_b32_e32 v51, v28
	s_waitcnt vmcnt(4)
	v_pk_fma_f32 v[10:11], v[26:27], v[30:31], v[10:11] op_sel_hi:[1,0,1]
	v_pk_fma_f32 v[8:9], v[28:29], v[30:31], v[8:9] op_sel_hi:[1,0,1]
	v_pk_fma_f32 v[10:11], v[26:27], v[30:31], v[10:11] op_sel:[1,1,0] op_sel_hi:[0,1,1] neg_lo:[1,0,0]
	v_pk_fma_f32 v[8:9], v[50:51], v[30:31], v[8:9] op_sel:[0,1,0]
	v_mov_b32_e32 v14, v33
	s_waitcnt vmcnt(2)
	v_xor_b32_e32 v26, 0x80000000, v41
	v_mov_b32_e32 v27, v40
	v_pk_fma_f32 v[10:11], v[38:39], v[32:33], v[10:11] op_sel_hi:[1,0,1]
	v_pk_fma_f32 v[8:9], v[40:41], v[32:33], v[8:9] op_sel_hi:[1,0,1]
	v_pk_fma_f32 v[10:11], v[38:39], v[14:15], v[10:11] op_sel:[1,0,0] op_sel_hi:[0,0,1] neg_lo:[1,0,0]
	v_pk_fma_f32 v[8:9], v[26:27], v[14:15], v[8:9] op_sel_hi:[1,0,1]
	s_waitcnt vmcnt(1)
	v_xor_b32_e32 v32, 0x80000000, v45
	v_mov_b32_e32 v33, v44
	v_pk_fma_f32 v[10:11], v[42:43], v[34:35], v[10:11] op_sel_hi:[1,0,1]
	v_pk_fma_f32 v[8:9], v[44:45], v[34:35], v[8:9] op_sel_hi:[1,0,1]
	v_pk_fma_f32 v[10:11], v[42:43], v[34:35], v[10:11] op_sel:[1,1,0] op_sel_hi:[0,1,1] neg_lo:[1,0,0]
	v_pk_fma_f32 v[8:9], v[32:33], v[34:35], v[8:9] op_sel:[0,1,0]
	v_mov_b32_e32 v28, v37
	s_waitcnt vmcnt(0)
	v_xor_b32_e32 v30, 0x80000000, v49
	v_mov_b32_e32 v31, v48
	v_pk_fma_f32 v[10:11], v[46:47], v[36:37], v[10:11] op_sel_hi:[1,0,1]
	v_pk_fma_f32 v[8:9], v[48:49], v[36:37], v[8:9] op_sel_hi:[1,0,1]
	v_pk_fma_f32 v[10:11], v[46:47], v[28:29], v[10:11] op_sel:[1,0,0] op_sel_hi:[0,0,1] neg_lo:[1,0,0]
	v_pk_fma_f32 v[8:9], v[30:31], v[28:29], v[8:9] op_sel_hi:[1,0,1]
	s_cbranch_scc0 .LBB225_14
; %bb.15:                               ;   in Loop: Header=BB225_13 Depth=1
	v_add_u32_e32 v16, 32, v16
	v_cmp_ge_i32_e32 vcc, v16, v24
	v_add_u32_e32 v1, 0x400, v1
	s_or_b64 s[16:17], vcc, s[16:17]
	v_add_u32_e32 v12, 0x400, v12
	s_andn2_b64 exec, exec, s[16:17]
	s_cbranch_execnz .LBB225_13
; %bb.16:
	s_or_b64 exec, exec, s[16:17]
.LBB225_17:
	s_or_b64 exec, exec, s[4:5]
	s_cbranch_execz .LBB225_21
	s_branch .LBB225_28
.LBB225_18:
	v_mov_b64_e32 v[4:5], s[8:9]
	flat_load_dword v3, v[4:5] offset:4
	s_and_b64 vcc, exec, s[4:5]
	v_mov_b32_e32 v4, s6
	s_cbranch_vccnz .LBB225_4
.LBB225_19:
	v_mov_b64_e32 v[4:5], s[6:7]
	flat_load_dword v4, v[4:5]
	s_and_b64 vcc, exec, s[4:5]
	v_mov_b32_e32 v5, s7
	s_cbranch_vccz .LBB225_5
	s_branch .LBB225_6
.LBB225_20:
                                        ; implicit-def: $vgpr11
                                        ; implicit-def: $vgpr9
.LBB225_21:
	s_mov_b32 s14, 0
	v_mov_b32_e32 v11, 0
	v_mov_b32_e32 v10, 0
	;; [unrolled: 1-line block ×4, first 2 shown]
	s_and_saveexec_b64 s[4:5], s[2:3]
	s_cbranch_execz .LBB225_27
; %bb.22:
	s_mov_b32 s15, s14
	v_lshlrev_b32_e32 v12, 5, v0
	s_mov_b64 s[2:3], 0
	v_mov_b64_e32 v[8:9], s[14:15]
	v_mov_b32_e32 v13, 0
	v_mov_b64_e32 v[10:11], s[14:15]
.LBB225_23:                             ; =>This Loop Header: Depth=1
                                        ;     Child Loop BB225_24 Depth 2
	v_ashrrev_i32_e32 v1, 31, v0
	v_lshl_add_u64 v[14:15], v[0:1], 2, s[6:7]
	global_load_dword v1, v[14:15], off
	v_mov_b32_e32 v17, v13
	v_lshl_add_u64 v[14:15], v[12:13], 3, s[8:9]
	s_mov_b64 s[14:15], 0
	s_waitcnt vmcnt(0)
	v_subrev_u32_e32 v1, s12, v1
	v_lshlrev_b32_e32 v16, 4, v1
	v_lshl_add_u64 v[16:17], v[16:17], 3, s[10:11]
.LBB225_24:                             ;   Parent Loop BB225_23 Depth=1
                                        ; =>  This Inner Loop Header: Depth=2
	v_lshl_add_u64 v[46:47], v[16:17], 0, s[14:15]
	v_lshl_add_u64 v[22:23], v[14:15], 0, s[14:15]
	global_load_dwordx4 v[18:21], v[46:47], off
	global_load_dwordx4 v[26:29], v[22:23], off
	global_load_dwordx4 v[30:33], v[22:23], off offset:128
	global_load_dwordx4 v[34:37], v[22:23], off offset:16
	;; [unrolled: 1-line block ×4, first 2 shown]
	s_add_u32 s14, s14, 32
	s_addc_u32 s15, s15, 0
	s_cmpk_eq_i32 s14, 0x80
	s_waitcnt vmcnt(5)
	v_mov_b32_e32 v46, v21
	s_waitcnt vmcnt(4)
	v_pk_fma_f32 v[10:11], v[26:27], v[18:19], v[10:11] op_sel_hi:[1,0,1]
	s_waitcnt vmcnt(3)
	v_pk_fma_f32 v[8:9], v[30:31], v[18:19], v[8:9] op_sel_hi:[1,0,1]
	v_pk_fma_f32 v[10:11], v[26:27], v[18:19], v[10:11] op_sel:[1,1,0] op_sel_hi:[0,1,1] neg_lo:[1,0,0]
	v_pk_fma_f32 v[8:9], v[30:31], v[18:19], v[8:9] op_sel:[1,1,0] op_sel_hi:[0,1,1] neg_lo:[1,0,0]
	v_xor_b32_e32 v22, 0x80000000, v29
	v_mov_b32_e32 v23, v28
	v_xor_b32_e32 v48, 0x80000000, v33
	v_mov_b32_e32 v49, v32
	v_pk_fma_f32 v[10:11], v[28:29], v[20:21], v[10:11] op_sel_hi:[1,0,1]
	v_pk_fma_f32 v[8:9], v[32:33], v[20:21], v[8:9] op_sel_hi:[1,0,1]
	;; [unrolled: 1-line block ×4, first 2 shown]
	s_waitcnt vmcnt(1)
	v_pk_fma_f32 v[10:11], v[34:35], v[38:39], v[10:11] op_sel_hi:[1,0,1]
	s_waitcnt vmcnt(0)
	v_pk_fma_f32 v[8:9], v[42:43], v[38:39], v[8:9] op_sel_hi:[1,0,1]
	v_pk_fma_f32 v[10:11], v[34:35], v[38:39], v[10:11] op_sel:[1,1,0] op_sel_hi:[0,1,1] neg_lo:[1,0,0]
	v_pk_fma_f32 v[8:9], v[42:43], v[38:39], v[8:9] op_sel:[1,1,0] op_sel_hi:[0,1,1] neg_lo:[1,0,0]
	v_xor_b32_e32 v50, 0x80000000, v37
	v_mov_b32_e32 v51, v36
	v_mov_b32_e32 v52, v41
	v_xor_b32_e32 v54, 0x80000000, v45
	v_mov_b32_e32 v55, v44
	v_pk_fma_f32 v[10:11], v[36:37], v[40:41], v[10:11] op_sel_hi:[1,0,1]
	v_pk_fma_f32 v[8:9], v[44:45], v[40:41], v[8:9] op_sel_hi:[1,0,1]
	;; [unrolled: 1-line block ×4, first 2 shown]
	s_cbranch_scc0 .LBB225_24
; %bb.25:                               ;   in Loop: Header=BB225_23 Depth=1
	v_add_u32_e32 v0, 32, v0
	v_cmp_ge_i32_e32 vcc, v0, v24
	s_or_b64 s[2:3], vcc, s[2:3]
	v_add_u32_e32 v12, 0x400, v12
	s_andn2_b64 exec, exec, s[2:3]
	s_cbranch_execnz .LBB225_23
; %bb.26:
	s_or_b64 exec, exec, s[2:3]
.LBB225_27:
	s_or_b64 exec, exec, s[4:5]
.LBB225_28:
	v_mov_b32_dpp v12, v8 row_shr:1 row_mask:0xf bank_mask:0xf
	v_add_f32_e32 v8, v8, v12
	v_mov_b32_dpp v0, v10 row_shr:1 row_mask:0xf bank_mask:0xf
	v_add_f32_e32 v0, v10, v0
	;; [unrolled: 2-line block ×5, first 2 shown]
	v_mov_b32_dpp v1, v0 row_shr:2 row_mask:0xf bank_mask:0xf
	v_mov_b32_dpp v11, v10 row_shr:2 row_mask:0xf bank_mask:0xf
	;; [unrolled: 1-line block ×3, first 2 shown]
	v_add_f32_e32 v13, v8, v12
	v_mov_b32_dpp v8, v9 row_shr:1 row_mask:0xf bank_mask:0xf
	v_add_f32_e32 v8, v9, v8
	v_add_f32_e32 v0, v0, v1
	;; [unrolled: 1-line block ×3, first 2 shown]
	v_mov_b32_dpp v9, v8 row_shr:2 row_mask:0xf bank_mask:0xf
	v_add_f32_e32 v8, v8, v9
	v_mov_b32_dpp v1, v0 row_shr:4 row_mask:0xf bank_mask:0xe
	v_mov_b32_dpp v11, v10 row_shr:4 row_mask:0xf bank_mask:0xe
	;; [unrolled: 1-line block ×3, first 2 shown]
	v_add_f32_e32 v0, v0, v1
	v_add_f32_e32 v10, v10, v11
	;; [unrolled: 1-line block ×3, first 2 shown]
	v_mov_b32_dpp v1, v0 row_shr:8 row_mask:0xf bank_mask:0xc
	v_mov_b32_dpp v11, v10 row_shr:8 row_mask:0xf bank_mask:0xc
	;; [unrolled: 1-line block ×3, first 2 shown]
	v_add_f32_e32 v0, v0, v1
	v_add_f32_e32 v10, v10, v11
	;; [unrolled: 1-line block ×3, first 2 shown]
	v_mov_b32_dpp v1, v0 row_bcast:15 row_mask:0xa bank_mask:0xf
	v_mov_b32_dpp v11, v10 row_bcast:15 row_mask:0xa bank_mask:0xf
	;; [unrolled: 1-line block ×4, first 2 shown]
	v_cmp_eq_u32_e32 vcc, 31, v7
	s_and_b64 exec, exec, vcc
	s_cbranch_execz .LBB225_33
; %bb.29:
	s_load_dwordx2 s[2:3], s[0:1], 0x38
	v_add_f32_e32 v8, v0, v1
	v_and_b32_e32 v1, 0x7fffffff, v4
	v_cmp_eq_u32_e32 vcc, 0, v1
	v_cmp_eq_f32_e64 s[0:1], 0, v5
	v_add_f32_e32 v12, v10, v11
	v_add_f32_e32 v0, v13, v14
	;; [unrolled: 1-line block ×3, first 2 shown]
	s_and_b64 s[0:1], vcc, s[0:1]
	s_and_saveexec_b64 s[4:5], s[0:1]
	s_xor_b64 s[0:1], exec, s[4:5]
	s_cbranch_execz .LBB225_31
; %bb.30:
	v_lshlrev_b32_e32 v4, 1, v6
	v_xor_b32_e32 v14, 0x80000000, v3
	v_ashrrev_i32_e32 v5, 31, v4
	v_mov_b32_e32 v15, v2
	s_waitcnt lgkmcnt(0)
	v_lshl_add_u64 v[16:17], v[4:5], 3, s[2:3]
	v_pk_mul_f32 v[4:5], v[12:13], v[14:15] op_sel_hi:[0,1]
	v_pk_mul_f32 v[6:7], v[10:11], v[14:15] op_sel_hi:[0,1]
	v_pk_fma_f32 v[4:5], v[2:3], v[8:9], v[4:5] op_sel_hi:[1,0,1]
	v_pk_fma_f32 v[6:7], v[2:3], v[0:1], v[6:7] op_sel_hi:[1,0,1]
	global_store_dwordx4 v[16:17], v[4:7], off
                                        ; implicit-def: $vgpr3
                                        ; implicit-def: $vgpr4
                                        ; implicit-def: $vgpr6
                                        ; implicit-def: $vgpr8
                                        ; implicit-def: $vgpr12
                                        ; implicit-def: $vgpr0
                                        ; implicit-def: $vgpr10
.LBB225_31:
	s_andn2_saveexec_b64 s[0:1], s[0:1]
	s_cbranch_execz .LBB225_33
; %bb.32:
	v_lshlrev_b32_e32 v6, 1, v6
	v_ashrrev_i32_e32 v7, 31, v6
	s_waitcnt lgkmcnt(0)
	v_lshl_add_u64 v[6:7], v[6:7], 3, s[2:3]
	global_load_dwordx4 v[14:17], v[6:7], off
	v_xor_b32_e32 v18, 0x80000000, v3
	v_mov_b32_e32 v19, v2
	v_pk_mul_f32 v[12:13], v[12:13], v[18:19] op_sel_hi:[0,1]
	v_pk_mul_f32 v[10:11], v[10:11], v[18:19] op_sel_hi:[0,1]
	v_pk_fma_f32 v[8:9], v[2:3], v[8:9], v[12:13] op_sel_hi:[1,0,1]
	v_pk_fma_f32 v[0:1], v[2:3], v[0:1], v[10:11] op_sel_hi:[1,0,1]
	v_xor_b32_e32 v20, 0x80000000, v5
	v_mov_b32_e32 v21, v4
	s_waitcnt vmcnt(0)
	v_pk_fma_f32 v[2:3], v[4:5], v[14:15], v[8:9] op_sel_hi:[1,0,1]
	v_pk_fma_f32 v[4:5], v[4:5], v[16:17], v[0:1] op_sel_hi:[1,0,1]
	v_mov_b32_e32 v8, v17
	v_pk_fma_f32 v[0:1], v[20:21], v[14:15], v[2:3] op_sel:[0,1,0]
	v_pk_fma_f32 v[2:3], v[20:21], v[8:9], v[4:5] op_sel_hi:[1,0,1]
	global_store_dwordx4 v[6:7], v[0:3], off
.LBB225_33:
	s_endpgm
	.section	.rodata,"a",@progbits
	.p2align	6, 0x0
	.amdhsa_kernel _ZN9rocsparseL19gebsrmvn_2xn_kernelILj128ELj16ELj32E21rocsparse_complex_numIfEEEvi20rocsparse_direction_NS_24const_host_device_scalarIT2_EEPKiS8_PKS5_SA_S6_PS5_21rocsparse_index_base_b
		.amdhsa_group_segment_fixed_size 0
		.amdhsa_private_segment_fixed_size 0
		.amdhsa_kernarg_size 72
		.amdhsa_user_sgpr_count 2
		.amdhsa_user_sgpr_dispatch_ptr 0
		.amdhsa_user_sgpr_queue_ptr 0
		.amdhsa_user_sgpr_kernarg_segment_ptr 1
		.amdhsa_user_sgpr_dispatch_id 0
		.amdhsa_user_sgpr_kernarg_preload_length 0
		.amdhsa_user_sgpr_kernarg_preload_offset 0
		.amdhsa_user_sgpr_private_segment_size 0
		.amdhsa_uses_dynamic_stack 0
		.amdhsa_enable_private_segment 0
		.amdhsa_system_sgpr_workgroup_id_x 1
		.amdhsa_system_sgpr_workgroup_id_y 0
		.amdhsa_system_sgpr_workgroup_id_z 0
		.amdhsa_system_sgpr_workgroup_info 0
		.amdhsa_system_vgpr_workitem_id 0
		.amdhsa_next_free_vgpr 56
		.amdhsa_next_free_sgpr 20
		.amdhsa_accum_offset 56
		.amdhsa_reserve_vcc 1
		.amdhsa_float_round_mode_32 0
		.amdhsa_float_round_mode_16_64 0
		.amdhsa_float_denorm_mode_32 3
		.amdhsa_float_denorm_mode_16_64 3
		.amdhsa_dx10_clamp 1
		.amdhsa_ieee_mode 1
		.amdhsa_fp16_overflow 0
		.amdhsa_tg_split 0
		.amdhsa_exception_fp_ieee_invalid_op 0
		.amdhsa_exception_fp_denorm_src 0
		.amdhsa_exception_fp_ieee_div_zero 0
		.amdhsa_exception_fp_ieee_overflow 0
		.amdhsa_exception_fp_ieee_underflow 0
		.amdhsa_exception_fp_ieee_inexact 0
		.amdhsa_exception_int_div_zero 0
	.end_amdhsa_kernel
	.section	.text._ZN9rocsparseL19gebsrmvn_2xn_kernelILj128ELj16ELj32E21rocsparse_complex_numIfEEEvi20rocsparse_direction_NS_24const_host_device_scalarIT2_EEPKiS8_PKS5_SA_S6_PS5_21rocsparse_index_base_b,"axG",@progbits,_ZN9rocsparseL19gebsrmvn_2xn_kernelILj128ELj16ELj32E21rocsparse_complex_numIfEEEvi20rocsparse_direction_NS_24const_host_device_scalarIT2_EEPKiS8_PKS5_SA_S6_PS5_21rocsparse_index_base_b,comdat
.Lfunc_end225:
	.size	_ZN9rocsparseL19gebsrmvn_2xn_kernelILj128ELj16ELj32E21rocsparse_complex_numIfEEEvi20rocsparse_direction_NS_24const_host_device_scalarIT2_EEPKiS8_PKS5_SA_S6_PS5_21rocsparse_index_base_b, .Lfunc_end225-_ZN9rocsparseL19gebsrmvn_2xn_kernelILj128ELj16ELj32E21rocsparse_complex_numIfEEEvi20rocsparse_direction_NS_24const_host_device_scalarIT2_EEPKiS8_PKS5_SA_S6_PS5_21rocsparse_index_base_b
                                        ; -- End function
	.section	.AMDGPU.csdata,"",@progbits
; Kernel info:
; codeLenInByte = 1804
; NumSgprs: 26
; NumVgprs: 56
; NumAgprs: 0
; TotalNumVgprs: 56
; ScratchSize: 0
; MemoryBound: 0
; FloatMode: 240
; IeeeMode: 1
; LDSByteSize: 0 bytes/workgroup (compile time only)
; SGPRBlocks: 3
; VGPRBlocks: 6
; NumSGPRsForWavesPerEU: 26
; NumVGPRsForWavesPerEU: 56
; AccumOffset: 56
; Occupancy: 8
; WaveLimiterHint : 1
; COMPUTE_PGM_RSRC2:SCRATCH_EN: 0
; COMPUTE_PGM_RSRC2:USER_SGPR: 2
; COMPUTE_PGM_RSRC2:TRAP_HANDLER: 0
; COMPUTE_PGM_RSRC2:TGID_X_EN: 1
; COMPUTE_PGM_RSRC2:TGID_Y_EN: 0
; COMPUTE_PGM_RSRC2:TGID_Z_EN: 0
; COMPUTE_PGM_RSRC2:TIDIG_COMP_CNT: 0
; COMPUTE_PGM_RSRC3_GFX90A:ACCUM_OFFSET: 13
; COMPUTE_PGM_RSRC3_GFX90A:TG_SPLIT: 0
	.section	.text._ZN9rocsparseL19gebsrmvn_2xn_kernelILj128ELj16ELj64E21rocsparse_complex_numIfEEEvi20rocsparse_direction_NS_24const_host_device_scalarIT2_EEPKiS8_PKS5_SA_S6_PS5_21rocsparse_index_base_b,"axG",@progbits,_ZN9rocsparseL19gebsrmvn_2xn_kernelILj128ELj16ELj64E21rocsparse_complex_numIfEEEvi20rocsparse_direction_NS_24const_host_device_scalarIT2_EEPKiS8_PKS5_SA_S6_PS5_21rocsparse_index_base_b,comdat
	.globl	_ZN9rocsparseL19gebsrmvn_2xn_kernelILj128ELj16ELj64E21rocsparse_complex_numIfEEEvi20rocsparse_direction_NS_24const_host_device_scalarIT2_EEPKiS8_PKS5_SA_S6_PS5_21rocsparse_index_base_b ; -- Begin function _ZN9rocsparseL19gebsrmvn_2xn_kernelILj128ELj16ELj64E21rocsparse_complex_numIfEEEvi20rocsparse_direction_NS_24const_host_device_scalarIT2_EEPKiS8_PKS5_SA_S6_PS5_21rocsparse_index_base_b
	.p2align	8
	.type	_ZN9rocsparseL19gebsrmvn_2xn_kernelILj128ELj16ELj64E21rocsparse_complex_numIfEEEvi20rocsparse_direction_NS_24const_host_device_scalarIT2_EEPKiS8_PKS5_SA_S6_PS5_21rocsparse_index_base_b,@function
_ZN9rocsparseL19gebsrmvn_2xn_kernelILj128ELj16ELj64E21rocsparse_complex_numIfEEEvi20rocsparse_direction_NS_24const_host_device_scalarIT2_EEPKiS8_PKS5_SA_S6_PS5_21rocsparse_index_base_b: ; @_ZN9rocsparseL19gebsrmvn_2xn_kernelILj128ELj16ELj64E21rocsparse_complex_numIfEEEvi20rocsparse_direction_NS_24const_host_device_scalarIT2_EEPKiS8_PKS5_SA_S6_PS5_21rocsparse_index_base_b
; %bb.0:
	s_load_dwordx2 s[12:13], s[0:1], 0x40
	s_load_dwordx2 s[8:9], s[0:1], 0x8
	;; [unrolled: 1-line block ×3, first 2 shown]
	s_waitcnt lgkmcnt(0)
	s_bitcmp1_b32 s13, 0
	s_cselect_b64 s[4:5], -1, 0
	s_xor_b64 s[10:11], s[4:5], -1
	s_and_b64 vcc, exec, s[4:5]
	v_mov_b32_e32 v2, s8
	s_cbranch_vccnz .LBB226_2
; %bb.1:
	v_mov_b64_e32 v[2:3], s[8:9]
	flat_load_dword v2, v[2:3]
.LBB226_2:
	v_cndmask_b32_e64 v1, 0, 1, s[10:11]
	v_cmp_ne_u32_e64 s[4:5], 1, v1
	s_andn2_b64 vcc, exec, s[10:11]
	v_mov_b32_e32 v3, s9
	s_cbranch_vccz .LBB226_18
; %bb.3:
	s_and_b64 vcc, exec, s[4:5]
	v_mov_b32_e32 v4, s6
	s_cbranch_vccz .LBB226_19
.LBB226_4:
	s_and_b64 vcc, exec, s[4:5]
	v_mov_b32_e32 v5, s7
	s_cbranch_vccnz .LBB226_6
.LBB226_5:
	v_mov_b64_e32 v[6:7], s[6:7]
	flat_load_dword v5, v[6:7] offset:4
.LBB226_6:
	s_waitcnt vmcnt(0) lgkmcnt(0)
	v_and_b32_e32 v1, 0x7fffffff, v2
	v_cmp_eq_u32_e32 vcc, 0, v1
	v_cmp_eq_f32_e64 s[4:5], 0, v3
	s_and_b64 s[8:9], vcc, s[4:5]
	s_mov_b64 s[4:5], -1
	s_and_saveexec_b64 s[6:7], s[8:9]
; %bb.7:
	v_and_b32_e32 v1, 0x7fffffff, v5
	v_cmp_neq_f32_e32 vcc, 1.0, v4
	v_cmp_ne_u32_e64 s[4:5], 0, v1
	s_or_b64 s[4:5], vcc, s[4:5]
	s_orn2_b64 s[4:5], s[4:5], exec
; %bb.8:
	s_or_b64 exec, exec, s[6:7]
	s_and_saveexec_b64 s[6:7], s[4:5]
	s_cbranch_execz .LBB226_33
; %bb.9:
	s_load_dwordx2 s[14:15], s[0:1], 0x0
	v_lshrrev_b32_e32 v1, 6, v0
	v_lshl_or_b32 v6, s2, 1, v1
	s_waitcnt lgkmcnt(0)
	v_cmp_gt_i32_e32 vcc, s14, v6
	s_and_b64 exec, exec, vcc
	s_cbranch_execz .LBB226_33
; %bb.10:
	s_load_dwordx8 s[4:11], s[0:1], 0x10
	v_ashrrev_i32_e32 v7, 31, v6
	s_cmp_lg_u32 s15, 0
	s_waitcnt lgkmcnt(0)
	v_lshl_add_u64 v[8:9], v[6:7], 2, s[4:5]
	global_load_dwordx2 v[8:9], v[8:9], off
	v_and_b32_e32 v7, 63, v0
	s_waitcnt vmcnt(0)
	v_subrev_u32_e32 v0, s12, v8
	v_subrev_u32_e32 v24, s12, v9
	v_add_u32_e32 v0, v0, v7
	v_cmp_lt_i32_e64 s[2:3], v0, v24
	s_cbranch_scc0 .LBB226_20
; %bb.11:
	s_mov_b32 s18, 0
	v_mov_b32_e32 v11, 0
	v_mov_b32_e32 v10, 0
	;; [unrolled: 1-line block ×4, first 2 shown]
	s_and_saveexec_b64 s[4:5], s[2:3]
	s_cbranch_execz .LBB226_17
; %bb.12:
	v_lshlrev_b32_e32 v12, 5, v0
	s_add_u32 s14, s8, 8
	s_mov_b32 s19, s18
	v_or_b32_e32 v1, 6, v12
	s_addc_u32 s15, s9, 0
	s_mov_b64 s[16:17], 0
	v_mov_b64_e32 v[8:9], s[18:19]
	v_mov_b32_e32 v15, 0
	v_mov_b32_e32 v16, v0
	v_mov_b64_e32 v[10:11], s[18:19]
.LBB226_13:                             ; =>This Loop Header: Depth=1
                                        ;     Child Loop BB226_14 Depth 2
	v_ashrrev_i32_e32 v17, 31, v16
	v_lshl_add_u64 v[18:19], v[16:17], 2, s[6:7]
	global_load_dword v14, v[18:19], off
	v_mov_b32_e32 v13, v15
	v_lshl_add_u64 v[20:21], v[12:13], 3, s[14:15]
	v_mov_b32_e32 v18, v1
	s_mov_b64 s[18:19], 0
	s_waitcnt vmcnt(0)
	v_subrev_u32_e32 v13, s12, v14
	v_lshlrev_b32_e32 v14, 4, v13
	v_lshl_add_u64 v[22:23], v[14:15], 3, s[10:11]
.LBB226_14:                             ;   Parent Loop BB226_13 Depth=1
                                        ; =>  This Inner Loop Header: Depth=2
	v_lshl_add_u64 v[38:39], v[22:23], 0, s[18:19]
	global_load_dwordx4 v[26:29], v[20:21], off offset:-8
	global_load_dwordx4 v[30:33], v[38:39], off
	global_load_dwordx4 v[34:37], v[38:39], off offset:16
	v_add_u32_e32 v14, -4, v18
	v_mov_b32_e32 v19, v15
	v_lshl_add_u64 v[50:51], v[14:15], 3, s[8:9]
	v_add_u32_e32 v14, -2, v18
	v_lshl_add_u64 v[52:53], v[18:19], 3, s[8:9]
	v_lshl_add_u64 v[54:55], v[14:15], 3, s[8:9]
	global_load_dwordx4 v[38:41], v[50:51], off
	global_load_dwordx4 v[42:45], v[54:55], off
	;; [unrolled: 1-line block ×3, first 2 shown]
	s_add_u32 s18, s18, 32
	s_addc_u32 s19, s19, 0
	v_lshl_add_u64 v[20:21], v[20:21], 0, 64
	v_add_u32_e32 v18, 8, v18
	s_cmpk_eq_i32 s18, 0x80
	s_waitcnt vmcnt(5)
	v_xor_b32_e32 v50, 0x80000000, v29
	v_mov_b32_e32 v51, v28
	s_waitcnt vmcnt(4)
	v_pk_fma_f32 v[10:11], v[26:27], v[30:31], v[10:11] op_sel_hi:[1,0,1]
	v_pk_fma_f32 v[8:9], v[28:29], v[30:31], v[8:9] op_sel_hi:[1,0,1]
	v_pk_fma_f32 v[10:11], v[26:27], v[30:31], v[10:11] op_sel:[1,1,0] op_sel_hi:[0,1,1] neg_lo:[1,0,0]
	v_pk_fma_f32 v[8:9], v[50:51], v[30:31], v[8:9] op_sel:[0,1,0]
	v_mov_b32_e32 v14, v33
	s_waitcnt vmcnt(2)
	v_xor_b32_e32 v26, 0x80000000, v41
	v_mov_b32_e32 v27, v40
	v_pk_fma_f32 v[10:11], v[38:39], v[32:33], v[10:11] op_sel_hi:[1,0,1]
	v_pk_fma_f32 v[8:9], v[40:41], v[32:33], v[8:9] op_sel_hi:[1,0,1]
	v_pk_fma_f32 v[10:11], v[38:39], v[14:15], v[10:11] op_sel:[1,0,0] op_sel_hi:[0,0,1] neg_lo:[1,0,0]
	v_pk_fma_f32 v[8:9], v[26:27], v[14:15], v[8:9] op_sel_hi:[1,0,1]
	s_waitcnt vmcnt(1)
	v_xor_b32_e32 v32, 0x80000000, v45
	v_mov_b32_e32 v33, v44
	v_pk_fma_f32 v[10:11], v[42:43], v[34:35], v[10:11] op_sel_hi:[1,0,1]
	v_pk_fma_f32 v[8:9], v[44:45], v[34:35], v[8:9] op_sel_hi:[1,0,1]
	v_pk_fma_f32 v[10:11], v[42:43], v[34:35], v[10:11] op_sel:[1,1,0] op_sel_hi:[0,1,1] neg_lo:[1,0,0]
	v_pk_fma_f32 v[8:9], v[32:33], v[34:35], v[8:9] op_sel:[0,1,0]
	v_mov_b32_e32 v28, v37
	s_waitcnt vmcnt(0)
	v_xor_b32_e32 v30, 0x80000000, v49
	v_mov_b32_e32 v31, v48
	v_pk_fma_f32 v[10:11], v[46:47], v[36:37], v[10:11] op_sel_hi:[1,0,1]
	v_pk_fma_f32 v[8:9], v[48:49], v[36:37], v[8:9] op_sel_hi:[1,0,1]
	v_pk_fma_f32 v[10:11], v[46:47], v[28:29], v[10:11] op_sel:[1,0,0] op_sel_hi:[0,0,1] neg_lo:[1,0,0]
	v_pk_fma_f32 v[8:9], v[30:31], v[28:29], v[8:9] op_sel_hi:[1,0,1]
	s_cbranch_scc0 .LBB226_14
; %bb.15:                               ;   in Loop: Header=BB226_13 Depth=1
	v_add_u32_e32 v16, 64, v16
	v_cmp_ge_i32_e32 vcc, v16, v24
	v_add_u32_e32 v1, 0x800, v1
	s_or_b64 s[16:17], vcc, s[16:17]
	v_add_u32_e32 v12, 0x800, v12
	s_andn2_b64 exec, exec, s[16:17]
	s_cbranch_execnz .LBB226_13
; %bb.16:
	s_or_b64 exec, exec, s[16:17]
.LBB226_17:
	s_or_b64 exec, exec, s[4:5]
	s_cbranch_execz .LBB226_21
	s_branch .LBB226_28
.LBB226_18:
	v_mov_b64_e32 v[4:5], s[8:9]
	flat_load_dword v3, v[4:5] offset:4
	s_and_b64 vcc, exec, s[4:5]
	v_mov_b32_e32 v4, s6
	s_cbranch_vccnz .LBB226_4
.LBB226_19:
	v_mov_b64_e32 v[4:5], s[6:7]
	flat_load_dword v4, v[4:5]
	s_and_b64 vcc, exec, s[4:5]
	v_mov_b32_e32 v5, s7
	s_cbranch_vccz .LBB226_5
	s_branch .LBB226_6
.LBB226_20:
                                        ; implicit-def: $vgpr11
                                        ; implicit-def: $vgpr9
.LBB226_21:
	s_mov_b32 s14, 0
	v_mov_b32_e32 v11, 0
	v_mov_b32_e32 v10, 0
	;; [unrolled: 1-line block ×4, first 2 shown]
	s_and_saveexec_b64 s[4:5], s[2:3]
	s_cbranch_execz .LBB226_27
; %bb.22:
	s_mov_b32 s15, s14
	v_lshlrev_b32_e32 v12, 5, v0
	s_mov_b64 s[2:3], 0
	v_mov_b64_e32 v[8:9], s[14:15]
	v_mov_b32_e32 v13, 0
	v_mov_b64_e32 v[10:11], s[14:15]
.LBB226_23:                             ; =>This Loop Header: Depth=1
                                        ;     Child Loop BB226_24 Depth 2
	v_ashrrev_i32_e32 v1, 31, v0
	v_lshl_add_u64 v[14:15], v[0:1], 2, s[6:7]
	global_load_dword v1, v[14:15], off
	v_mov_b32_e32 v17, v13
	v_lshl_add_u64 v[14:15], v[12:13], 3, s[8:9]
	s_mov_b64 s[14:15], 0
	s_waitcnt vmcnt(0)
	v_subrev_u32_e32 v1, s12, v1
	v_lshlrev_b32_e32 v16, 4, v1
	v_lshl_add_u64 v[16:17], v[16:17], 3, s[10:11]
.LBB226_24:                             ;   Parent Loop BB226_23 Depth=1
                                        ; =>  This Inner Loop Header: Depth=2
	v_lshl_add_u64 v[46:47], v[16:17], 0, s[14:15]
	v_lshl_add_u64 v[22:23], v[14:15], 0, s[14:15]
	global_load_dwordx4 v[18:21], v[46:47], off
	global_load_dwordx4 v[26:29], v[22:23], off
	global_load_dwordx4 v[30:33], v[22:23], off offset:128
	global_load_dwordx4 v[34:37], v[22:23], off offset:16
	;; [unrolled: 1-line block ×4, first 2 shown]
	s_add_u32 s14, s14, 32
	s_addc_u32 s15, s15, 0
	s_cmpk_eq_i32 s14, 0x80
	s_waitcnt vmcnt(5)
	v_mov_b32_e32 v46, v21
	s_waitcnt vmcnt(4)
	v_pk_fma_f32 v[10:11], v[26:27], v[18:19], v[10:11] op_sel_hi:[1,0,1]
	s_waitcnt vmcnt(3)
	v_pk_fma_f32 v[8:9], v[30:31], v[18:19], v[8:9] op_sel_hi:[1,0,1]
	v_pk_fma_f32 v[10:11], v[26:27], v[18:19], v[10:11] op_sel:[1,1,0] op_sel_hi:[0,1,1] neg_lo:[1,0,0]
	v_pk_fma_f32 v[8:9], v[30:31], v[18:19], v[8:9] op_sel:[1,1,0] op_sel_hi:[0,1,1] neg_lo:[1,0,0]
	v_xor_b32_e32 v22, 0x80000000, v29
	v_mov_b32_e32 v23, v28
	v_xor_b32_e32 v48, 0x80000000, v33
	v_mov_b32_e32 v49, v32
	v_pk_fma_f32 v[10:11], v[28:29], v[20:21], v[10:11] op_sel_hi:[1,0,1]
	v_pk_fma_f32 v[8:9], v[32:33], v[20:21], v[8:9] op_sel_hi:[1,0,1]
	;; [unrolled: 1-line block ×4, first 2 shown]
	s_waitcnt vmcnt(1)
	v_pk_fma_f32 v[10:11], v[34:35], v[38:39], v[10:11] op_sel_hi:[1,0,1]
	s_waitcnt vmcnt(0)
	v_pk_fma_f32 v[8:9], v[42:43], v[38:39], v[8:9] op_sel_hi:[1,0,1]
	v_pk_fma_f32 v[10:11], v[34:35], v[38:39], v[10:11] op_sel:[1,1,0] op_sel_hi:[0,1,1] neg_lo:[1,0,0]
	v_pk_fma_f32 v[8:9], v[42:43], v[38:39], v[8:9] op_sel:[1,1,0] op_sel_hi:[0,1,1] neg_lo:[1,0,0]
	v_xor_b32_e32 v50, 0x80000000, v37
	v_mov_b32_e32 v51, v36
	v_mov_b32_e32 v52, v41
	v_xor_b32_e32 v54, 0x80000000, v45
	v_mov_b32_e32 v55, v44
	v_pk_fma_f32 v[10:11], v[36:37], v[40:41], v[10:11] op_sel_hi:[1,0,1]
	v_pk_fma_f32 v[8:9], v[44:45], v[40:41], v[8:9] op_sel_hi:[1,0,1]
	;; [unrolled: 1-line block ×4, first 2 shown]
	s_cbranch_scc0 .LBB226_24
; %bb.25:                               ;   in Loop: Header=BB226_23 Depth=1
	v_add_u32_e32 v0, 64, v0
	v_cmp_ge_i32_e32 vcc, v0, v24
	s_or_b64 s[2:3], vcc, s[2:3]
	v_add_u32_e32 v12, 0x800, v12
	s_andn2_b64 exec, exec, s[2:3]
	s_cbranch_execnz .LBB226_23
; %bb.26:
	s_or_b64 exec, exec, s[2:3]
.LBB226_27:
	s_or_b64 exec, exec, s[4:5]
.LBB226_28:
	v_mov_b32_dpp v12, v8 row_shr:1 row_mask:0xf bank_mask:0xf
	v_add_f32_e32 v8, v8, v12
	v_mov_b32_dpp v0, v10 row_shr:1 row_mask:0xf bank_mask:0xf
	v_add_f32_e32 v0, v10, v0
	;; [unrolled: 2-line block ×5, first 2 shown]
	v_mov_b32_dpp v1, v0 row_shr:2 row_mask:0xf bank_mask:0xf
	v_mov_b32_dpp v11, v10 row_shr:2 row_mask:0xf bank_mask:0xf
	;; [unrolled: 1-line block ×3, first 2 shown]
	v_add_f32_e32 v8, v8, v12
	v_add_f32_e32 v0, v0, v1
	;; [unrolled: 1-line block ×3, first 2 shown]
	v_mov_b32_dpp v12, v8 row_bcast:15 row_mask:0xa bank_mask:0xf
	v_add_f32_e32 v13, v8, v12
	v_mov_b32_dpp v8, v9 row_shr:1 row_mask:0xf bank_mask:0xf
	v_add_f32_e32 v8, v9, v8
	v_mov_b32_dpp v1, v0 row_shr:4 row_mask:0xf bank_mask:0xe
	v_mov_b32_dpp v11, v10 row_shr:4 row_mask:0xf bank_mask:0xe
	v_mov_b32_dpp v9, v8 row_shr:2 row_mask:0xf bank_mask:0xf
	v_add_f32_e32 v8, v8, v9
	v_add_f32_e32 v0, v0, v1
	;; [unrolled: 1-line block ×3, first 2 shown]
	v_mov_b32_dpp v9, v8 row_shr:4 row_mask:0xf bank_mask:0xe
	v_add_f32_e32 v8, v8, v9
	v_mov_b32_dpp v1, v0 row_shr:8 row_mask:0xf bank_mask:0xc
	v_mov_b32_dpp v11, v10 row_shr:8 row_mask:0xf bank_mask:0xc
	;; [unrolled: 1-line block ×3, first 2 shown]
	v_add_f32_e32 v0, v0, v1
	v_add_f32_e32 v10, v10, v11
	;; [unrolled: 1-line block ×3, first 2 shown]
	v_mov_b32_dpp v1, v0 row_bcast:15 row_mask:0xa bank_mask:0xf
	v_mov_b32_dpp v11, v10 row_bcast:15 row_mask:0xa bank_mask:0xf
	;; [unrolled: 1-line block ×3, first 2 shown]
	v_add_f32_e32 v0, v0, v1
	v_add_f32_e32 v10, v10, v11
	;; [unrolled: 1-line block ×3, first 2 shown]
	v_mov_b32_dpp v1, v0 row_bcast:31 row_mask:0xc bank_mask:0xf
	v_mov_b32_dpp v11, v10 row_bcast:31 row_mask:0xc bank_mask:0xf
	v_mov_b32_dpp v14, v13 row_bcast:31 row_mask:0xc bank_mask:0xf
	v_mov_b32_dpp v15, v9 row_bcast:31 row_mask:0xc bank_mask:0xf
	v_cmp_eq_u32_e32 vcc, 63, v7
	s_and_b64 exec, exec, vcc
	s_cbranch_execz .LBB226_33
; %bb.29:
	s_load_dwordx2 s[2:3], s[0:1], 0x38
	v_add_f32_e32 v8, v0, v1
	v_and_b32_e32 v1, 0x7fffffff, v4
	v_cmp_eq_u32_e32 vcc, 0, v1
	v_cmp_eq_f32_e64 s[0:1], 0, v5
	v_add_f32_e32 v12, v10, v11
	v_add_f32_e32 v0, v13, v14
	;; [unrolled: 1-line block ×3, first 2 shown]
	s_and_b64 s[0:1], vcc, s[0:1]
	s_and_saveexec_b64 s[4:5], s[0:1]
	s_xor_b64 s[0:1], exec, s[4:5]
	s_cbranch_execz .LBB226_31
; %bb.30:
	v_lshlrev_b32_e32 v4, 1, v6
	v_xor_b32_e32 v14, 0x80000000, v3
	v_ashrrev_i32_e32 v5, 31, v4
	v_mov_b32_e32 v15, v2
	s_waitcnt lgkmcnt(0)
	v_lshl_add_u64 v[16:17], v[4:5], 3, s[2:3]
	v_pk_mul_f32 v[4:5], v[12:13], v[14:15] op_sel_hi:[0,1]
	v_pk_mul_f32 v[6:7], v[10:11], v[14:15] op_sel_hi:[0,1]
	v_pk_fma_f32 v[4:5], v[2:3], v[8:9], v[4:5] op_sel_hi:[1,0,1]
	v_pk_fma_f32 v[6:7], v[2:3], v[0:1], v[6:7] op_sel_hi:[1,0,1]
	global_store_dwordx4 v[16:17], v[4:7], off
                                        ; implicit-def: $vgpr3
                                        ; implicit-def: $vgpr4
                                        ; implicit-def: $vgpr6
                                        ; implicit-def: $vgpr8
                                        ; implicit-def: $vgpr12
                                        ; implicit-def: $vgpr0
                                        ; implicit-def: $vgpr10
.LBB226_31:
	s_andn2_saveexec_b64 s[0:1], s[0:1]
	s_cbranch_execz .LBB226_33
; %bb.32:
	v_lshlrev_b32_e32 v6, 1, v6
	v_ashrrev_i32_e32 v7, 31, v6
	s_waitcnt lgkmcnt(0)
	v_lshl_add_u64 v[6:7], v[6:7], 3, s[2:3]
	global_load_dwordx4 v[14:17], v[6:7], off
	v_xor_b32_e32 v18, 0x80000000, v3
	v_mov_b32_e32 v19, v2
	v_pk_mul_f32 v[12:13], v[12:13], v[18:19] op_sel_hi:[0,1]
	v_pk_mul_f32 v[10:11], v[10:11], v[18:19] op_sel_hi:[0,1]
	v_pk_fma_f32 v[8:9], v[2:3], v[8:9], v[12:13] op_sel_hi:[1,0,1]
	v_pk_fma_f32 v[0:1], v[2:3], v[0:1], v[10:11] op_sel_hi:[1,0,1]
	v_xor_b32_e32 v20, 0x80000000, v5
	v_mov_b32_e32 v21, v4
	s_waitcnt vmcnt(0)
	v_pk_fma_f32 v[2:3], v[4:5], v[14:15], v[8:9] op_sel_hi:[1,0,1]
	v_pk_fma_f32 v[4:5], v[4:5], v[16:17], v[0:1] op_sel_hi:[1,0,1]
	v_mov_b32_e32 v8, v17
	v_pk_fma_f32 v[0:1], v[20:21], v[14:15], v[2:3] op_sel:[0,1,0]
	v_pk_fma_f32 v[2:3], v[20:21], v[8:9], v[4:5] op_sel_hi:[1,0,1]
	global_store_dwordx4 v[6:7], v[0:3], off
.LBB226_33:
	s_endpgm
	.section	.rodata,"a",@progbits
	.p2align	6, 0x0
	.amdhsa_kernel _ZN9rocsparseL19gebsrmvn_2xn_kernelILj128ELj16ELj64E21rocsparse_complex_numIfEEEvi20rocsparse_direction_NS_24const_host_device_scalarIT2_EEPKiS8_PKS5_SA_S6_PS5_21rocsparse_index_base_b
		.amdhsa_group_segment_fixed_size 0
		.amdhsa_private_segment_fixed_size 0
		.amdhsa_kernarg_size 72
		.amdhsa_user_sgpr_count 2
		.amdhsa_user_sgpr_dispatch_ptr 0
		.amdhsa_user_sgpr_queue_ptr 0
		.amdhsa_user_sgpr_kernarg_segment_ptr 1
		.amdhsa_user_sgpr_dispatch_id 0
		.amdhsa_user_sgpr_kernarg_preload_length 0
		.amdhsa_user_sgpr_kernarg_preload_offset 0
		.amdhsa_user_sgpr_private_segment_size 0
		.amdhsa_uses_dynamic_stack 0
		.amdhsa_enable_private_segment 0
		.amdhsa_system_sgpr_workgroup_id_x 1
		.amdhsa_system_sgpr_workgroup_id_y 0
		.amdhsa_system_sgpr_workgroup_id_z 0
		.amdhsa_system_sgpr_workgroup_info 0
		.amdhsa_system_vgpr_workitem_id 0
		.amdhsa_next_free_vgpr 56
		.amdhsa_next_free_sgpr 20
		.amdhsa_accum_offset 56
		.amdhsa_reserve_vcc 1
		.amdhsa_float_round_mode_32 0
		.amdhsa_float_round_mode_16_64 0
		.amdhsa_float_denorm_mode_32 3
		.amdhsa_float_denorm_mode_16_64 3
		.amdhsa_dx10_clamp 1
		.amdhsa_ieee_mode 1
		.amdhsa_fp16_overflow 0
		.amdhsa_tg_split 0
		.amdhsa_exception_fp_ieee_invalid_op 0
		.amdhsa_exception_fp_denorm_src 0
		.amdhsa_exception_fp_ieee_div_zero 0
		.amdhsa_exception_fp_ieee_overflow 0
		.amdhsa_exception_fp_ieee_underflow 0
		.amdhsa_exception_fp_ieee_inexact 0
		.amdhsa_exception_int_div_zero 0
	.end_amdhsa_kernel
	.section	.text._ZN9rocsparseL19gebsrmvn_2xn_kernelILj128ELj16ELj64E21rocsparse_complex_numIfEEEvi20rocsparse_direction_NS_24const_host_device_scalarIT2_EEPKiS8_PKS5_SA_S6_PS5_21rocsparse_index_base_b,"axG",@progbits,_ZN9rocsparseL19gebsrmvn_2xn_kernelILj128ELj16ELj64E21rocsparse_complex_numIfEEEvi20rocsparse_direction_NS_24const_host_device_scalarIT2_EEPKiS8_PKS5_SA_S6_PS5_21rocsparse_index_base_b,comdat
.Lfunc_end226:
	.size	_ZN9rocsparseL19gebsrmvn_2xn_kernelILj128ELj16ELj64E21rocsparse_complex_numIfEEEvi20rocsparse_direction_NS_24const_host_device_scalarIT2_EEPKiS8_PKS5_SA_S6_PS5_21rocsparse_index_base_b, .Lfunc_end226-_ZN9rocsparseL19gebsrmvn_2xn_kernelILj128ELj16ELj64E21rocsparse_complex_numIfEEEvi20rocsparse_direction_NS_24const_host_device_scalarIT2_EEPKiS8_PKS5_SA_S6_PS5_21rocsparse_index_base_b
                                        ; -- End function
	.section	.AMDGPU.csdata,"",@progbits
; Kernel info:
; codeLenInByte = 1852
; NumSgprs: 26
; NumVgprs: 56
; NumAgprs: 0
; TotalNumVgprs: 56
; ScratchSize: 0
; MemoryBound: 0
; FloatMode: 240
; IeeeMode: 1
; LDSByteSize: 0 bytes/workgroup (compile time only)
; SGPRBlocks: 3
; VGPRBlocks: 6
; NumSGPRsForWavesPerEU: 26
; NumVGPRsForWavesPerEU: 56
; AccumOffset: 56
; Occupancy: 8
; WaveLimiterHint : 1
; COMPUTE_PGM_RSRC2:SCRATCH_EN: 0
; COMPUTE_PGM_RSRC2:USER_SGPR: 2
; COMPUTE_PGM_RSRC2:TRAP_HANDLER: 0
; COMPUTE_PGM_RSRC2:TGID_X_EN: 1
; COMPUTE_PGM_RSRC2:TGID_Y_EN: 0
; COMPUTE_PGM_RSRC2:TGID_Z_EN: 0
; COMPUTE_PGM_RSRC2:TIDIG_COMP_CNT: 0
; COMPUTE_PGM_RSRC3_GFX90A:ACCUM_OFFSET: 13
; COMPUTE_PGM_RSRC3_GFX90A:TG_SPLIT: 0
	.section	.text._ZN9rocsparseL23gebsrmvn_general_kernelILj32ELj32E21rocsparse_complex_numIfEEEvi20rocsparse_direction_NS_24const_host_device_scalarIT1_EEPKiS8_PKS5_iiSA_S6_PS5_21rocsparse_index_base_b,"axG",@progbits,_ZN9rocsparseL23gebsrmvn_general_kernelILj32ELj32E21rocsparse_complex_numIfEEEvi20rocsparse_direction_NS_24const_host_device_scalarIT1_EEPKiS8_PKS5_iiSA_S6_PS5_21rocsparse_index_base_b,comdat
	.globl	_ZN9rocsparseL23gebsrmvn_general_kernelILj32ELj32E21rocsparse_complex_numIfEEEvi20rocsparse_direction_NS_24const_host_device_scalarIT1_EEPKiS8_PKS5_iiSA_S6_PS5_21rocsparse_index_base_b ; -- Begin function _ZN9rocsparseL23gebsrmvn_general_kernelILj32ELj32E21rocsparse_complex_numIfEEEvi20rocsparse_direction_NS_24const_host_device_scalarIT1_EEPKiS8_PKS5_iiSA_S6_PS5_21rocsparse_index_base_b
	.p2align	8
	.type	_ZN9rocsparseL23gebsrmvn_general_kernelILj32ELj32E21rocsparse_complex_numIfEEEvi20rocsparse_direction_NS_24const_host_device_scalarIT1_EEPKiS8_PKS5_iiSA_S6_PS5_21rocsparse_index_base_b,@function
_ZN9rocsparseL23gebsrmvn_general_kernelILj32ELj32E21rocsparse_complex_numIfEEEvi20rocsparse_direction_NS_24const_host_device_scalarIT1_EEPKiS8_PKS5_iiSA_S6_PS5_21rocsparse_index_base_b: ; @_ZN9rocsparseL23gebsrmvn_general_kernelILj32ELj32E21rocsparse_complex_numIfEEEvi20rocsparse_direction_NS_24const_host_device_scalarIT1_EEPKiS8_PKS5_iiSA_S6_PS5_21rocsparse_index_base_b
; %bb.0:
	s_load_dwordx2 s[12:13], s[0:1], 0x48
	s_load_dwordx2 s[8:9], s[0:1], 0x8
	;; [unrolled: 1-line block ×3, first 2 shown]
	s_waitcnt lgkmcnt(0)
	s_bitcmp1_b32 s13, 0
	s_cselect_b64 s[4:5], -1, 0
	s_xor_b64 s[10:11], s[4:5], -1
	s_and_b64 vcc, exec, s[4:5]
	v_mov_b32_e32 v2, s8
	s_cbranch_vccnz .LBB227_2
; %bb.1:
	v_mov_b64_e32 v[2:3], s[8:9]
	flat_load_dword v2, v[2:3]
.LBB227_2:
	v_cndmask_b32_e64 v1, 0, 1, s[10:11]
	v_cmp_ne_u32_e64 s[4:5], 1, v1
	s_andn2_b64 vcc, exec, s[10:11]
	v_mov_b32_e32 v3, s9
	s_cbranch_vccz .LBB227_29
; %bb.3:
	s_and_b64 vcc, exec, s[4:5]
	v_mov_b32_e32 v4, s6
	s_cbranch_vccz .LBB227_30
.LBB227_4:
	s_and_b64 vcc, exec, s[4:5]
	v_mov_b32_e32 v5, s7
	s_cbranch_vccnz .LBB227_6
.LBB227_5:
	v_mov_b64_e32 v[6:7], s[6:7]
	flat_load_dword v5, v[6:7] offset:4
.LBB227_6:
	s_waitcnt vmcnt(0) lgkmcnt(0)
	v_and_b32_e32 v1, 0x7fffffff, v2
	v_cmp_eq_u32_e32 vcc, 0, v1
	v_cmp_eq_f32_e64 s[4:5], 0, v3
	s_and_b64 s[8:9], vcc, s[4:5]
	s_mov_b64 s[4:5], -1
	s_and_saveexec_b64 s[6:7], s[8:9]
; %bb.7:
	v_and_b32_e32 v1, 0x7fffffff, v5
	v_cmp_neq_f32_e32 vcc, 1.0, v4
	v_cmp_ne_u32_e64 s[4:5], 0, v1
	s_or_b64 s[4:5], vcc, s[4:5]
	s_orn2_b64 s[4:5], s[4:5], exec
; %bb.8:
	s_or_b64 exec, exec, s[6:7]
	s_and_saveexec_b64 s[6:7], s[4:5]
	s_cbranch_execz .LBB227_28
; %bb.9:
	s_load_dwordx2 s[14:15], s[0:1], 0x28
	s_mov_b32 s16, 0
	s_waitcnt lgkmcnt(0)
	s_cmp_gt_i32 s14, 0
	s_cselect_b64 s[4:5], -1, 0
	s_and_b64 exec, exec, s[4:5]
	s_cbranch_execz .LBB227_28
; %bb.10:
	s_load_dwordx4 s[8:11], s[0:1], 0x10
	s_load_dword s17, s[0:1], 0x4
	s_ashr_i32 s3, s2, 31
	s_lshl_b64 s[4:5], s[2:3], 2
	v_and_b32_e32 v1, 0x7fffffff, v4
	s_waitcnt lgkmcnt(0)
	s_add_u32 s4, s8, s4
	s_addc_u32 s5, s9, s5
	s_load_dwordx2 s[6:7], s[4:5], 0x0
	s_load_dwordx2 s[8:9], s[0:1], 0x20
	;; [unrolled: 1-line block ×4, first 2 shown]
	s_mul_i32 s36, s2, s14
	s_waitcnt lgkmcnt(0)
	s_sub_i32 s13, s6, s12
	s_sub_i32 s33, s7, s12
	s_cmp_lt_i32 s6, s7
	s_cselect_b64 s[26:27], -1, 0
	s_mul_i32 s2, s14, s13
	s_cmp_lg_u32 s17, 0
	v_cmp_eq_u32_e32 vcc, 0, v1
	v_cmp_eq_f32_e64 s[4:5], 0, v5
	s_mul_i32 s2, s15, s2
	v_cndmask_b32_e64 v7, 0, 1, s[26:27]
	v_mov_b32_e32 v6, 0
	v_cmp_gt_i32_e64 s[0:1], s15, v0
	s_cselect_b64 s[22:23], -1, 0
	v_cmp_eq_u32_e64 s[6:7], 31, v0
	s_and_b64 s[24:25], vcc, s[4:5]
	v_xor_b32_e32 v8, 0x80000000, v3
	v_xor_b32_e32 v10, 0x80000000, v5
	v_mov_b32_e32 v9, v2
	v_mov_b32_e32 v11, v4
	;; [unrolled: 1-line block ×3, first 2 shown]
	s_mul_i32 s37, s15, s14
	s_mov_b64 s[2:3], 0
	v_cmp_ne_u32_e64 s[4:5], 1, v7
	s_branch .LBB227_12
.LBB227_11:                             ;   in Loop: Header=BB227_12 Depth=1
	s_or_b64 exec, exec, s[26:27]
	v_add_u32_e32 v6, 1, v6
	v_cmp_le_i32_e32 vcc, s14, v6
	s_or_b64 s[2:3], vcc, s[2:3]
	v_add_u32_e32 v1, s15, v1
	s_andn2_b64 exec, exec, s[2:3]
	s_cbranch_execz .LBB227_28
.LBB227_12:                             ; =>This Loop Header: Depth=1
                                        ;     Child Loop BB227_16 Depth 2
                                        ;       Child Loop BB227_19 Depth 3
	s_mov_b32 s17, s16
	s_and_b64 vcc, exec, s[4:5]
	v_mov_b64_e32 v[12:13], s[16:17]
	s_cbranch_vccnz .LBB227_23
; %bb.13:                               ;   in Loop: Header=BB227_12 Depth=1
	v_mov_b64_e32 v[12:13], s[16:17]
	v_mov_b32_e32 v7, v1
	s_mov_b32 s26, s13
	s_branch .LBB227_16
.LBB227_14:                             ;   in Loop: Header=BB227_16 Depth=2
	s_or_b64 exec, exec, s[30:31]
.LBB227_15:                             ;   in Loop: Header=BB227_16 Depth=2
	s_or_b64 exec, exec, s[28:29]
	s_add_i32 s26, s26, 1
	s_cmp_ge_i32 s26, s33
	v_add_u32_e32 v7, s37, v7
	s_cbranch_scc1 .LBB227_23
.LBB227_16:                             ;   Parent Loop BB227_12 Depth=1
                                        ; =>  This Loop Header: Depth=2
                                        ;       Child Loop BB227_19 Depth 3
	s_and_saveexec_b64 s[28:29], s[0:1]
	s_cbranch_execz .LBB227_15
; %bb.17:                               ;   in Loop: Header=BB227_16 Depth=2
	s_ashr_i32 s27, s26, 31
	s_lshl_b64 s[30:31], s[26:27], 2
	s_add_u32 s30, s10, s30
	s_addc_u32 s31, s11, s31
	s_load_dword s27, s[30:31], 0x0
	s_mul_i32 s17, s26, s15
	s_mov_b64 s[30:31], 0
	v_mov_b32_e32 v16, v0
	s_waitcnt lgkmcnt(0)
	s_sub_i32 s27, s27, s12
	s_mul_i32 s27, s27, s15
	s_branch .LBB227_19
.LBB227_18:                             ;   in Loop: Header=BB227_19 Depth=3
	v_ashrrev_i32_e32 v15, 31, v14
	v_add_u32_e32 v18, s27, v16
	v_lshl_add_u64 v[14:15], v[14:15], 3, s[8:9]
	v_ashrrev_i32_e32 v19, 31, v18
	v_lshl_add_u64 v[18:19], v[18:19], 3, s[18:19]
	global_load_dwordx2 v[20:21], v[14:15], off
	global_load_dwordx2 v[22:23], v[18:19], off
	v_add_u32_e32 v16, 32, v16
	v_cmp_le_i32_e32 vcc, s15, v16
	s_or_b64 s[30:31], vcc, s[30:31]
	s_waitcnt vmcnt(0)
	v_pk_fma_f32 v[12:13], v[20:21], v[22:23], v[12:13] op_sel_hi:[1,0,1]
	s_nop 0
	v_pk_fma_f32 v[12:13], v[20:21], v[22:23], v[12:13] op_sel:[1,1,0] op_sel_hi:[0,1,1] neg_lo:[1,0,0]
	s_andn2_b64 exec, exec, s[30:31]
	s_cbranch_execz .LBB227_14
.LBB227_19:                             ;   Parent Loop BB227_12 Depth=1
                                        ;     Parent Loop BB227_16 Depth=2
                                        ; =>    This Inner Loop Header: Depth=3
	s_and_b64 vcc, exec, s[22:23]
	s_cbranch_vccz .LBB227_21
; %bb.20:                               ;   in Loop: Header=BB227_19 Depth=3
	v_add_u32_e32 v14, s17, v16
	v_mad_u64_u32 v[14:15], s[34:35], v14, s14, v[6:7]
	s_cbranch_execnz .LBB227_18
	s_branch .LBB227_22
.LBB227_21:                             ;   in Loop: Header=BB227_19 Depth=3
                                        ; implicit-def: $vgpr14
.LBB227_22:                             ;   in Loop: Header=BB227_19 Depth=3
	v_add_u32_e32 v14, v7, v16
	s_branch .LBB227_18
.LBB227_23:                             ;   in Loop: Header=BB227_12 Depth=1
	s_nop 0
	v_mov_b32_dpp v7, v12 row_shr:1 row_mask:0xf bank_mask:0xf
	v_mov_b32_dpp v14, v13 row_shr:1 row_mask:0xf bank_mask:0xf
	v_add_f32_e32 v7, v12, v7
	v_add_f32_e32 v13, v13, v14
	s_nop 0
	v_mov_b32_dpp v12, v7 row_shr:2 row_mask:0xf bank_mask:0xf
	v_mov_b32_dpp v14, v13 row_shr:2 row_mask:0xf bank_mask:0xf
	v_add_f32_e32 v7, v7, v12
	v_add_f32_e32 v13, v13, v14
	s_nop 0
	v_mov_b32_dpp v12, v7 row_shr:4 row_mask:0xf bank_mask:0xe
	v_mov_b32_dpp v14, v13 row_shr:4 row_mask:0xf bank_mask:0xe
	v_add_f32_e32 v7, v7, v12
	v_add_f32_e32 v13, v13, v14
	s_nop 0
	v_mov_b32_dpp v12, v7 row_shr:8 row_mask:0xf bank_mask:0xc
	v_mov_b32_dpp v14, v13 row_shr:8 row_mask:0xf bank_mask:0xc
	v_add_f32_e32 v7, v7, v12
	v_add_f32_e32 v13, v13, v14
	s_nop 0
	v_mov_b32_dpp v12, v7 row_bcast:15 row_mask:0xa bank_mask:0xf
	v_mov_b32_dpp v14, v13 row_bcast:15 row_mask:0xa bank_mask:0xf
	s_and_saveexec_b64 s[26:27], s[6:7]
	s_cbranch_execz .LBB227_11
; %bb.24:                               ;   in Loop: Header=BB227_12 Depth=1
	v_add_u32_e32 v16, s36, v6
	v_add_f32_e32 v12, v7, v12
	v_add_f32_e32 v14, v13, v14
	v_ashrrev_i32_e32 v17, 31, v16
	s_and_saveexec_b64 s[28:29], s[24:25]
	s_xor_b64 s[28:29], exec, s[28:29]
	s_cbranch_execz .LBB227_26
; %bb.25:                               ;   in Loop: Header=BB227_12 Depth=1
	v_pk_mul_f32 v[14:15], v[14:15], v[8:9] op_sel_hi:[0,1]
	v_lshl_add_u64 v[16:17], v[16:17], 3, s[20:21]
	v_pk_fma_f32 v[12:13], v[2:3], v[12:13], v[14:15] op_sel_hi:[1,0,1]
	global_store_dwordx2 v[16:17], v[12:13], off
                                        ; implicit-def: $vgpr16
                                        ; implicit-def: $vgpr14
                                        ; implicit-def: $vgpr12
.LBB227_26:                             ;   in Loop: Header=BB227_12 Depth=1
	s_andn2_saveexec_b64 s[28:29], s[28:29]
	s_cbranch_execz .LBB227_11
; %bb.27:                               ;   in Loop: Header=BB227_12 Depth=1
	v_lshl_add_u64 v[16:17], v[16:17], 3, s[20:21]
	global_load_dwordx2 v[18:19], v[16:17], off
	v_pk_mul_f32 v[14:15], v[14:15], v[8:9] op_sel_hi:[0,1]
	v_pk_fma_f32 v[12:13], v[2:3], v[12:13], v[14:15] op_sel_hi:[1,0,1]
	s_waitcnt vmcnt(0)
	v_pk_fma_f32 v[12:13], v[4:5], v[18:19], v[12:13] op_sel_hi:[1,0,1]
	s_nop 0
	v_pk_fma_f32 v[12:13], v[10:11], v[18:19], v[12:13] op_sel:[0,1,0]
	global_store_dwordx2 v[16:17], v[12:13], off
	s_branch .LBB227_11
.LBB227_28:
	s_endpgm
.LBB227_29:
	v_mov_b64_e32 v[4:5], s[8:9]
	flat_load_dword v3, v[4:5] offset:4
	s_and_b64 vcc, exec, s[4:5]
	v_mov_b32_e32 v4, s6
	s_cbranch_vccnz .LBB227_4
.LBB227_30:
	v_mov_b64_e32 v[4:5], s[6:7]
	flat_load_dword v4, v[4:5]
	s_and_b64 vcc, exec, s[4:5]
	v_mov_b32_e32 v5, s7
	s_cbranch_vccz .LBB227_5
	s_branch .LBB227_6
	.section	.rodata,"a",@progbits
	.p2align	6, 0x0
	.amdhsa_kernel _ZN9rocsparseL23gebsrmvn_general_kernelILj32ELj32E21rocsparse_complex_numIfEEEvi20rocsparse_direction_NS_24const_host_device_scalarIT1_EEPKiS8_PKS5_iiSA_S6_PS5_21rocsparse_index_base_b
		.amdhsa_group_segment_fixed_size 0
		.amdhsa_private_segment_fixed_size 0
		.amdhsa_kernarg_size 80
		.amdhsa_user_sgpr_count 2
		.amdhsa_user_sgpr_dispatch_ptr 0
		.amdhsa_user_sgpr_queue_ptr 0
		.amdhsa_user_sgpr_kernarg_segment_ptr 1
		.amdhsa_user_sgpr_dispatch_id 0
		.amdhsa_user_sgpr_kernarg_preload_length 0
		.amdhsa_user_sgpr_kernarg_preload_offset 0
		.amdhsa_user_sgpr_private_segment_size 0
		.amdhsa_uses_dynamic_stack 0
		.amdhsa_enable_private_segment 0
		.amdhsa_system_sgpr_workgroup_id_x 1
		.amdhsa_system_sgpr_workgroup_id_y 0
		.amdhsa_system_sgpr_workgroup_id_z 0
		.amdhsa_system_sgpr_workgroup_info 0
		.amdhsa_system_vgpr_workitem_id 0
		.amdhsa_next_free_vgpr 24
		.amdhsa_next_free_sgpr 38
		.amdhsa_accum_offset 24
		.amdhsa_reserve_vcc 1
		.amdhsa_float_round_mode_32 0
		.amdhsa_float_round_mode_16_64 0
		.amdhsa_float_denorm_mode_32 3
		.amdhsa_float_denorm_mode_16_64 3
		.amdhsa_dx10_clamp 1
		.amdhsa_ieee_mode 1
		.amdhsa_fp16_overflow 0
		.amdhsa_tg_split 0
		.amdhsa_exception_fp_ieee_invalid_op 0
		.amdhsa_exception_fp_denorm_src 0
		.amdhsa_exception_fp_ieee_div_zero 0
		.amdhsa_exception_fp_ieee_overflow 0
		.amdhsa_exception_fp_ieee_underflow 0
		.amdhsa_exception_fp_ieee_inexact 0
		.amdhsa_exception_int_div_zero 0
	.end_amdhsa_kernel
	.section	.text._ZN9rocsparseL23gebsrmvn_general_kernelILj32ELj32E21rocsparse_complex_numIfEEEvi20rocsparse_direction_NS_24const_host_device_scalarIT1_EEPKiS8_PKS5_iiSA_S6_PS5_21rocsparse_index_base_b,"axG",@progbits,_ZN9rocsparseL23gebsrmvn_general_kernelILj32ELj32E21rocsparse_complex_numIfEEEvi20rocsparse_direction_NS_24const_host_device_scalarIT1_EEPKiS8_PKS5_iiSA_S6_PS5_21rocsparse_index_base_b,comdat
.Lfunc_end227:
	.size	_ZN9rocsparseL23gebsrmvn_general_kernelILj32ELj32E21rocsparse_complex_numIfEEEvi20rocsparse_direction_NS_24const_host_device_scalarIT1_EEPKiS8_PKS5_iiSA_S6_PS5_21rocsparse_index_base_b, .Lfunc_end227-_ZN9rocsparseL23gebsrmvn_general_kernelILj32ELj32E21rocsparse_complex_numIfEEEvi20rocsparse_direction_NS_24const_host_device_scalarIT1_EEPKiS8_PKS5_iiSA_S6_PS5_21rocsparse_index_base_b
                                        ; -- End function
	.section	.AMDGPU.csdata,"",@progbits
; Kernel info:
; codeLenInByte = 1044
; NumSgprs: 44
; NumVgprs: 24
; NumAgprs: 0
; TotalNumVgprs: 24
; ScratchSize: 0
; MemoryBound: 0
; FloatMode: 240
; IeeeMode: 1
; LDSByteSize: 0 bytes/workgroup (compile time only)
; SGPRBlocks: 5
; VGPRBlocks: 2
; NumSGPRsForWavesPerEU: 44
; NumVGPRsForWavesPerEU: 24
; AccumOffset: 24
; Occupancy: 8
; WaveLimiterHint : 1
; COMPUTE_PGM_RSRC2:SCRATCH_EN: 0
; COMPUTE_PGM_RSRC2:USER_SGPR: 2
; COMPUTE_PGM_RSRC2:TRAP_HANDLER: 0
; COMPUTE_PGM_RSRC2:TGID_X_EN: 1
; COMPUTE_PGM_RSRC2:TGID_Y_EN: 0
; COMPUTE_PGM_RSRC2:TGID_Z_EN: 0
; COMPUTE_PGM_RSRC2:TIDIG_COMP_CNT: 0
; COMPUTE_PGM_RSRC3_GFX90A:ACCUM_OFFSET: 5
; COMPUTE_PGM_RSRC3_GFX90A:TG_SPLIT: 0
	.section	.text._ZN9rocsparseL19gebsrmvn_2xn_kernelILj128ELj1ELj4E21rocsparse_complex_numIdEEEvi20rocsparse_direction_NS_24const_host_device_scalarIT2_EEPKiS8_PKS5_SA_S6_PS5_21rocsparse_index_base_b,"axG",@progbits,_ZN9rocsparseL19gebsrmvn_2xn_kernelILj128ELj1ELj4E21rocsparse_complex_numIdEEEvi20rocsparse_direction_NS_24const_host_device_scalarIT2_EEPKiS8_PKS5_SA_S6_PS5_21rocsparse_index_base_b,comdat
	.globl	_ZN9rocsparseL19gebsrmvn_2xn_kernelILj128ELj1ELj4E21rocsparse_complex_numIdEEEvi20rocsparse_direction_NS_24const_host_device_scalarIT2_EEPKiS8_PKS5_SA_S6_PS5_21rocsparse_index_base_b ; -- Begin function _ZN9rocsparseL19gebsrmvn_2xn_kernelILj128ELj1ELj4E21rocsparse_complex_numIdEEEvi20rocsparse_direction_NS_24const_host_device_scalarIT2_EEPKiS8_PKS5_SA_S6_PS5_21rocsparse_index_base_b
	.p2align	8
	.type	_ZN9rocsparseL19gebsrmvn_2xn_kernelILj128ELj1ELj4E21rocsparse_complex_numIdEEEvi20rocsparse_direction_NS_24const_host_device_scalarIT2_EEPKiS8_PKS5_SA_S6_PS5_21rocsparse_index_base_b,@function
_ZN9rocsparseL19gebsrmvn_2xn_kernelILj128ELj1ELj4E21rocsparse_complex_numIdEEEvi20rocsparse_direction_NS_24const_host_device_scalarIT2_EEPKiS8_PKS5_SA_S6_PS5_21rocsparse_index_base_b: ; @_ZN9rocsparseL19gebsrmvn_2xn_kernelILj128ELj1ELj4E21rocsparse_complex_numIdEEEvi20rocsparse_direction_NS_24const_host_device_scalarIT2_EEPKiS8_PKS5_SA_S6_PS5_21rocsparse_index_base_b
; %bb.0:
	s_load_dwordx2 s[16:17], s[2:3], 0x50
	s_load_dwordx4 s[12:15], s[2:3], 0x8
	s_load_dwordx4 s[8:11], s[2:3], 0x38
	s_load_dwordx2 s[18:19], s[0:1], 0x4
	s_mov_b64 s[6:7], src_shared_base
	s_waitcnt lgkmcnt(0)
	s_bitcmp1_b32 s17, 0
	s_cselect_b64 s[0:1], -1, 0
	s_and_b64 vcc, s[0:1], exec
	s_cselect_b32 s5, s7, s13
	s_lshr_b32 s6, s18, 16
	v_bfe_u32 v1, v0, 10, 10
	v_and_b32_e32 v10, 0x3ff, v0
	s_mul_i32 s6, s6, s19
	v_mul_u32_u24_e32 v1, s19, v1
	v_mad_u32_u24 v1, s6, v10, v1
	v_bfe_u32 v0, v0, 20, 10
	v_add_lshl_u32 v4, v1, v0, 3
	v_mov_b32_e32 v5, s12
	v_add_u32_e32 v6, 0x400, v4
	v_mov_b64_e32 v[0:1], s[12:13]
	v_mov_b64_e32 v[2:3], s[8:9]
	ds_write2st64_b64 v4, v[2:3], v[0:1] offset1:2
	v_cndmask_b32_e64 v0, v5, v6, s[0:1]
	v_mov_b32_e32 v1, s5
	flat_load_dwordx2 v[0:1], v[0:1]
	s_xor_b64 s[18:19], s[0:1], -1
	v_mov_b64_e32 v[2:3], s[14:15]
	s_cbranch_vccnz .LBB228_2
; %bb.1:
	v_mov_b64_e32 v[2:3], s[12:13]
	flat_load_dwordx2 v[2:3], v[2:3] offset:8
.LBB228_2:
	s_and_b64 s[12:13], s[0:1], exec
	s_cselect_b32 s5, s7, s9
	v_mov_b32_e32 v5, s8
	v_cndmask_b32_e64 v4, v5, v4, s[0:1]
	v_mov_b32_e32 v5, s5
	flat_load_dwordx2 v[4:5], v[4:5]
	s_andn2_b64 vcc, exec, s[18:19]
	v_mov_b64_e32 v[6:7], s[10:11]
	s_cbranch_vccnz .LBB228_4
; %bb.3:
	v_mov_b64_e32 v[6:7], s[8:9]
	flat_load_dwordx2 v[6:7], v[6:7] offset:8
.LBB228_4:
	s_waitcnt vmcnt(0) lgkmcnt(0)
	v_cmp_eq_f64_e32 vcc, 0, v[0:1]
	v_cmp_eq_f64_e64 s[0:1], 0, v[2:3]
	s_and_b64 s[8:9], vcc, s[0:1]
	s_mov_b64 s[0:1], -1
	s_and_saveexec_b64 s[6:7], s[8:9]
; %bb.5:
	v_cmp_neq_f64_e32 vcc, 1.0, v[4:5]
	v_cmp_neq_f64_e64 s[0:1], 0, v[6:7]
	s_or_b64 s[0:1], vcc, s[0:1]
	s_orn2_b64 s[0:1], s[0:1], exec
; %bb.6:
	s_or_b64 exec, exec, s[6:7]
	s_and_saveexec_b64 s[6:7], s[0:1]
	s_cbranch_execz .LBB228_25
; %bb.7:
	s_load_dwordx2 s[0:1], s[2:3], 0x0
	v_lshrrev_b32_e32 v8, 2, v10
	v_lshl_or_b32 v8, s4, 5, v8
	s_waitcnt lgkmcnt(0)
	v_cmp_gt_i32_e32 vcc, s0, v8
	s_and_b64 exec, exec, vcc
	s_cbranch_execz .LBB228_25
; %bb.8:
	s_load_dwordx8 s[4:11], s[2:3], 0x18
	v_ashrrev_i32_e32 v9, 31, v8
	s_cmp_lg_u32 s1, 0
	s_waitcnt lgkmcnt(0)
	v_lshl_add_u64 v[12:13], v[8:9], 2, s[4:5]
	global_load_dwordx2 v[12:13], v[12:13], off
	v_and_b32_e32 v9, 3, v10
	s_waitcnt vmcnt(0)
	v_subrev_u32_e32 v10, s16, v12
	v_subrev_u32_e32 v24, s16, v13
	v_add_u32_e32 v16, v10, v9
	v_cmp_lt_i32_e64 s[0:1], v16, v24
	s_cbranch_scc0 .LBB228_14
; %bb.9:
	v_mov_b64_e32 v[10:11], 0
	s_mov_b64 s[4:5], 0
	v_mov_b64_e32 v[18:19], v[10:11]
	v_mov_b64_e32 v[14:15], v[10:11]
	;; [unrolled: 1-line block ×3, first 2 shown]
	s_and_saveexec_b64 s[12:13], s[0:1]
	s_cbranch_execz .LBB228_13
; %bb.10:
	v_mov_b64_e32 v[10:11], 0
	v_lshlrev_b32_e32 v20, 1, v16
	s_mov_b64 s[14:15], 0
	v_mov_b32_e32 v21, 0
	v_mov_b32_e32 v22, v16
	v_mov_b64_e32 v[18:19], v[10:11]
	v_mov_b64_e32 v[14:15], v[10:11]
	;; [unrolled: 1-line block ×3, first 2 shown]
.LBB228_11:                             ; =>This Inner Loop Header: Depth=1
	v_ashrrev_i32_e32 v23, 31, v22
	v_lshl_add_u64 v[26:27], v[22:23], 2, s[6:7]
	global_load_dword v17, v[26:27], off
	v_lshl_add_u64 v[34:35], v[20:21], 4, s[8:9]
	v_mov_b32_e32 v37, v21
	global_load_dwordx4 v[26:29], v[34:35], off offset:16
	global_load_dwordx4 v[30:33], v[34:35], off
	v_add_u32_e32 v22, 4, v22
	v_cmp_ge_i32_e32 vcc, v22, v24
	v_add_u32_e32 v20, 8, v20
	s_or_b64 s[14:15], vcc, s[14:15]
	s_waitcnt vmcnt(2)
	v_subrev_u32_e32 v36, s16, v17
	v_lshl_add_u64 v[34:35], v[36:37], 4, s[10:11]
	global_load_dwordx4 v[34:37], v[34:35], off
	s_waitcnt vmcnt(0)
	v_fmac_f64_e32 v[18:19], v[30:31], v[34:35]
	v_fmac_f64_e32 v[10:11], v[32:33], v[34:35]
	;; [unrolled: 1-line block ×4, first 2 shown]
	v_fma_f64 v[18:19], -v[32:33], v[36:37], v[18:19]
	v_fmac_f64_e32 v[10:11], v[30:31], v[36:37]
	v_fma_f64 v[14:15], -v[28:29], v[36:37], v[14:15]
	v_fmac_f64_e32 v[12:13], v[26:27], v[36:37]
	s_andn2_b64 exec, exec, s[14:15]
	s_cbranch_execnz .LBB228_11
; %bb.12:
	s_or_b64 exec, exec, s[14:15]
.LBB228_13:
	s_or_b64 exec, exec, s[12:13]
	s_andn2_b64 vcc, exec, s[4:5]
	s_cbranch_vccz .LBB228_15
	s_branch .LBB228_20
.LBB228_14:
                                        ; implicit-def: $vgpr10_vgpr11
                                        ; implicit-def: $vgpr18_vgpr19
                                        ; implicit-def: $vgpr14_vgpr15
                                        ; implicit-def: $vgpr12_vgpr13
.LBB228_15:
	v_mov_b64_e32 v[10:11], 0
	v_mov_b64_e32 v[18:19], v[10:11]
	;; [unrolled: 1-line block ×4, first 2 shown]
	s_and_saveexec_b64 s[4:5], s[0:1]
	s_cbranch_execz .LBB228_19
; %bb.16:
	v_mov_b64_e32 v[10:11], 0
	v_lshlrev_b32_e32 v20, 1, v16
	s_mov_b64 s[0:1], 0
	v_mov_b32_e32 v21, 0
	v_mov_b64_e32 v[18:19], v[10:11]
	v_mov_b64_e32 v[14:15], v[10:11]
	;; [unrolled: 1-line block ×3, first 2 shown]
.LBB228_17:                             ; =>This Inner Loop Header: Depth=1
	v_ashrrev_i32_e32 v17, 31, v16
	v_lshl_add_u64 v[22:23], v[16:17], 2, s[6:7]
	global_load_dword v17, v[22:23], off
	v_lshl_add_u64 v[22:23], v[20:21], 4, s[8:9]
	v_mov_b32_e32 v35, v21
	global_load_dwordx4 v[26:29], v[22:23], off offset:16
	global_load_dwordx4 v[30:33], v[22:23], off
	v_add_u32_e32 v16, 4, v16
	v_cmp_ge_i32_e32 vcc, v16, v24
	v_add_u32_e32 v20, 8, v20
	s_or_b64 s[0:1], vcc, s[0:1]
	s_waitcnt vmcnt(2)
	v_subrev_u32_e32 v34, s16, v17
	v_lshl_add_u64 v[22:23], v[34:35], 4, s[10:11]
	global_load_dwordx4 v[34:37], v[22:23], off
	s_waitcnt vmcnt(0)
	v_fmac_f64_e32 v[18:19], v[30:31], v[34:35]
	v_fmac_f64_e32 v[10:11], v[32:33], v[34:35]
	;; [unrolled: 1-line block ×4, first 2 shown]
	v_fma_f64 v[18:19], -v[32:33], v[36:37], v[18:19]
	v_fmac_f64_e32 v[10:11], v[30:31], v[36:37]
	v_fma_f64 v[14:15], -v[28:29], v[36:37], v[14:15]
	v_fmac_f64_e32 v[12:13], v[26:27], v[36:37]
	s_andn2_b64 exec, exec, s[0:1]
	s_cbranch_execnz .LBB228_17
; %bb.18:
	s_or_b64 exec, exec, s[0:1]
.LBB228_19:
	s_or_b64 exec, exec, s[4:5]
.LBB228_20:
	v_mov_b32_dpp v22, v14 row_shr:1 row_mask:0xf bank_mask:0xf
	v_mov_b32_dpp v23, v15 row_shr:1 row_mask:0xf bank_mask:0xf
	;; [unrolled: 1-line block ×6, first 2 shown]
	v_add_f64 v[22:23], v[14:15], v[22:23]
	v_mov_b32_dpp v14, v12 row_shr:1 row_mask:0xf bank_mask:0xf
	v_mov_b32_dpp v15, v13 row_shr:1 row_mask:0xf bank_mask:0xf
	v_add_f64 v[16:17], v[18:19], v[16:17]
	v_add_f64 v[10:11], v[10:11], v[20:21]
	;; [unrolled: 1-line block ×3, first 2 shown]
	v_mov_b32_dpp v18, v16 row_shr:2 row_mask:0xf bank_mask:0xf
	v_mov_b32_dpp v19, v17 row_shr:2 row_mask:0xf bank_mask:0xf
	v_mov_b32_dpp v20, v10 row_shr:2 row_mask:0xf bank_mask:0xf
	v_mov_b32_dpp v21, v11 row_shr:2 row_mask:0xf bank_mask:0xf
	v_mov_b32_dpp v24, v22 row_shr:2 row_mask:0xf bank_mask:0xf
	v_mov_b32_dpp v25, v23 row_shr:2 row_mask:0xf bank_mask:0xf
	v_mov_b32_dpp v26, v12 row_shr:2 row_mask:0xf bank_mask:0xf
	v_mov_b32_dpp v27, v13 row_shr:2 row_mask:0xf bank_mask:0xf
	v_cmp_eq_u32_e32 vcc, 3, v9
	s_and_b64 exec, exec, vcc
	s_cbranch_execz .LBB228_25
; %bb.21:
	s_load_dwordx2 s[2:3], s[2:3], 0x48
	v_cmp_eq_f64_e32 vcc, 0, v[4:5]
	v_cmp_eq_f64_e64 s[0:1], 0, v[6:7]
	v_add_f64 v[14:15], v[16:17], v[18:19]
	v_add_f64 v[16:17], v[10:11], v[20:21]
	;; [unrolled: 1-line block ×4, first 2 shown]
	s_and_b64 s[0:1], vcc, s[0:1]
	s_and_saveexec_b64 s[4:5], s[0:1]
	s_xor_b64 s[0:1], exec, s[4:5]
	s_cbranch_execz .LBB228_23
; %bb.22:
	v_lshlrev_b32_e32 v8, 1, v8
	v_mul_f64 v[4:5], v[16:17], -v[2:3]
	v_mul_f64 v[6:7], v[0:1], v[16:17]
	v_ashrrev_i32_e32 v9, 31, v8
	v_fmac_f64_e32 v[4:5], v[0:1], v[14:15]
	v_fmac_f64_e32 v[6:7], v[2:3], v[14:15]
	s_waitcnt lgkmcnt(0)
	v_lshl_add_u64 v[8:9], v[8:9], 4, s[2:3]
	global_store_dwordx4 v[8:9], v[4:7], off
                                        ; implicit-def: $vgpr14_vgpr15
                                        ; implicit-def: $vgpr16_vgpr17
	s_nop 1
	v_mul_f64 v[4:5], v[12:13], -v[2:3]
	v_mul_f64 v[6:7], v[0:1], v[12:13]
	v_fmac_f64_e32 v[4:5], v[0:1], v[10:11]
	v_fmac_f64_e32 v[6:7], v[2:3], v[10:11]
	global_store_dwordx4 v[8:9], v[4:7], off offset:16
                                        ; implicit-def: $vgpr0_vgpr1
                                        ; implicit-def: $vgpr2_vgpr3
                                        ; implicit-def: $vgpr4_vgpr5
                                        ; implicit-def: $vgpr6_vgpr7
                                        ; implicit-def: $vgpr8
                                        ; implicit-def: $vgpr10_vgpr11
                                        ; implicit-def: $vgpr12_vgpr13
.LBB228_23:
	s_andn2_saveexec_b64 s[0:1], s[0:1]
	s_cbranch_execz .LBB228_25
; %bb.24:
	v_lshlrev_b32_e32 v8, 1, v8
	v_ashrrev_i32_e32 v9, 31, v8
	s_waitcnt lgkmcnt(0)
	v_lshl_add_u64 v[26:27], v[8:9], 4, s[2:3]
	global_load_dwordx4 v[18:21], v[26:27], off
	global_load_dwordx4 v[22:25], v[26:27], off offset:16
	v_mul_f64 v[28:29], v[16:17], -v[2:3]
	v_mul_f64 v[16:17], v[0:1], v[16:17]
	v_mul_f64 v[30:31], v[12:13], -v[2:3]
	v_mul_f64 v[8:9], v[0:1], v[12:13]
	v_fmac_f64_e32 v[28:29], v[0:1], v[14:15]
	v_fmac_f64_e32 v[16:17], v[2:3], v[14:15]
	v_fmac_f64_e32 v[30:31], v[0:1], v[10:11]
	v_fmac_f64_e32 v[8:9], v[2:3], v[10:11]
	s_waitcnt vmcnt(1)
	v_fmac_f64_e32 v[28:29], v[4:5], v[18:19]
	v_fmac_f64_e32 v[16:17], v[6:7], v[18:19]
	s_waitcnt vmcnt(0)
	v_fmac_f64_e32 v[30:31], v[4:5], v[22:23]
	v_fmac_f64_e32 v[8:9], v[6:7], v[22:23]
	v_fma_f64 v[14:15], -v[6:7], v[20:21], v[28:29]
	v_fmac_f64_e32 v[16:17], v[4:5], v[20:21]
	v_fma_f64 v[6:7], -v[6:7], v[24:25], v[30:31]
	v_fmac_f64_e32 v[8:9], v[4:5], v[24:25]
	global_store_dwordx4 v[26:27], v[14:17], off
	global_store_dwordx4 v[26:27], v[6:9], off offset:16
.LBB228_25:
	s_endpgm
	.section	.rodata,"a",@progbits
	.p2align	6, 0x0
	.amdhsa_kernel _ZN9rocsparseL19gebsrmvn_2xn_kernelILj128ELj1ELj4E21rocsparse_complex_numIdEEEvi20rocsparse_direction_NS_24const_host_device_scalarIT2_EEPKiS8_PKS5_SA_S6_PS5_21rocsparse_index_base_b
		.amdhsa_group_segment_fixed_size 2048
		.amdhsa_private_segment_fixed_size 0
		.amdhsa_kernarg_size 88
		.amdhsa_user_sgpr_count 4
		.amdhsa_user_sgpr_dispatch_ptr 1
		.amdhsa_user_sgpr_queue_ptr 0
		.amdhsa_user_sgpr_kernarg_segment_ptr 1
		.amdhsa_user_sgpr_dispatch_id 0
		.amdhsa_user_sgpr_kernarg_preload_length 0
		.amdhsa_user_sgpr_kernarg_preload_offset 0
		.amdhsa_user_sgpr_private_segment_size 0
		.amdhsa_uses_dynamic_stack 0
		.amdhsa_enable_private_segment 0
		.amdhsa_system_sgpr_workgroup_id_x 1
		.amdhsa_system_sgpr_workgroup_id_y 0
		.amdhsa_system_sgpr_workgroup_id_z 0
		.amdhsa_system_sgpr_workgroup_info 0
		.amdhsa_system_vgpr_workitem_id 2
		.amdhsa_next_free_vgpr 38
		.amdhsa_next_free_sgpr 20
		.amdhsa_accum_offset 40
		.amdhsa_reserve_vcc 1
		.amdhsa_float_round_mode_32 0
		.amdhsa_float_round_mode_16_64 0
		.amdhsa_float_denorm_mode_32 3
		.amdhsa_float_denorm_mode_16_64 3
		.amdhsa_dx10_clamp 1
		.amdhsa_ieee_mode 1
		.amdhsa_fp16_overflow 0
		.amdhsa_tg_split 0
		.amdhsa_exception_fp_ieee_invalid_op 0
		.amdhsa_exception_fp_denorm_src 0
		.amdhsa_exception_fp_ieee_div_zero 0
		.amdhsa_exception_fp_ieee_overflow 0
		.amdhsa_exception_fp_ieee_underflow 0
		.amdhsa_exception_fp_ieee_inexact 0
		.amdhsa_exception_int_div_zero 0
	.end_amdhsa_kernel
	.section	.text._ZN9rocsparseL19gebsrmvn_2xn_kernelILj128ELj1ELj4E21rocsparse_complex_numIdEEEvi20rocsparse_direction_NS_24const_host_device_scalarIT2_EEPKiS8_PKS5_SA_S6_PS5_21rocsparse_index_base_b,"axG",@progbits,_ZN9rocsparseL19gebsrmvn_2xn_kernelILj128ELj1ELj4E21rocsparse_complex_numIdEEEvi20rocsparse_direction_NS_24const_host_device_scalarIT2_EEPKiS8_PKS5_SA_S6_PS5_21rocsparse_index_base_b,comdat
.Lfunc_end228:
	.size	_ZN9rocsparseL19gebsrmvn_2xn_kernelILj128ELj1ELj4E21rocsparse_complex_numIdEEEvi20rocsparse_direction_NS_24const_host_device_scalarIT2_EEPKiS8_PKS5_SA_S6_PS5_21rocsparse_index_base_b, .Lfunc_end228-_ZN9rocsparseL19gebsrmvn_2xn_kernelILj128ELj1ELj4E21rocsparse_complex_numIdEEEvi20rocsparse_direction_NS_24const_host_device_scalarIT2_EEPKiS8_PKS5_SA_S6_PS5_21rocsparse_index_base_b
                                        ; -- End function
	.section	.AMDGPU.csdata,"",@progbits
; Kernel info:
; codeLenInByte = 1308
; NumSgprs: 26
; NumVgprs: 38
; NumAgprs: 0
; TotalNumVgprs: 38
; ScratchSize: 0
; MemoryBound: 0
; FloatMode: 240
; IeeeMode: 1
; LDSByteSize: 2048 bytes/workgroup (compile time only)
; SGPRBlocks: 3
; VGPRBlocks: 4
; NumSGPRsForWavesPerEU: 26
; NumVGPRsForWavesPerEU: 38
; AccumOffset: 40
; Occupancy: 8
; WaveLimiterHint : 1
; COMPUTE_PGM_RSRC2:SCRATCH_EN: 0
; COMPUTE_PGM_RSRC2:USER_SGPR: 4
; COMPUTE_PGM_RSRC2:TRAP_HANDLER: 0
; COMPUTE_PGM_RSRC2:TGID_X_EN: 1
; COMPUTE_PGM_RSRC2:TGID_Y_EN: 0
; COMPUTE_PGM_RSRC2:TGID_Z_EN: 0
; COMPUTE_PGM_RSRC2:TIDIG_COMP_CNT: 2
; COMPUTE_PGM_RSRC3_GFX90A:ACCUM_OFFSET: 9
; COMPUTE_PGM_RSRC3_GFX90A:TG_SPLIT: 0
	.section	.text._ZN9rocsparseL19gebsrmvn_2xn_kernelILj128ELj1ELj8E21rocsparse_complex_numIdEEEvi20rocsparse_direction_NS_24const_host_device_scalarIT2_EEPKiS8_PKS5_SA_S6_PS5_21rocsparse_index_base_b,"axG",@progbits,_ZN9rocsparseL19gebsrmvn_2xn_kernelILj128ELj1ELj8E21rocsparse_complex_numIdEEEvi20rocsparse_direction_NS_24const_host_device_scalarIT2_EEPKiS8_PKS5_SA_S6_PS5_21rocsparse_index_base_b,comdat
	.globl	_ZN9rocsparseL19gebsrmvn_2xn_kernelILj128ELj1ELj8E21rocsparse_complex_numIdEEEvi20rocsparse_direction_NS_24const_host_device_scalarIT2_EEPKiS8_PKS5_SA_S6_PS5_21rocsparse_index_base_b ; -- Begin function _ZN9rocsparseL19gebsrmvn_2xn_kernelILj128ELj1ELj8E21rocsparse_complex_numIdEEEvi20rocsparse_direction_NS_24const_host_device_scalarIT2_EEPKiS8_PKS5_SA_S6_PS5_21rocsparse_index_base_b
	.p2align	8
	.type	_ZN9rocsparseL19gebsrmvn_2xn_kernelILj128ELj1ELj8E21rocsparse_complex_numIdEEEvi20rocsparse_direction_NS_24const_host_device_scalarIT2_EEPKiS8_PKS5_SA_S6_PS5_21rocsparse_index_base_b,@function
_ZN9rocsparseL19gebsrmvn_2xn_kernelILj128ELj1ELj8E21rocsparse_complex_numIdEEEvi20rocsparse_direction_NS_24const_host_device_scalarIT2_EEPKiS8_PKS5_SA_S6_PS5_21rocsparse_index_base_b: ; @_ZN9rocsparseL19gebsrmvn_2xn_kernelILj128ELj1ELj8E21rocsparse_complex_numIdEEEvi20rocsparse_direction_NS_24const_host_device_scalarIT2_EEPKiS8_PKS5_SA_S6_PS5_21rocsparse_index_base_b
; %bb.0:
	s_load_dwordx2 s[16:17], s[2:3], 0x50
	s_load_dwordx4 s[12:15], s[2:3], 0x8
	s_load_dwordx4 s[8:11], s[2:3], 0x38
	s_load_dwordx2 s[18:19], s[0:1], 0x4
	s_mov_b64 s[6:7], src_shared_base
	s_waitcnt lgkmcnt(0)
	s_bitcmp1_b32 s17, 0
	s_cselect_b64 s[0:1], -1, 0
	s_and_b64 vcc, s[0:1], exec
	s_cselect_b32 s5, s7, s13
	s_lshr_b32 s6, s18, 16
	v_bfe_u32 v1, v0, 10, 10
	v_and_b32_e32 v10, 0x3ff, v0
	s_mul_i32 s6, s6, s19
	v_mul_u32_u24_e32 v1, s19, v1
	v_mad_u32_u24 v1, s6, v10, v1
	v_bfe_u32 v0, v0, 20, 10
	v_add_lshl_u32 v4, v1, v0, 3
	v_mov_b32_e32 v5, s12
	v_add_u32_e32 v6, 0x400, v4
	v_mov_b64_e32 v[0:1], s[12:13]
	v_mov_b64_e32 v[2:3], s[8:9]
	ds_write2st64_b64 v4, v[2:3], v[0:1] offset1:2
	v_cndmask_b32_e64 v0, v5, v6, s[0:1]
	v_mov_b32_e32 v1, s5
	flat_load_dwordx2 v[0:1], v[0:1]
	s_xor_b64 s[18:19], s[0:1], -1
	v_mov_b64_e32 v[2:3], s[14:15]
	s_cbranch_vccnz .LBB229_2
; %bb.1:
	v_mov_b64_e32 v[2:3], s[12:13]
	flat_load_dwordx2 v[2:3], v[2:3] offset:8
.LBB229_2:
	s_and_b64 s[12:13], s[0:1], exec
	s_cselect_b32 s5, s7, s9
	v_mov_b32_e32 v5, s8
	v_cndmask_b32_e64 v4, v5, v4, s[0:1]
	v_mov_b32_e32 v5, s5
	flat_load_dwordx2 v[4:5], v[4:5]
	s_andn2_b64 vcc, exec, s[18:19]
	v_mov_b64_e32 v[6:7], s[10:11]
	s_cbranch_vccnz .LBB229_4
; %bb.3:
	v_mov_b64_e32 v[6:7], s[8:9]
	flat_load_dwordx2 v[6:7], v[6:7] offset:8
.LBB229_4:
	s_waitcnt vmcnt(0) lgkmcnt(0)
	v_cmp_eq_f64_e32 vcc, 0, v[0:1]
	v_cmp_eq_f64_e64 s[0:1], 0, v[2:3]
	s_and_b64 s[8:9], vcc, s[0:1]
	s_mov_b64 s[0:1], -1
	s_and_saveexec_b64 s[6:7], s[8:9]
; %bb.5:
	v_cmp_neq_f64_e32 vcc, 1.0, v[4:5]
	v_cmp_neq_f64_e64 s[0:1], 0, v[6:7]
	s_or_b64 s[0:1], vcc, s[0:1]
	s_orn2_b64 s[0:1], s[0:1], exec
; %bb.6:
	s_or_b64 exec, exec, s[6:7]
	s_and_saveexec_b64 s[6:7], s[0:1]
	s_cbranch_execz .LBB229_25
; %bb.7:
	s_load_dwordx2 s[0:1], s[2:3], 0x0
	v_lshrrev_b32_e32 v8, 3, v10
	v_lshl_or_b32 v8, s4, 4, v8
	s_waitcnt lgkmcnt(0)
	v_cmp_gt_i32_e32 vcc, s0, v8
	s_and_b64 exec, exec, vcc
	s_cbranch_execz .LBB229_25
; %bb.8:
	s_load_dwordx8 s[4:11], s[2:3], 0x18
	v_ashrrev_i32_e32 v9, 31, v8
	s_cmp_lg_u32 s1, 0
	s_waitcnt lgkmcnt(0)
	v_lshl_add_u64 v[12:13], v[8:9], 2, s[4:5]
	global_load_dwordx2 v[12:13], v[12:13], off
	v_and_b32_e32 v9, 7, v10
	s_waitcnt vmcnt(0)
	v_subrev_u32_e32 v10, s16, v12
	v_subrev_u32_e32 v24, s16, v13
	v_add_u32_e32 v16, v10, v9
	v_cmp_lt_i32_e64 s[0:1], v16, v24
	s_cbranch_scc0 .LBB229_14
; %bb.9:
	v_mov_b64_e32 v[10:11], 0
	s_mov_b64 s[4:5], 0
	v_mov_b64_e32 v[18:19], v[10:11]
	v_mov_b64_e32 v[14:15], v[10:11]
	;; [unrolled: 1-line block ×3, first 2 shown]
	s_and_saveexec_b64 s[12:13], s[0:1]
	s_cbranch_execz .LBB229_13
; %bb.10:
	v_mov_b64_e32 v[10:11], 0
	v_lshlrev_b32_e32 v20, 1, v16
	s_mov_b64 s[14:15], 0
	v_mov_b32_e32 v21, 0
	v_mov_b32_e32 v22, v16
	v_mov_b64_e32 v[18:19], v[10:11]
	v_mov_b64_e32 v[14:15], v[10:11]
	;; [unrolled: 1-line block ×3, first 2 shown]
.LBB229_11:                             ; =>This Inner Loop Header: Depth=1
	v_ashrrev_i32_e32 v23, 31, v22
	v_lshl_add_u64 v[26:27], v[22:23], 2, s[6:7]
	global_load_dword v17, v[26:27], off
	v_lshl_add_u64 v[34:35], v[20:21], 4, s[8:9]
	v_mov_b32_e32 v37, v21
	global_load_dwordx4 v[26:29], v[34:35], off offset:16
	global_load_dwordx4 v[30:33], v[34:35], off
	v_add_u32_e32 v22, 8, v22
	v_cmp_ge_i32_e32 vcc, v22, v24
	v_add_u32_e32 v20, 16, v20
	s_or_b64 s[14:15], vcc, s[14:15]
	s_waitcnt vmcnt(2)
	v_subrev_u32_e32 v36, s16, v17
	v_lshl_add_u64 v[34:35], v[36:37], 4, s[10:11]
	global_load_dwordx4 v[34:37], v[34:35], off
	s_waitcnt vmcnt(0)
	v_fmac_f64_e32 v[18:19], v[30:31], v[34:35]
	v_fmac_f64_e32 v[10:11], v[32:33], v[34:35]
	;; [unrolled: 1-line block ×4, first 2 shown]
	v_fma_f64 v[18:19], -v[32:33], v[36:37], v[18:19]
	v_fmac_f64_e32 v[10:11], v[30:31], v[36:37]
	v_fma_f64 v[14:15], -v[28:29], v[36:37], v[14:15]
	v_fmac_f64_e32 v[12:13], v[26:27], v[36:37]
	s_andn2_b64 exec, exec, s[14:15]
	s_cbranch_execnz .LBB229_11
; %bb.12:
	s_or_b64 exec, exec, s[14:15]
.LBB229_13:
	s_or_b64 exec, exec, s[12:13]
	s_andn2_b64 vcc, exec, s[4:5]
	s_cbranch_vccz .LBB229_15
	s_branch .LBB229_20
.LBB229_14:
                                        ; implicit-def: $vgpr10_vgpr11
                                        ; implicit-def: $vgpr18_vgpr19
                                        ; implicit-def: $vgpr14_vgpr15
                                        ; implicit-def: $vgpr12_vgpr13
.LBB229_15:
	v_mov_b64_e32 v[10:11], 0
	v_mov_b64_e32 v[18:19], v[10:11]
	v_mov_b64_e32 v[14:15], v[10:11]
	v_mov_b64_e32 v[12:13], v[10:11]
	s_and_saveexec_b64 s[4:5], s[0:1]
	s_cbranch_execz .LBB229_19
; %bb.16:
	v_mov_b64_e32 v[10:11], 0
	v_lshlrev_b32_e32 v20, 1, v16
	s_mov_b64 s[0:1], 0
	v_mov_b32_e32 v21, 0
	v_mov_b64_e32 v[18:19], v[10:11]
	v_mov_b64_e32 v[14:15], v[10:11]
	;; [unrolled: 1-line block ×3, first 2 shown]
.LBB229_17:                             ; =>This Inner Loop Header: Depth=1
	v_ashrrev_i32_e32 v17, 31, v16
	v_lshl_add_u64 v[22:23], v[16:17], 2, s[6:7]
	global_load_dword v17, v[22:23], off
	v_lshl_add_u64 v[22:23], v[20:21], 4, s[8:9]
	v_mov_b32_e32 v35, v21
	global_load_dwordx4 v[26:29], v[22:23], off offset:16
	global_load_dwordx4 v[30:33], v[22:23], off
	v_add_u32_e32 v16, 8, v16
	v_cmp_ge_i32_e32 vcc, v16, v24
	v_add_u32_e32 v20, 16, v20
	s_or_b64 s[0:1], vcc, s[0:1]
	s_waitcnt vmcnt(2)
	v_subrev_u32_e32 v34, s16, v17
	v_lshl_add_u64 v[22:23], v[34:35], 4, s[10:11]
	global_load_dwordx4 v[34:37], v[22:23], off
	s_waitcnt vmcnt(0)
	v_fmac_f64_e32 v[18:19], v[30:31], v[34:35]
	v_fmac_f64_e32 v[10:11], v[32:33], v[34:35]
	;; [unrolled: 1-line block ×4, first 2 shown]
	v_fma_f64 v[18:19], -v[32:33], v[36:37], v[18:19]
	v_fmac_f64_e32 v[10:11], v[30:31], v[36:37]
	v_fma_f64 v[14:15], -v[28:29], v[36:37], v[14:15]
	v_fmac_f64_e32 v[12:13], v[26:27], v[36:37]
	s_andn2_b64 exec, exec, s[0:1]
	s_cbranch_execnz .LBB229_17
; %bb.18:
	s_or_b64 exec, exec, s[0:1]
.LBB229_19:
	s_or_b64 exec, exec, s[4:5]
.LBB229_20:
	v_mov_b32_dpp v22, v14 row_shr:1 row_mask:0xf bank_mask:0xf
	v_mov_b32_dpp v23, v15 row_shr:1 row_mask:0xf bank_mask:0xf
	v_add_f64 v[14:15], v[14:15], v[22:23]
	v_mov_b32_dpp v16, v18 row_shr:1 row_mask:0xf bank_mask:0xf
	v_mov_b32_dpp v17, v19 row_shr:1 row_mask:0xf bank_mask:0xf
	;; [unrolled: 1-line block ×6, first 2 shown]
	v_add_f64 v[22:23], v[14:15], v[22:23]
	v_mov_b32_dpp v14, v12 row_shr:1 row_mask:0xf bank_mask:0xf
	v_mov_b32_dpp v15, v13 row_shr:1 row_mask:0xf bank_mask:0xf
	v_add_f64 v[16:17], v[18:19], v[16:17]
	v_add_f64 v[10:11], v[10:11], v[20:21]
	;; [unrolled: 1-line block ×3, first 2 shown]
	v_mov_b32_dpp v18, v16 row_shr:2 row_mask:0xf bank_mask:0xf
	v_mov_b32_dpp v19, v17 row_shr:2 row_mask:0xf bank_mask:0xf
	;; [unrolled: 1-line block ×6, first 2 shown]
	v_add_f64 v[16:17], v[16:17], v[18:19]
	v_add_f64 v[10:11], v[10:11], v[20:21]
	;; [unrolled: 1-line block ×3, first 2 shown]
	v_mov_b32_dpp v18, v16 row_shr:4 row_mask:0xf bank_mask:0xe
	v_mov_b32_dpp v19, v17 row_shr:4 row_mask:0xf bank_mask:0xe
	;; [unrolled: 1-line block ×8, first 2 shown]
	v_cmp_eq_u32_e32 vcc, 7, v9
	s_and_b64 exec, exec, vcc
	s_cbranch_execz .LBB229_25
; %bb.21:
	s_load_dwordx2 s[2:3], s[2:3], 0x48
	v_cmp_eq_f64_e32 vcc, 0, v[4:5]
	v_cmp_eq_f64_e64 s[0:1], 0, v[6:7]
	v_add_f64 v[14:15], v[16:17], v[18:19]
	v_add_f64 v[16:17], v[10:11], v[20:21]
	;; [unrolled: 1-line block ×4, first 2 shown]
	s_and_b64 s[0:1], vcc, s[0:1]
	s_and_saveexec_b64 s[4:5], s[0:1]
	s_xor_b64 s[0:1], exec, s[4:5]
	s_cbranch_execz .LBB229_23
; %bb.22:
	v_lshlrev_b32_e32 v8, 1, v8
	v_mul_f64 v[4:5], v[16:17], -v[2:3]
	v_mul_f64 v[6:7], v[0:1], v[16:17]
	v_ashrrev_i32_e32 v9, 31, v8
	v_fmac_f64_e32 v[4:5], v[0:1], v[14:15]
	v_fmac_f64_e32 v[6:7], v[2:3], v[14:15]
	s_waitcnt lgkmcnt(0)
	v_lshl_add_u64 v[8:9], v[8:9], 4, s[2:3]
	global_store_dwordx4 v[8:9], v[4:7], off
                                        ; implicit-def: $vgpr14_vgpr15
                                        ; implicit-def: $vgpr16_vgpr17
	s_nop 1
	v_mul_f64 v[4:5], v[12:13], -v[2:3]
	v_mul_f64 v[6:7], v[0:1], v[12:13]
	v_fmac_f64_e32 v[4:5], v[0:1], v[10:11]
	v_fmac_f64_e32 v[6:7], v[2:3], v[10:11]
	global_store_dwordx4 v[8:9], v[4:7], off offset:16
                                        ; implicit-def: $vgpr0_vgpr1
                                        ; implicit-def: $vgpr2_vgpr3
                                        ; implicit-def: $vgpr4_vgpr5
                                        ; implicit-def: $vgpr6_vgpr7
                                        ; implicit-def: $vgpr8
                                        ; implicit-def: $vgpr10_vgpr11
                                        ; implicit-def: $vgpr12_vgpr13
.LBB229_23:
	s_andn2_saveexec_b64 s[0:1], s[0:1]
	s_cbranch_execz .LBB229_25
; %bb.24:
	v_lshlrev_b32_e32 v8, 1, v8
	v_ashrrev_i32_e32 v9, 31, v8
	s_waitcnt lgkmcnt(0)
	v_lshl_add_u64 v[26:27], v[8:9], 4, s[2:3]
	global_load_dwordx4 v[18:21], v[26:27], off
	global_load_dwordx4 v[22:25], v[26:27], off offset:16
	v_mul_f64 v[28:29], v[16:17], -v[2:3]
	v_mul_f64 v[16:17], v[0:1], v[16:17]
	v_mul_f64 v[30:31], v[12:13], -v[2:3]
	v_mul_f64 v[8:9], v[0:1], v[12:13]
	v_fmac_f64_e32 v[28:29], v[0:1], v[14:15]
	v_fmac_f64_e32 v[16:17], v[2:3], v[14:15]
	;; [unrolled: 1-line block ×4, first 2 shown]
	s_waitcnt vmcnt(1)
	v_fmac_f64_e32 v[28:29], v[4:5], v[18:19]
	v_fmac_f64_e32 v[16:17], v[6:7], v[18:19]
	s_waitcnt vmcnt(0)
	v_fmac_f64_e32 v[30:31], v[4:5], v[22:23]
	v_fmac_f64_e32 v[8:9], v[6:7], v[22:23]
	v_fma_f64 v[14:15], -v[6:7], v[20:21], v[28:29]
	v_fmac_f64_e32 v[16:17], v[4:5], v[20:21]
	v_fma_f64 v[6:7], -v[6:7], v[24:25], v[30:31]
	v_fmac_f64_e32 v[8:9], v[4:5], v[24:25]
	global_store_dwordx4 v[26:27], v[14:17], off
	global_store_dwordx4 v[26:27], v[6:9], off offset:16
.LBB229_25:
	s_endpgm
	.section	.rodata,"a",@progbits
	.p2align	6, 0x0
	.amdhsa_kernel _ZN9rocsparseL19gebsrmvn_2xn_kernelILj128ELj1ELj8E21rocsparse_complex_numIdEEEvi20rocsparse_direction_NS_24const_host_device_scalarIT2_EEPKiS8_PKS5_SA_S6_PS5_21rocsparse_index_base_b
		.amdhsa_group_segment_fixed_size 2048
		.amdhsa_private_segment_fixed_size 0
		.amdhsa_kernarg_size 88
		.amdhsa_user_sgpr_count 4
		.amdhsa_user_sgpr_dispatch_ptr 1
		.amdhsa_user_sgpr_queue_ptr 0
		.amdhsa_user_sgpr_kernarg_segment_ptr 1
		.amdhsa_user_sgpr_dispatch_id 0
		.amdhsa_user_sgpr_kernarg_preload_length 0
		.amdhsa_user_sgpr_kernarg_preload_offset 0
		.amdhsa_user_sgpr_private_segment_size 0
		.amdhsa_uses_dynamic_stack 0
		.amdhsa_enable_private_segment 0
		.amdhsa_system_sgpr_workgroup_id_x 1
		.amdhsa_system_sgpr_workgroup_id_y 0
		.amdhsa_system_sgpr_workgroup_id_z 0
		.amdhsa_system_sgpr_workgroup_info 0
		.amdhsa_system_vgpr_workitem_id 2
		.amdhsa_next_free_vgpr 38
		.amdhsa_next_free_sgpr 20
		.amdhsa_accum_offset 40
		.amdhsa_reserve_vcc 1
		.amdhsa_float_round_mode_32 0
		.amdhsa_float_round_mode_16_64 0
		.amdhsa_float_denorm_mode_32 3
		.amdhsa_float_denorm_mode_16_64 3
		.amdhsa_dx10_clamp 1
		.amdhsa_ieee_mode 1
		.amdhsa_fp16_overflow 0
		.amdhsa_tg_split 0
		.amdhsa_exception_fp_ieee_invalid_op 0
		.amdhsa_exception_fp_denorm_src 0
		.amdhsa_exception_fp_ieee_div_zero 0
		.amdhsa_exception_fp_ieee_overflow 0
		.amdhsa_exception_fp_ieee_underflow 0
		.amdhsa_exception_fp_ieee_inexact 0
		.amdhsa_exception_int_div_zero 0
	.end_amdhsa_kernel
	.section	.text._ZN9rocsparseL19gebsrmvn_2xn_kernelILj128ELj1ELj8E21rocsparse_complex_numIdEEEvi20rocsparse_direction_NS_24const_host_device_scalarIT2_EEPKiS8_PKS5_SA_S6_PS5_21rocsparse_index_base_b,"axG",@progbits,_ZN9rocsparseL19gebsrmvn_2xn_kernelILj128ELj1ELj8E21rocsparse_complex_numIdEEEvi20rocsparse_direction_NS_24const_host_device_scalarIT2_EEPKiS8_PKS5_SA_S6_PS5_21rocsparse_index_base_b,comdat
.Lfunc_end229:
	.size	_ZN9rocsparseL19gebsrmvn_2xn_kernelILj128ELj1ELj8E21rocsparse_complex_numIdEEEvi20rocsparse_direction_NS_24const_host_device_scalarIT2_EEPKiS8_PKS5_SA_S6_PS5_21rocsparse_index_base_b, .Lfunc_end229-_ZN9rocsparseL19gebsrmvn_2xn_kernelILj128ELj1ELj8E21rocsparse_complex_numIdEEEvi20rocsparse_direction_NS_24const_host_device_scalarIT2_EEPKiS8_PKS5_SA_S6_PS5_21rocsparse_index_base_b
                                        ; -- End function
	.section	.AMDGPU.csdata,"",@progbits
; Kernel info:
; codeLenInByte = 1404
; NumSgprs: 26
; NumVgprs: 38
; NumAgprs: 0
; TotalNumVgprs: 38
; ScratchSize: 0
; MemoryBound: 0
; FloatMode: 240
; IeeeMode: 1
; LDSByteSize: 2048 bytes/workgroup (compile time only)
; SGPRBlocks: 3
; VGPRBlocks: 4
; NumSGPRsForWavesPerEU: 26
; NumVGPRsForWavesPerEU: 38
; AccumOffset: 40
; Occupancy: 8
; WaveLimiterHint : 1
; COMPUTE_PGM_RSRC2:SCRATCH_EN: 0
; COMPUTE_PGM_RSRC2:USER_SGPR: 4
; COMPUTE_PGM_RSRC2:TRAP_HANDLER: 0
; COMPUTE_PGM_RSRC2:TGID_X_EN: 1
; COMPUTE_PGM_RSRC2:TGID_Y_EN: 0
; COMPUTE_PGM_RSRC2:TGID_Z_EN: 0
; COMPUTE_PGM_RSRC2:TIDIG_COMP_CNT: 2
; COMPUTE_PGM_RSRC3_GFX90A:ACCUM_OFFSET: 9
; COMPUTE_PGM_RSRC3_GFX90A:TG_SPLIT: 0
	.section	.text._ZN9rocsparseL19gebsrmvn_2xn_kernelILj128ELj1ELj16E21rocsparse_complex_numIdEEEvi20rocsparse_direction_NS_24const_host_device_scalarIT2_EEPKiS8_PKS5_SA_S6_PS5_21rocsparse_index_base_b,"axG",@progbits,_ZN9rocsparseL19gebsrmvn_2xn_kernelILj128ELj1ELj16E21rocsparse_complex_numIdEEEvi20rocsparse_direction_NS_24const_host_device_scalarIT2_EEPKiS8_PKS5_SA_S6_PS5_21rocsparse_index_base_b,comdat
	.globl	_ZN9rocsparseL19gebsrmvn_2xn_kernelILj128ELj1ELj16E21rocsparse_complex_numIdEEEvi20rocsparse_direction_NS_24const_host_device_scalarIT2_EEPKiS8_PKS5_SA_S6_PS5_21rocsparse_index_base_b ; -- Begin function _ZN9rocsparseL19gebsrmvn_2xn_kernelILj128ELj1ELj16E21rocsparse_complex_numIdEEEvi20rocsparse_direction_NS_24const_host_device_scalarIT2_EEPKiS8_PKS5_SA_S6_PS5_21rocsparse_index_base_b
	.p2align	8
	.type	_ZN9rocsparseL19gebsrmvn_2xn_kernelILj128ELj1ELj16E21rocsparse_complex_numIdEEEvi20rocsparse_direction_NS_24const_host_device_scalarIT2_EEPKiS8_PKS5_SA_S6_PS5_21rocsparse_index_base_b,@function
_ZN9rocsparseL19gebsrmvn_2xn_kernelILj128ELj1ELj16E21rocsparse_complex_numIdEEEvi20rocsparse_direction_NS_24const_host_device_scalarIT2_EEPKiS8_PKS5_SA_S6_PS5_21rocsparse_index_base_b: ; @_ZN9rocsparseL19gebsrmvn_2xn_kernelILj128ELj1ELj16E21rocsparse_complex_numIdEEEvi20rocsparse_direction_NS_24const_host_device_scalarIT2_EEPKiS8_PKS5_SA_S6_PS5_21rocsparse_index_base_b
; %bb.0:
	s_load_dwordx2 s[16:17], s[2:3], 0x50
	s_load_dwordx4 s[12:15], s[2:3], 0x8
	s_load_dwordx4 s[8:11], s[2:3], 0x38
	s_load_dwordx2 s[18:19], s[0:1], 0x4
	s_mov_b64 s[6:7], src_shared_base
	s_waitcnt lgkmcnt(0)
	s_bitcmp1_b32 s17, 0
	s_cselect_b64 s[0:1], -1, 0
	s_and_b64 vcc, s[0:1], exec
	s_cselect_b32 s5, s7, s13
	s_lshr_b32 s6, s18, 16
	v_bfe_u32 v1, v0, 10, 10
	v_and_b32_e32 v10, 0x3ff, v0
	s_mul_i32 s6, s6, s19
	v_mul_u32_u24_e32 v1, s19, v1
	v_mad_u32_u24 v1, s6, v10, v1
	v_bfe_u32 v0, v0, 20, 10
	v_add_lshl_u32 v4, v1, v0, 3
	v_mov_b32_e32 v5, s12
	v_add_u32_e32 v6, 0x400, v4
	v_mov_b64_e32 v[0:1], s[12:13]
	v_mov_b64_e32 v[2:3], s[8:9]
	ds_write2st64_b64 v4, v[2:3], v[0:1] offset1:2
	v_cndmask_b32_e64 v0, v5, v6, s[0:1]
	v_mov_b32_e32 v1, s5
	flat_load_dwordx2 v[0:1], v[0:1]
	s_xor_b64 s[18:19], s[0:1], -1
	v_mov_b64_e32 v[2:3], s[14:15]
	s_cbranch_vccnz .LBB230_2
; %bb.1:
	v_mov_b64_e32 v[2:3], s[12:13]
	flat_load_dwordx2 v[2:3], v[2:3] offset:8
.LBB230_2:
	s_and_b64 s[12:13], s[0:1], exec
	s_cselect_b32 s5, s7, s9
	v_mov_b32_e32 v5, s8
	v_cndmask_b32_e64 v4, v5, v4, s[0:1]
	v_mov_b32_e32 v5, s5
	flat_load_dwordx2 v[4:5], v[4:5]
	s_andn2_b64 vcc, exec, s[18:19]
	v_mov_b64_e32 v[6:7], s[10:11]
	s_cbranch_vccnz .LBB230_4
; %bb.3:
	v_mov_b64_e32 v[6:7], s[8:9]
	flat_load_dwordx2 v[6:7], v[6:7] offset:8
.LBB230_4:
	s_waitcnt vmcnt(0) lgkmcnt(0)
	v_cmp_eq_f64_e32 vcc, 0, v[0:1]
	v_cmp_eq_f64_e64 s[0:1], 0, v[2:3]
	s_and_b64 s[8:9], vcc, s[0:1]
	s_mov_b64 s[0:1], -1
	s_and_saveexec_b64 s[6:7], s[8:9]
; %bb.5:
	v_cmp_neq_f64_e32 vcc, 1.0, v[4:5]
	v_cmp_neq_f64_e64 s[0:1], 0, v[6:7]
	s_or_b64 s[0:1], vcc, s[0:1]
	s_orn2_b64 s[0:1], s[0:1], exec
; %bb.6:
	s_or_b64 exec, exec, s[6:7]
	s_and_saveexec_b64 s[6:7], s[0:1]
	s_cbranch_execz .LBB230_25
; %bb.7:
	s_load_dwordx2 s[0:1], s[2:3], 0x0
	v_lshrrev_b32_e32 v8, 4, v10
	v_lshl_or_b32 v8, s4, 3, v8
	s_waitcnt lgkmcnt(0)
	v_cmp_gt_i32_e32 vcc, s0, v8
	s_and_b64 exec, exec, vcc
	s_cbranch_execz .LBB230_25
; %bb.8:
	s_load_dwordx8 s[4:11], s[2:3], 0x18
	v_ashrrev_i32_e32 v9, 31, v8
	s_cmp_lg_u32 s1, 0
	s_waitcnt lgkmcnt(0)
	v_lshl_add_u64 v[12:13], v[8:9], 2, s[4:5]
	global_load_dwordx2 v[12:13], v[12:13], off
	v_and_b32_e32 v9, 15, v10
	s_waitcnt vmcnt(0)
	v_subrev_u32_e32 v10, s16, v12
	v_subrev_u32_e32 v24, s16, v13
	v_add_u32_e32 v16, v10, v9
	v_cmp_lt_i32_e64 s[0:1], v16, v24
	s_cbranch_scc0 .LBB230_14
; %bb.9:
	v_mov_b64_e32 v[12:13], 0
	s_mov_b64 s[4:5], 0
	v_mov_b64_e32 v[18:19], v[12:13]
	v_mov_b64_e32 v[14:15], v[12:13]
	;; [unrolled: 1-line block ×3, first 2 shown]
	s_and_saveexec_b64 s[12:13], s[0:1]
	s_cbranch_execz .LBB230_13
; %bb.10:
	v_mov_b64_e32 v[12:13], 0
	v_lshlrev_b32_e32 v20, 1, v16
	s_mov_b64 s[14:15], 0
	v_mov_b32_e32 v21, 0
	v_mov_b32_e32 v22, v16
	v_mov_b64_e32 v[18:19], v[12:13]
	v_mov_b64_e32 v[14:15], v[12:13]
	;; [unrolled: 1-line block ×3, first 2 shown]
.LBB230_11:                             ; =>This Inner Loop Header: Depth=1
	v_ashrrev_i32_e32 v23, 31, v22
	v_lshl_add_u64 v[26:27], v[22:23], 2, s[6:7]
	global_load_dword v17, v[26:27], off
	v_lshl_add_u64 v[34:35], v[20:21], 4, s[8:9]
	v_mov_b32_e32 v37, v21
	global_load_dwordx4 v[26:29], v[34:35], off offset:16
	global_load_dwordx4 v[30:33], v[34:35], off
	v_add_u32_e32 v22, 16, v22
	v_cmp_ge_i32_e32 vcc, v22, v24
	v_add_u32_e32 v20, 32, v20
	s_or_b64 s[14:15], vcc, s[14:15]
	s_waitcnt vmcnt(2)
	v_subrev_u32_e32 v36, s16, v17
	v_lshl_add_u64 v[34:35], v[36:37], 4, s[10:11]
	global_load_dwordx4 v[34:37], v[34:35], off
	s_waitcnt vmcnt(0)
	v_fmac_f64_e32 v[18:19], v[30:31], v[34:35]
	v_fmac_f64_e32 v[12:13], v[32:33], v[34:35]
	;; [unrolled: 1-line block ×4, first 2 shown]
	v_fma_f64 v[18:19], -v[32:33], v[36:37], v[18:19]
	v_fmac_f64_e32 v[12:13], v[30:31], v[36:37]
	v_fma_f64 v[14:15], -v[28:29], v[36:37], v[14:15]
	v_fmac_f64_e32 v[10:11], v[26:27], v[36:37]
	s_andn2_b64 exec, exec, s[14:15]
	s_cbranch_execnz .LBB230_11
; %bb.12:
	s_or_b64 exec, exec, s[14:15]
.LBB230_13:
	s_or_b64 exec, exec, s[12:13]
	s_andn2_b64 vcc, exec, s[4:5]
	s_cbranch_vccz .LBB230_15
	s_branch .LBB230_20
.LBB230_14:
                                        ; implicit-def: $vgpr12_vgpr13
                                        ; implicit-def: $vgpr18_vgpr19
                                        ; implicit-def: $vgpr14_vgpr15
                                        ; implicit-def: $vgpr10_vgpr11
.LBB230_15:
	v_mov_b64_e32 v[12:13], 0
	v_mov_b64_e32 v[18:19], v[12:13]
	;; [unrolled: 1-line block ×4, first 2 shown]
	s_and_saveexec_b64 s[4:5], s[0:1]
	s_cbranch_execz .LBB230_19
; %bb.16:
	v_mov_b64_e32 v[12:13], 0
	v_lshlrev_b32_e32 v20, 1, v16
	s_mov_b64 s[0:1], 0
	v_mov_b32_e32 v21, 0
	v_mov_b64_e32 v[18:19], v[12:13]
	v_mov_b64_e32 v[14:15], v[12:13]
	;; [unrolled: 1-line block ×3, first 2 shown]
.LBB230_17:                             ; =>This Inner Loop Header: Depth=1
	v_ashrrev_i32_e32 v17, 31, v16
	v_lshl_add_u64 v[22:23], v[16:17], 2, s[6:7]
	global_load_dword v17, v[22:23], off
	v_lshl_add_u64 v[22:23], v[20:21], 4, s[8:9]
	v_mov_b32_e32 v35, v21
	global_load_dwordx4 v[26:29], v[22:23], off offset:16
	global_load_dwordx4 v[30:33], v[22:23], off
	v_add_u32_e32 v16, 16, v16
	v_cmp_ge_i32_e32 vcc, v16, v24
	v_add_u32_e32 v20, 32, v20
	s_or_b64 s[0:1], vcc, s[0:1]
	s_waitcnt vmcnt(2)
	v_subrev_u32_e32 v34, s16, v17
	v_lshl_add_u64 v[22:23], v[34:35], 4, s[10:11]
	global_load_dwordx4 v[34:37], v[22:23], off
	s_waitcnt vmcnt(0)
	v_fmac_f64_e32 v[18:19], v[30:31], v[34:35]
	v_fmac_f64_e32 v[12:13], v[32:33], v[34:35]
	;; [unrolled: 1-line block ×4, first 2 shown]
	v_fma_f64 v[18:19], -v[32:33], v[36:37], v[18:19]
	v_fmac_f64_e32 v[12:13], v[30:31], v[36:37]
	v_fma_f64 v[14:15], -v[28:29], v[36:37], v[14:15]
	v_fmac_f64_e32 v[10:11], v[26:27], v[36:37]
	s_andn2_b64 exec, exec, s[0:1]
	s_cbranch_execnz .LBB230_17
; %bb.18:
	s_or_b64 exec, exec, s[0:1]
.LBB230_19:
	s_or_b64 exec, exec, s[4:5]
.LBB230_20:
	v_mov_b32_dpp v22, v14 row_shr:1 row_mask:0xf bank_mask:0xf
	v_mov_b32_dpp v23, v15 row_shr:1 row_mask:0xf bank_mask:0xf
	v_add_f64 v[14:15], v[14:15], v[22:23]
	v_mov_b32_dpp v16, v18 row_shr:1 row_mask:0xf bank_mask:0xf
	v_mov_b32_dpp v17, v19 row_shr:1 row_mask:0xf bank_mask:0xf
	v_mov_b32_dpp v22, v14 row_shr:2 row_mask:0xf bank_mask:0xf
	v_mov_b32_dpp v23, v15 row_shr:2 row_mask:0xf bank_mask:0xf
	v_add_f64 v[14:15], v[14:15], v[22:23]
	v_mov_b32_dpp v20, v12 row_shr:1 row_mask:0xf bank_mask:0xf
	v_mov_b32_dpp v21, v13 row_shr:1 row_mask:0xf bank_mask:0xf
	;; [unrolled: 5-line block ×3, first 2 shown]
	v_add_f64 v[16:17], v[18:19], v[16:17]
	v_add_f64 v[12:13], v[12:13], v[20:21]
	v_add_f64 v[10:11], v[10:11], v[14:15]
	v_mov_b32_dpp v18, v16 row_shr:2 row_mask:0xf bank_mask:0xf
	v_mov_b32_dpp v19, v17 row_shr:2 row_mask:0xf bank_mask:0xf
	v_mov_b32_dpp v20, v12 row_shr:2 row_mask:0xf bank_mask:0xf
	v_mov_b32_dpp v21, v13 row_shr:2 row_mask:0xf bank_mask:0xf
	v_mov_b32_dpp v14, v10 row_shr:2 row_mask:0xf bank_mask:0xf
	v_mov_b32_dpp v15, v11 row_shr:2 row_mask:0xf bank_mask:0xf
	v_add_f64 v[16:17], v[16:17], v[18:19]
	v_add_f64 v[12:13], v[12:13], v[20:21]
	v_add_f64 v[10:11], v[10:11], v[14:15]
	v_mov_b32_dpp v18, v16 row_shr:4 row_mask:0xf bank_mask:0xe
	v_mov_b32_dpp v19, v17 row_shr:4 row_mask:0xf bank_mask:0xe
	v_mov_b32_dpp v20, v12 row_shr:4 row_mask:0xf bank_mask:0xe
	v_mov_b32_dpp v21, v13 row_shr:4 row_mask:0xf bank_mask:0xe
	v_mov_b32_dpp v14, v10 row_shr:4 row_mask:0xf bank_mask:0xe
	v_mov_b32_dpp v15, v11 row_shr:4 row_mask:0xf bank_mask:0xe
	;; [unrolled: 9-line block ×3, first 2 shown]
	v_mov_b32_dpp v28, v26 row_shr:8 row_mask:0xf bank_mask:0xc
	v_mov_b32_dpp v29, v27 row_shr:8 row_mask:0xf bank_mask:0xc
	v_cmp_eq_u32_e32 vcc, 15, v9
	s_and_b64 exec, exec, vcc
	s_cbranch_execz .LBB230_25
; %bb.21:
	s_load_dwordx2 s[2:3], s[2:3], 0x48
	v_cmp_eq_f64_e32 vcc, 0, v[4:5]
	v_cmp_eq_f64_e64 s[0:1], 0, v[6:7]
	v_add_f64 v[14:15], v[16:17], v[18:19]
	v_add_f64 v[16:17], v[12:13], v[20:21]
	;; [unrolled: 1-line block ×4, first 2 shown]
	s_and_b64 s[0:1], vcc, s[0:1]
	s_and_saveexec_b64 s[4:5], s[0:1]
	s_xor_b64 s[0:1], exec, s[4:5]
	s_cbranch_execz .LBB230_23
; %bb.22:
	v_lshlrev_b32_e32 v8, 1, v8
	v_mul_f64 v[4:5], v[16:17], -v[2:3]
	v_mul_f64 v[6:7], v[0:1], v[16:17]
	v_ashrrev_i32_e32 v9, 31, v8
	v_fmac_f64_e32 v[4:5], v[0:1], v[14:15]
	v_fmac_f64_e32 v[6:7], v[2:3], v[14:15]
	s_waitcnt lgkmcnt(0)
	v_lshl_add_u64 v[8:9], v[8:9], 4, s[2:3]
	global_store_dwordx4 v[8:9], v[4:7], off
                                        ; implicit-def: $vgpr14_vgpr15
                                        ; implicit-def: $vgpr16_vgpr17
	s_nop 1
	v_mul_f64 v[4:5], v[12:13], -v[2:3]
	v_mul_f64 v[6:7], v[0:1], v[12:13]
	v_fmac_f64_e32 v[4:5], v[0:1], v[10:11]
	v_fmac_f64_e32 v[6:7], v[2:3], v[10:11]
	global_store_dwordx4 v[8:9], v[4:7], off offset:16
                                        ; implicit-def: $vgpr0_vgpr1
                                        ; implicit-def: $vgpr2_vgpr3
                                        ; implicit-def: $vgpr4_vgpr5
                                        ; implicit-def: $vgpr6_vgpr7
                                        ; implicit-def: $vgpr8
                                        ; implicit-def: $vgpr10_vgpr11
                                        ; implicit-def: $vgpr12_vgpr13
.LBB230_23:
	s_andn2_saveexec_b64 s[0:1], s[0:1]
	s_cbranch_execz .LBB230_25
; %bb.24:
	v_lshlrev_b32_e32 v8, 1, v8
	v_ashrrev_i32_e32 v9, 31, v8
	s_waitcnt lgkmcnt(0)
	v_lshl_add_u64 v[26:27], v[8:9], 4, s[2:3]
	global_load_dwordx4 v[18:21], v[26:27], off
	global_load_dwordx4 v[22:25], v[26:27], off offset:16
	v_mul_f64 v[28:29], v[16:17], -v[2:3]
	v_mul_f64 v[16:17], v[0:1], v[16:17]
	v_mul_f64 v[30:31], v[12:13], -v[2:3]
	v_mul_f64 v[8:9], v[0:1], v[12:13]
	v_fmac_f64_e32 v[28:29], v[0:1], v[14:15]
	v_fmac_f64_e32 v[16:17], v[2:3], v[14:15]
	v_fmac_f64_e32 v[30:31], v[0:1], v[10:11]
	v_fmac_f64_e32 v[8:9], v[2:3], v[10:11]
	s_waitcnt vmcnt(1)
	v_fmac_f64_e32 v[28:29], v[4:5], v[18:19]
	v_fmac_f64_e32 v[16:17], v[6:7], v[18:19]
	s_waitcnt vmcnt(0)
	v_fmac_f64_e32 v[30:31], v[4:5], v[22:23]
	v_fmac_f64_e32 v[8:9], v[6:7], v[22:23]
	v_fma_f64 v[14:15], -v[6:7], v[20:21], v[28:29]
	v_fmac_f64_e32 v[16:17], v[4:5], v[20:21]
	v_fma_f64 v[6:7], -v[6:7], v[24:25], v[30:31]
	v_fmac_f64_e32 v[8:9], v[4:5], v[24:25]
	global_store_dwordx4 v[26:27], v[14:17], off
	global_store_dwordx4 v[26:27], v[6:9], off offset:16
.LBB230_25:
	s_endpgm
	.section	.rodata,"a",@progbits
	.p2align	6, 0x0
	.amdhsa_kernel _ZN9rocsparseL19gebsrmvn_2xn_kernelILj128ELj1ELj16E21rocsparse_complex_numIdEEEvi20rocsparse_direction_NS_24const_host_device_scalarIT2_EEPKiS8_PKS5_SA_S6_PS5_21rocsparse_index_base_b
		.amdhsa_group_segment_fixed_size 2048
		.amdhsa_private_segment_fixed_size 0
		.amdhsa_kernarg_size 88
		.amdhsa_user_sgpr_count 4
		.amdhsa_user_sgpr_dispatch_ptr 1
		.amdhsa_user_sgpr_queue_ptr 0
		.amdhsa_user_sgpr_kernarg_segment_ptr 1
		.amdhsa_user_sgpr_dispatch_id 0
		.amdhsa_user_sgpr_kernarg_preload_length 0
		.amdhsa_user_sgpr_kernarg_preload_offset 0
		.amdhsa_user_sgpr_private_segment_size 0
		.amdhsa_uses_dynamic_stack 0
		.amdhsa_enable_private_segment 0
		.amdhsa_system_sgpr_workgroup_id_x 1
		.amdhsa_system_sgpr_workgroup_id_y 0
		.amdhsa_system_sgpr_workgroup_id_z 0
		.amdhsa_system_sgpr_workgroup_info 0
		.amdhsa_system_vgpr_workitem_id 2
		.amdhsa_next_free_vgpr 38
		.amdhsa_next_free_sgpr 20
		.amdhsa_accum_offset 40
		.amdhsa_reserve_vcc 1
		.amdhsa_float_round_mode_32 0
		.amdhsa_float_round_mode_16_64 0
		.amdhsa_float_denorm_mode_32 3
		.amdhsa_float_denorm_mode_16_64 3
		.amdhsa_dx10_clamp 1
		.amdhsa_ieee_mode 1
		.amdhsa_fp16_overflow 0
		.amdhsa_tg_split 0
		.amdhsa_exception_fp_ieee_invalid_op 0
		.amdhsa_exception_fp_denorm_src 0
		.amdhsa_exception_fp_ieee_div_zero 0
		.amdhsa_exception_fp_ieee_overflow 0
		.amdhsa_exception_fp_ieee_underflow 0
		.amdhsa_exception_fp_ieee_inexact 0
		.amdhsa_exception_int_div_zero 0
	.end_amdhsa_kernel
	.section	.text._ZN9rocsparseL19gebsrmvn_2xn_kernelILj128ELj1ELj16E21rocsparse_complex_numIdEEEvi20rocsparse_direction_NS_24const_host_device_scalarIT2_EEPKiS8_PKS5_SA_S6_PS5_21rocsparse_index_base_b,"axG",@progbits,_ZN9rocsparseL19gebsrmvn_2xn_kernelILj128ELj1ELj16E21rocsparse_complex_numIdEEEvi20rocsparse_direction_NS_24const_host_device_scalarIT2_EEPKiS8_PKS5_SA_S6_PS5_21rocsparse_index_base_b,comdat
.Lfunc_end230:
	.size	_ZN9rocsparseL19gebsrmvn_2xn_kernelILj128ELj1ELj16E21rocsparse_complex_numIdEEEvi20rocsparse_direction_NS_24const_host_device_scalarIT2_EEPKiS8_PKS5_SA_S6_PS5_21rocsparse_index_base_b, .Lfunc_end230-_ZN9rocsparseL19gebsrmvn_2xn_kernelILj128ELj1ELj16E21rocsparse_complex_numIdEEEvi20rocsparse_direction_NS_24const_host_device_scalarIT2_EEPKiS8_PKS5_SA_S6_PS5_21rocsparse_index_base_b
                                        ; -- End function
	.section	.AMDGPU.csdata,"",@progbits
; Kernel info:
; codeLenInByte = 1500
; NumSgprs: 26
; NumVgprs: 38
; NumAgprs: 0
; TotalNumVgprs: 38
; ScratchSize: 0
; MemoryBound: 0
; FloatMode: 240
; IeeeMode: 1
; LDSByteSize: 2048 bytes/workgroup (compile time only)
; SGPRBlocks: 3
; VGPRBlocks: 4
; NumSGPRsForWavesPerEU: 26
; NumVGPRsForWavesPerEU: 38
; AccumOffset: 40
; Occupancy: 8
; WaveLimiterHint : 1
; COMPUTE_PGM_RSRC2:SCRATCH_EN: 0
; COMPUTE_PGM_RSRC2:USER_SGPR: 4
; COMPUTE_PGM_RSRC2:TRAP_HANDLER: 0
; COMPUTE_PGM_RSRC2:TGID_X_EN: 1
; COMPUTE_PGM_RSRC2:TGID_Y_EN: 0
; COMPUTE_PGM_RSRC2:TGID_Z_EN: 0
; COMPUTE_PGM_RSRC2:TIDIG_COMP_CNT: 2
; COMPUTE_PGM_RSRC3_GFX90A:ACCUM_OFFSET: 9
; COMPUTE_PGM_RSRC3_GFX90A:TG_SPLIT: 0
	.section	.text._ZN9rocsparseL19gebsrmvn_2xn_kernelILj128ELj1ELj32E21rocsparse_complex_numIdEEEvi20rocsparse_direction_NS_24const_host_device_scalarIT2_EEPKiS8_PKS5_SA_S6_PS5_21rocsparse_index_base_b,"axG",@progbits,_ZN9rocsparseL19gebsrmvn_2xn_kernelILj128ELj1ELj32E21rocsparse_complex_numIdEEEvi20rocsparse_direction_NS_24const_host_device_scalarIT2_EEPKiS8_PKS5_SA_S6_PS5_21rocsparse_index_base_b,comdat
	.globl	_ZN9rocsparseL19gebsrmvn_2xn_kernelILj128ELj1ELj32E21rocsparse_complex_numIdEEEvi20rocsparse_direction_NS_24const_host_device_scalarIT2_EEPKiS8_PKS5_SA_S6_PS5_21rocsparse_index_base_b ; -- Begin function _ZN9rocsparseL19gebsrmvn_2xn_kernelILj128ELj1ELj32E21rocsparse_complex_numIdEEEvi20rocsparse_direction_NS_24const_host_device_scalarIT2_EEPKiS8_PKS5_SA_S6_PS5_21rocsparse_index_base_b
	.p2align	8
	.type	_ZN9rocsparseL19gebsrmvn_2xn_kernelILj128ELj1ELj32E21rocsparse_complex_numIdEEEvi20rocsparse_direction_NS_24const_host_device_scalarIT2_EEPKiS8_PKS5_SA_S6_PS5_21rocsparse_index_base_b,@function
_ZN9rocsparseL19gebsrmvn_2xn_kernelILj128ELj1ELj32E21rocsparse_complex_numIdEEEvi20rocsparse_direction_NS_24const_host_device_scalarIT2_EEPKiS8_PKS5_SA_S6_PS5_21rocsparse_index_base_b: ; @_ZN9rocsparseL19gebsrmvn_2xn_kernelILj128ELj1ELj32E21rocsparse_complex_numIdEEEvi20rocsparse_direction_NS_24const_host_device_scalarIT2_EEPKiS8_PKS5_SA_S6_PS5_21rocsparse_index_base_b
; %bb.0:
	s_load_dwordx2 s[16:17], s[2:3], 0x50
	s_load_dwordx4 s[12:15], s[2:3], 0x8
	s_load_dwordx4 s[8:11], s[2:3], 0x38
	s_load_dwordx2 s[18:19], s[0:1], 0x4
	s_mov_b64 s[6:7], src_shared_base
	s_waitcnt lgkmcnt(0)
	s_bitcmp1_b32 s17, 0
	s_cselect_b64 s[0:1], -1, 0
	s_and_b64 vcc, s[0:1], exec
	s_cselect_b32 s5, s7, s13
	s_lshr_b32 s6, s18, 16
	v_bfe_u32 v1, v0, 10, 10
	v_and_b32_e32 v10, 0x3ff, v0
	s_mul_i32 s6, s6, s19
	v_mul_u32_u24_e32 v1, s19, v1
	v_mad_u32_u24 v1, s6, v10, v1
	v_bfe_u32 v0, v0, 20, 10
	v_add_lshl_u32 v4, v1, v0, 3
	v_mov_b32_e32 v5, s12
	v_add_u32_e32 v6, 0x400, v4
	v_mov_b64_e32 v[0:1], s[12:13]
	v_mov_b64_e32 v[2:3], s[8:9]
	ds_write2st64_b64 v4, v[2:3], v[0:1] offset1:2
	v_cndmask_b32_e64 v0, v5, v6, s[0:1]
	v_mov_b32_e32 v1, s5
	flat_load_dwordx2 v[0:1], v[0:1]
	s_xor_b64 s[18:19], s[0:1], -1
	v_mov_b64_e32 v[2:3], s[14:15]
	s_cbranch_vccnz .LBB231_2
; %bb.1:
	v_mov_b64_e32 v[2:3], s[12:13]
	flat_load_dwordx2 v[2:3], v[2:3] offset:8
.LBB231_2:
	s_and_b64 s[12:13], s[0:1], exec
	s_cselect_b32 s5, s7, s9
	v_mov_b32_e32 v5, s8
	v_cndmask_b32_e64 v4, v5, v4, s[0:1]
	v_mov_b32_e32 v5, s5
	flat_load_dwordx2 v[4:5], v[4:5]
	s_andn2_b64 vcc, exec, s[18:19]
	v_mov_b64_e32 v[6:7], s[10:11]
	s_cbranch_vccnz .LBB231_4
; %bb.3:
	v_mov_b64_e32 v[6:7], s[8:9]
	flat_load_dwordx2 v[6:7], v[6:7] offset:8
.LBB231_4:
	s_waitcnt vmcnt(0) lgkmcnt(0)
	v_cmp_eq_f64_e32 vcc, 0, v[0:1]
	v_cmp_eq_f64_e64 s[0:1], 0, v[2:3]
	s_and_b64 s[8:9], vcc, s[0:1]
	s_mov_b64 s[0:1], -1
	s_and_saveexec_b64 s[6:7], s[8:9]
; %bb.5:
	v_cmp_neq_f64_e32 vcc, 1.0, v[4:5]
	v_cmp_neq_f64_e64 s[0:1], 0, v[6:7]
	s_or_b64 s[0:1], vcc, s[0:1]
	s_orn2_b64 s[0:1], s[0:1], exec
; %bb.6:
	s_or_b64 exec, exec, s[6:7]
	s_and_saveexec_b64 s[6:7], s[0:1]
	s_cbranch_execz .LBB231_25
; %bb.7:
	s_load_dwordx2 s[0:1], s[2:3], 0x0
	v_lshrrev_b32_e32 v8, 5, v10
	v_lshl_or_b32 v8, s4, 2, v8
	s_waitcnt lgkmcnt(0)
	v_cmp_gt_i32_e32 vcc, s0, v8
	s_and_b64 exec, exec, vcc
	s_cbranch_execz .LBB231_25
; %bb.8:
	s_load_dwordx8 s[4:11], s[2:3], 0x18
	v_ashrrev_i32_e32 v9, 31, v8
	s_cmp_lg_u32 s1, 0
	s_waitcnt lgkmcnt(0)
	v_lshl_add_u64 v[12:13], v[8:9], 2, s[4:5]
	global_load_dwordx2 v[12:13], v[12:13], off
	v_and_b32_e32 v9, 31, v10
	s_waitcnt vmcnt(0)
	v_subrev_u32_e32 v10, s16, v12
	v_subrev_u32_e32 v24, s16, v13
	v_add_u32_e32 v16, v10, v9
	v_cmp_lt_i32_e64 s[0:1], v16, v24
	s_cbranch_scc0 .LBB231_14
; %bb.9:
	v_mov_b64_e32 v[12:13], 0
	s_mov_b64 s[4:5], 0
	v_mov_b64_e32 v[18:19], v[12:13]
	v_mov_b64_e32 v[14:15], v[12:13]
	;; [unrolled: 1-line block ×3, first 2 shown]
	s_and_saveexec_b64 s[12:13], s[0:1]
	s_cbranch_execz .LBB231_13
; %bb.10:
	v_mov_b64_e32 v[12:13], 0
	v_lshlrev_b32_e32 v20, 1, v16
	s_mov_b64 s[14:15], 0
	v_mov_b32_e32 v21, 0
	v_mov_b32_e32 v22, v16
	v_mov_b64_e32 v[18:19], v[12:13]
	v_mov_b64_e32 v[14:15], v[12:13]
	;; [unrolled: 1-line block ×3, first 2 shown]
.LBB231_11:                             ; =>This Inner Loop Header: Depth=1
	v_ashrrev_i32_e32 v23, 31, v22
	v_lshl_add_u64 v[26:27], v[22:23], 2, s[6:7]
	global_load_dword v17, v[26:27], off
	v_lshl_add_u64 v[34:35], v[20:21], 4, s[8:9]
	v_mov_b32_e32 v37, v21
	global_load_dwordx4 v[26:29], v[34:35], off offset:16
	global_load_dwordx4 v[30:33], v[34:35], off
	v_add_u32_e32 v22, 32, v22
	v_cmp_ge_i32_e32 vcc, v22, v24
	v_add_u32_e32 v20, 64, v20
	s_or_b64 s[14:15], vcc, s[14:15]
	s_waitcnt vmcnt(2)
	v_subrev_u32_e32 v36, s16, v17
	v_lshl_add_u64 v[34:35], v[36:37], 4, s[10:11]
	global_load_dwordx4 v[34:37], v[34:35], off
	s_waitcnt vmcnt(0)
	v_fmac_f64_e32 v[18:19], v[30:31], v[34:35]
	v_fmac_f64_e32 v[12:13], v[32:33], v[34:35]
	;; [unrolled: 1-line block ×4, first 2 shown]
	v_fma_f64 v[18:19], -v[32:33], v[36:37], v[18:19]
	v_fmac_f64_e32 v[12:13], v[30:31], v[36:37]
	v_fma_f64 v[14:15], -v[28:29], v[36:37], v[14:15]
	v_fmac_f64_e32 v[10:11], v[26:27], v[36:37]
	s_andn2_b64 exec, exec, s[14:15]
	s_cbranch_execnz .LBB231_11
; %bb.12:
	s_or_b64 exec, exec, s[14:15]
.LBB231_13:
	s_or_b64 exec, exec, s[12:13]
	s_andn2_b64 vcc, exec, s[4:5]
	s_cbranch_vccz .LBB231_15
	s_branch .LBB231_20
.LBB231_14:
                                        ; implicit-def: $vgpr12_vgpr13
                                        ; implicit-def: $vgpr18_vgpr19
                                        ; implicit-def: $vgpr14_vgpr15
                                        ; implicit-def: $vgpr10_vgpr11
.LBB231_15:
	v_mov_b64_e32 v[12:13], 0
	v_mov_b64_e32 v[18:19], v[12:13]
	;; [unrolled: 1-line block ×4, first 2 shown]
	s_and_saveexec_b64 s[4:5], s[0:1]
	s_cbranch_execz .LBB231_19
; %bb.16:
	v_mov_b64_e32 v[12:13], 0
	v_lshlrev_b32_e32 v20, 1, v16
	s_mov_b64 s[0:1], 0
	v_mov_b32_e32 v21, 0
	v_mov_b64_e32 v[18:19], v[12:13]
	v_mov_b64_e32 v[14:15], v[12:13]
	;; [unrolled: 1-line block ×3, first 2 shown]
.LBB231_17:                             ; =>This Inner Loop Header: Depth=1
	v_ashrrev_i32_e32 v17, 31, v16
	v_lshl_add_u64 v[22:23], v[16:17], 2, s[6:7]
	global_load_dword v17, v[22:23], off
	v_lshl_add_u64 v[22:23], v[20:21], 4, s[8:9]
	v_mov_b32_e32 v35, v21
	global_load_dwordx4 v[26:29], v[22:23], off offset:16
	global_load_dwordx4 v[30:33], v[22:23], off
	v_add_u32_e32 v16, 32, v16
	v_cmp_ge_i32_e32 vcc, v16, v24
	v_add_u32_e32 v20, 64, v20
	s_or_b64 s[0:1], vcc, s[0:1]
	s_waitcnt vmcnt(2)
	v_subrev_u32_e32 v34, s16, v17
	v_lshl_add_u64 v[22:23], v[34:35], 4, s[10:11]
	global_load_dwordx4 v[34:37], v[22:23], off
	s_waitcnt vmcnt(0)
	v_fmac_f64_e32 v[18:19], v[30:31], v[34:35]
	v_fmac_f64_e32 v[12:13], v[32:33], v[34:35]
	;; [unrolled: 1-line block ×4, first 2 shown]
	v_fma_f64 v[18:19], -v[32:33], v[36:37], v[18:19]
	v_fmac_f64_e32 v[12:13], v[30:31], v[36:37]
	v_fma_f64 v[14:15], -v[28:29], v[36:37], v[14:15]
	v_fmac_f64_e32 v[10:11], v[26:27], v[36:37]
	s_andn2_b64 exec, exec, s[0:1]
	s_cbranch_execnz .LBB231_17
; %bb.18:
	s_or_b64 exec, exec, s[0:1]
.LBB231_19:
	s_or_b64 exec, exec, s[4:5]
.LBB231_20:
	v_mov_b32_dpp v22, v14 row_shr:1 row_mask:0xf bank_mask:0xf
	v_mov_b32_dpp v23, v15 row_shr:1 row_mask:0xf bank_mask:0xf
	v_add_f64 v[14:15], v[14:15], v[22:23]
	v_mov_b32_dpp v16, v18 row_shr:1 row_mask:0xf bank_mask:0xf
	v_mov_b32_dpp v17, v19 row_shr:1 row_mask:0xf bank_mask:0xf
	;; [unrolled: 1-line block ×4, first 2 shown]
	v_add_f64 v[14:15], v[14:15], v[22:23]
	v_mov_b32_dpp v20, v12 row_shr:1 row_mask:0xf bank_mask:0xf
	v_mov_b32_dpp v21, v13 row_shr:1 row_mask:0xf bank_mask:0xf
	;; [unrolled: 1-line block ×4, first 2 shown]
	v_add_f64 v[14:15], v[14:15], v[22:23]
	v_add_f64 v[16:17], v[18:19], v[16:17]
	;; [unrolled: 1-line block ×3, first 2 shown]
	v_mov_b32_dpp v22, v14 row_shr:8 row_mask:0xf bank_mask:0xc
	v_mov_b32_dpp v23, v15 row_shr:8 row_mask:0xf bank_mask:0xc
	v_add_f64 v[22:23], v[14:15], v[22:23]
	v_mov_b32_dpp v14, v10 row_shr:1 row_mask:0xf bank_mask:0xf
	v_mov_b32_dpp v15, v11 row_shr:1 row_mask:0xf bank_mask:0xf
	v_add_f64 v[10:11], v[10:11], v[14:15]
	v_mov_b32_dpp v18, v16 row_shr:2 row_mask:0xf bank_mask:0xf
	v_mov_b32_dpp v19, v17 row_shr:2 row_mask:0xf bank_mask:0xf
	v_mov_b32_dpp v20, v12 row_shr:2 row_mask:0xf bank_mask:0xf
	v_mov_b32_dpp v21, v13 row_shr:2 row_mask:0xf bank_mask:0xf
	v_mov_b32_dpp v14, v10 row_shr:2 row_mask:0xf bank_mask:0xf
	v_mov_b32_dpp v15, v11 row_shr:2 row_mask:0xf bank_mask:0xf
	v_add_f64 v[16:17], v[16:17], v[18:19]
	v_add_f64 v[12:13], v[12:13], v[20:21]
	v_add_f64 v[10:11], v[10:11], v[14:15]
	v_mov_b32_dpp v18, v16 row_shr:4 row_mask:0xf bank_mask:0xe
	v_mov_b32_dpp v19, v17 row_shr:4 row_mask:0xf bank_mask:0xe
	v_mov_b32_dpp v20, v12 row_shr:4 row_mask:0xf bank_mask:0xe
	v_mov_b32_dpp v21, v13 row_shr:4 row_mask:0xf bank_mask:0xe
	v_mov_b32_dpp v14, v10 row_shr:4 row_mask:0xf bank_mask:0xe
	v_mov_b32_dpp v15, v11 row_shr:4 row_mask:0xf bank_mask:0xe
	v_add_f64 v[16:17], v[16:17], v[18:19]
	v_add_f64 v[12:13], v[12:13], v[20:21]
	;; [unrolled: 9-line block ×3, first 2 shown]
	v_add_f64 v[26:27], v[10:11], v[14:15]
	v_mov_b32_dpp v18, v16 row_bcast:15 row_mask:0xa bank_mask:0xf
	v_mov_b32_dpp v19, v17 row_bcast:15 row_mask:0xa bank_mask:0xf
	;; [unrolled: 1-line block ×8, first 2 shown]
	v_cmp_eq_u32_e32 vcc, 31, v9
	s_and_b64 exec, exec, vcc
	s_cbranch_execz .LBB231_25
; %bb.21:
	s_load_dwordx2 s[2:3], s[2:3], 0x48
	v_cmp_eq_f64_e32 vcc, 0, v[4:5]
	v_cmp_eq_f64_e64 s[0:1], 0, v[6:7]
	v_add_f64 v[14:15], v[16:17], v[18:19]
	v_add_f64 v[16:17], v[12:13], v[20:21]
	;; [unrolled: 1-line block ×4, first 2 shown]
	s_and_b64 s[0:1], vcc, s[0:1]
	s_and_saveexec_b64 s[4:5], s[0:1]
	s_xor_b64 s[0:1], exec, s[4:5]
	s_cbranch_execz .LBB231_23
; %bb.22:
	v_lshlrev_b32_e32 v8, 1, v8
	v_mul_f64 v[4:5], v[16:17], -v[2:3]
	v_mul_f64 v[6:7], v[0:1], v[16:17]
	v_ashrrev_i32_e32 v9, 31, v8
	v_fmac_f64_e32 v[4:5], v[0:1], v[14:15]
	v_fmac_f64_e32 v[6:7], v[2:3], v[14:15]
	s_waitcnt lgkmcnt(0)
	v_lshl_add_u64 v[8:9], v[8:9], 4, s[2:3]
	global_store_dwordx4 v[8:9], v[4:7], off
                                        ; implicit-def: $vgpr14_vgpr15
                                        ; implicit-def: $vgpr16_vgpr17
	s_nop 1
	v_mul_f64 v[4:5], v[12:13], -v[2:3]
	v_mul_f64 v[6:7], v[0:1], v[12:13]
	v_fmac_f64_e32 v[4:5], v[0:1], v[10:11]
	v_fmac_f64_e32 v[6:7], v[2:3], v[10:11]
	global_store_dwordx4 v[8:9], v[4:7], off offset:16
                                        ; implicit-def: $vgpr0_vgpr1
                                        ; implicit-def: $vgpr2_vgpr3
                                        ; implicit-def: $vgpr4_vgpr5
                                        ; implicit-def: $vgpr6_vgpr7
                                        ; implicit-def: $vgpr8
                                        ; implicit-def: $vgpr10_vgpr11
                                        ; implicit-def: $vgpr12_vgpr13
.LBB231_23:
	s_andn2_saveexec_b64 s[0:1], s[0:1]
	s_cbranch_execz .LBB231_25
; %bb.24:
	v_lshlrev_b32_e32 v8, 1, v8
	v_ashrrev_i32_e32 v9, 31, v8
	s_waitcnt lgkmcnt(0)
	v_lshl_add_u64 v[26:27], v[8:9], 4, s[2:3]
	global_load_dwordx4 v[18:21], v[26:27], off
	global_load_dwordx4 v[22:25], v[26:27], off offset:16
	v_mul_f64 v[28:29], v[16:17], -v[2:3]
	v_mul_f64 v[16:17], v[0:1], v[16:17]
	v_mul_f64 v[30:31], v[12:13], -v[2:3]
	v_mul_f64 v[8:9], v[0:1], v[12:13]
	v_fmac_f64_e32 v[28:29], v[0:1], v[14:15]
	v_fmac_f64_e32 v[16:17], v[2:3], v[14:15]
	;; [unrolled: 1-line block ×4, first 2 shown]
	s_waitcnt vmcnt(1)
	v_fmac_f64_e32 v[28:29], v[4:5], v[18:19]
	v_fmac_f64_e32 v[16:17], v[6:7], v[18:19]
	s_waitcnt vmcnt(0)
	v_fmac_f64_e32 v[30:31], v[4:5], v[22:23]
	v_fmac_f64_e32 v[8:9], v[6:7], v[22:23]
	v_fma_f64 v[14:15], -v[6:7], v[20:21], v[28:29]
	v_fmac_f64_e32 v[16:17], v[4:5], v[20:21]
	v_fma_f64 v[6:7], -v[6:7], v[24:25], v[30:31]
	v_fmac_f64_e32 v[8:9], v[4:5], v[24:25]
	global_store_dwordx4 v[26:27], v[14:17], off
	global_store_dwordx4 v[26:27], v[6:9], off offset:16
.LBB231_25:
	s_endpgm
	.section	.rodata,"a",@progbits
	.p2align	6, 0x0
	.amdhsa_kernel _ZN9rocsparseL19gebsrmvn_2xn_kernelILj128ELj1ELj32E21rocsparse_complex_numIdEEEvi20rocsparse_direction_NS_24const_host_device_scalarIT2_EEPKiS8_PKS5_SA_S6_PS5_21rocsparse_index_base_b
		.amdhsa_group_segment_fixed_size 2048
		.amdhsa_private_segment_fixed_size 0
		.amdhsa_kernarg_size 88
		.amdhsa_user_sgpr_count 4
		.amdhsa_user_sgpr_dispatch_ptr 1
		.amdhsa_user_sgpr_queue_ptr 0
		.amdhsa_user_sgpr_kernarg_segment_ptr 1
		.amdhsa_user_sgpr_dispatch_id 0
		.amdhsa_user_sgpr_kernarg_preload_length 0
		.amdhsa_user_sgpr_kernarg_preload_offset 0
		.amdhsa_user_sgpr_private_segment_size 0
		.amdhsa_uses_dynamic_stack 0
		.amdhsa_enable_private_segment 0
		.amdhsa_system_sgpr_workgroup_id_x 1
		.amdhsa_system_sgpr_workgroup_id_y 0
		.amdhsa_system_sgpr_workgroup_id_z 0
		.amdhsa_system_sgpr_workgroup_info 0
		.amdhsa_system_vgpr_workitem_id 2
		.amdhsa_next_free_vgpr 38
		.amdhsa_next_free_sgpr 20
		.amdhsa_accum_offset 40
		.amdhsa_reserve_vcc 1
		.amdhsa_float_round_mode_32 0
		.amdhsa_float_round_mode_16_64 0
		.amdhsa_float_denorm_mode_32 3
		.amdhsa_float_denorm_mode_16_64 3
		.amdhsa_dx10_clamp 1
		.amdhsa_ieee_mode 1
		.amdhsa_fp16_overflow 0
		.amdhsa_tg_split 0
		.amdhsa_exception_fp_ieee_invalid_op 0
		.amdhsa_exception_fp_denorm_src 0
		.amdhsa_exception_fp_ieee_div_zero 0
		.amdhsa_exception_fp_ieee_overflow 0
		.amdhsa_exception_fp_ieee_underflow 0
		.amdhsa_exception_fp_ieee_inexact 0
		.amdhsa_exception_int_div_zero 0
	.end_amdhsa_kernel
	.section	.text._ZN9rocsparseL19gebsrmvn_2xn_kernelILj128ELj1ELj32E21rocsparse_complex_numIdEEEvi20rocsparse_direction_NS_24const_host_device_scalarIT2_EEPKiS8_PKS5_SA_S6_PS5_21rocsparse_index_base_b,"axG",@progbits,_ZN9rocsparseL19gebsrmvn_2xn_kernelILj128ELj1ELj32E21rocsparse_complex_numIdEEEvi20rocsparse_direction_NS_24const_host_device_scalarIT2_EEPKiS8_PKS5_SA_S6_PS5_21rocsparse_index_base_b,comdat
.Lfunc_end231:
	.size	_ZN9rocsparseL19gebsrmvn_2xn_kernelILj128ELj1ELj32E21rocsparse_complex_numIdEEEvi20rocsparse_direction_NS_24const_host_device_scalarIT2_EEPKiS8_PKS5_SA_S6_PS5_21rocsparse_index_base_b, .Lfunc_end231-_ZN9rocsparseL19gebsrmvn_2xn_kernelILj128ELj1ELj32E21rocsparse_complex_numIdEEEvi20rocsparse_direction_NS_24const_host_device_scalarIT2_EEPKiS8_PKS5_SA_S6_PS5_21rocsparse_index_base_b
                                        ; -- End function
	.section	.AMDGPU.csdata,"",@progbits
; Kernel info:
; codeLenInByte = 1596
; NumSgprs: 26
; NumVgprs: 38
; NumAgprs: 0
; TotalNumVgprs: 38
; ScratchSize: 0
; MemoryBound: 0
; FloatMode: 240
; IeeeMode: 1
; LDSByteSize: 2048 bytes/workgroup (compile time only)
; SGPRBlocks: 3
; VGPRBlocks: 4
; NumSGPRsForWavesPerEU: 26
; NumVGPRsForWavesPerEU: 38
; AccumOffset: 40
; Occupancy: 8
; WaveLimiterHint : 1
; COMPUTE_PGM_RSRC2:SCRATCH_EN: 0
; COMPUTE_PGM_RSRC2:USER_SGPR: 4
; COMPUTE_PGM_RSRC2:TRAP_HANDLER: 0
; COMPUTE_PGM_RSRC2:TGID_X_EN: 1
; COMPUTE_PGM_RSRC2:TGID_Y_EN: 0
; COMPUTE_PGM_RSRC2:TGID_Z_EN: 0
; COMPUTE_PGM_RSRC2:TIDIG_COMP_CNT: 2
; COMPUTE_PGM_RSRC3_GFX90A:ACCUM_OFFSET: 9
; COMPUTE_PGM_RSRC3_GFX90A:TG_SPLIT: 0
	.section	.text._ZN9rocsparseL19gebsrmvn_2xn_kernelILj128ELj1ELj64E21rocsparse_complex_numIdEEEvi20rocsparse_direction_NS_24const_host_device_scalarIT2_EEPKiS8_PKS5_SA_S6_PS5_21rocsparse_index_base_b,"axG",@progbits,_ZN9rocsparseL19gebsrmvn_2xn_kernelILj128ELj1ELj64E21rocsparse_complex_numIdEEEvi20rocsparse_direction_NS_24const_host_device_scalarIT2_EEPKiS8_PKS5_SA_S6_PS5_21rocsparse_index_base_b,comdat
	.globl	_ZN9rocsparseL19gebsrmvn_2xn_kernelILj128ELj1ELj64E21rocsparse_complex_numIdEEEvi20rocsparse_direction_NS_24const_host_device_scalarIT2_EEPKiS8_PKS5_SA_S6_PS5_21rocsparse_index_base_b ; -- Begin function _ZN9rocsparseL19gebsrmvn_2xn_kernelILj128ELj1ELj64E21rocsparse_complex_numIdEEEvi20rocsparse_direction_NS_24const_host_device_scalarIT2_EEPKiS8_PKS5_SA_S6_PS5_21rocsparse_index_base_b
	.p2align	8
	.type	_ZN9rocsparseL19gebsrmvn_2xn_kernelILj128ELj1ELj64E21rocsparse_complex_numIdEEEvi20rocsparse_direction_NS_24const_host_device_scalarIT2_EEPKiS8_PKS5_SA_S6_PS5_21rocsparse_index_base_b,@function
_ZN9rocsparseL19gebsrmvn_2xn_kernelILj128ELj1ELj64E21rocsparse_complex_numIdEEEvi20rocsparse_direction_NS_24const_host_device_scalarIT2_EEPKiS8_PKS5_SA_S6_PS5_21rocsparse_index_base_b: ; @_ZN9rocsparseL19gebsrmvn_2xn_kernelILj128ELj1ELj64E21rocsparse_complex_numIdEEEvi20rocsparse_direction_NS_24const_host_device_scalarIT2_EEPKiS8_PKS5_SA_S6_PS5_21rocsparse_index_base_b
; %bb.0:
	s_load_dwordx2 s[16:17], s[2:3], 0x50
	s_load_dwordx4 s[12:15], s[2:3], 0x8
	s_load_dwordx4 s[8:11], s[2:3], 0x38
	s_load_dwordx2 s[18:19], s[0:1], 0x4
	s_mov_b64 s[6:7], src_shared_base
	s_waitcnt lgkmcnt(0)
	s_bitcmp1_b32 s17, 0
	s_cselect_b64 s[0:1], -1, 0
	s_and_b64 vcc, s[0:1], exec
	s_cselect_b32 s5, s7, s13
	s_lshr_b32 s6, s18, 16
	v_bfe_u32 v1, v0, 10, 10
	v_and_b32_e32 v10, 0x3ff, v0
	s_mul_i32 s6, s6, s19
	v_mul_u32_u24_e32 v1, s19, v1
	v_mad_u32_u24 v1, s6, v10, v1
	v_bfe_u32 v0, v0, 20, 10
	v_add_lshl_u32 v4, v1, v0, 3
	v_mov_b32_e32 v5, s12
	v_add_u32_e32 v6, 0x400, v4
	v_mov_b64_e32 v[0:1], s[12:13]
	v_mov_b64_e32 v[2:3], s[8:9]
	ds_write2st64_b64 v4, v[2:3], v[0:1] offset1:2
	v_cndmask_b32_e64 v0, v5, v6, s[0:1]
	v_mov_b32_e32 v1, s5
	flat_load_dwordx2 v[0:1], v[0:1]
	s_xor_b64 s[18:19], s[0:1], -1
	v_mov_b64_e32 v[2:3], s[14:15]
	s_cbranch_vccnz .LBB232_2
; %bb.1:
	v_mov_b64_e32 v[2:3], s[12:13]
	flat_load_dwordx2 v[2:3], v[2:3] offset:8
.LBB232_2:
	s_and_b64 s[12:13], s[0:1], exec
	s_cselect_b32 s5, s7, s9
	v_mov_b32_e32 v5, s8
	v_cndmask_b32_e64 v4, v5, v4, s[0:1]
	v_mov_b32_e32 v5, s5
	flat_load_dwordx2 v[4:5], v[4:5]
	s_andn2_b64 vcc, exec, s[18:19]
	v_mov_b64_e32 v[6:7], s[10:11]
	s_cbranch_vccnz .LBB232_4
; %bb.3:
	v_mov_b64_e32 v[6:7], s[8:9]
	flat_load_dwordx2 v[6:7], v[6:7] offset:8
.LBB232_4:
	s_waitcnt vmcnt(0) lgkmcnt(0)
	v_cmp_eq_f64_e32 vcc, 0, v[0:1]
	v_cmp_eq_f64_e64 s[0:1], 0, v[2:3]
	s_and_b64 s[8:9], vcc, s[0:1]
	s_mov_b64 s[0:1], -1
	s_and_saveexec_b64 s[6:7], s[8:9]
; %bb.5:
	v_cmp_neq_f64_e32 vcc, 1.0, v[4:5]
	v_cmp_neq_f64_e64 s[0:1], 0, v[6:7]
	s_or_b64 s[0:1], vcc, s[0:1]
	s_orn2_b64 s[0:1], s[0:1], exec
; %bb.6:
	s_or_b64 exec, exec, s[6:7]
	s_and_saveexec_b64 s[6:7], s[0:1]
	s_cbranch_execz .LBB232_25
; %bb.7:
	s_load_dwordx2 s[0:1], s[2:3], 0x0
	v_lshrrev_b32_e32 v8, 6, v10
	v_lshl_or_b32 v8, s4, 1, v8
	s_waitcnt lgkmcnt(0)
	v_cmp_gt_i32_e32 vcc, s0, v8
	s_and_b64 exec, exec, vcc
	s_cbranch_execz .LBB232_25
; %bb.8:
	s_load_dwordx8 s[4:11], s[2:3], 0x18
	v_ashrrev_i32_e32 v9, 31, v8
	s_cmp_lg_u32 s1, 0
	s_waitcnt lgkmcnt(0)
	v_lshl_add_u64 v[12:13], v[8:9], 2, s[4:5]
	global_load_dwordx2 v[12:13], v[12:13], off
	v_and_b32_e32 v9, 63, v10
	s_waitcnt vmcnt(0)
	v_subrev_u32_e32 v10, s16, v12
	v_subrev_u32_e32 v24, s16, v13
	v_add_u32_e32 v16, v10, v9
	v_cmp_lt_i32_e64 s[0:1], v16, v24
	s_cbranch_scc0 .LBB232_14
; %bb.9:
	v_mov_b64_e32 v[14:15], 0
	s_mov_b64 s[4:5], 0
	v_mov_b64_e32 v[18:19], v[14:15]
	v_mov_b64_e32 v[12:13], v[14:15]
	;; [unrolled: 1-line block ×3, first 2 shown]
	s_and_saveexec_b64 s[12:13], s[0:1]
	s_cbranch_execz .LBB232_13
; %bb.10:
	v_mov_b64_e32 v[14:15], 0
	v_lshlrev_b32_e32 v20, 1, v16
	s_mov_b64 s[14:15], 0
	v_mov_b32_e32 v21, 0
	v_mov_b32_e32 v22, v16
	v_mov_b64_e32 v[18:19], v[14:15]
	v_mov_b64_e32 v[12:13], v[14:15]
	;; [unrolled: 1-line block ×3, first 2 shown]
.LBB232_11:                             ; =>This Inner Loop Header: Depth=1
	v_ashrrev_i32_e32 v23, 31, v22
	v_lshl_add_u64 v[26:27], v[22:23], 2, s[6:7]
	global_load_dword v17, v[26:27], off
	v_lshl_add_u64 v[34:35], v[20:21], 4, s[8:9]
	v_mov_b32_e32 v37, v21
	global_load_dwordx4 v[26:29], v[34:35], off offset:16
	global_load_dwordx4 v[30:33], v[34:35], off
	v_add_u32_e32 v22, 64, v22
	v_cmp_ge_i32_e32 vcc, v22, v24
	v_add_u32_e32 v20, 0x80, v20
	s_or_b64 s[14:15], vcc, s[14:15]
	s_waitcnt vmcnt(2)
	v_subrev_u32_e32 v36, s16, v17
	v_lshl_add_u64 v[34:35], v[36:37], 4, s[10:11]
	global_load_dwordx4 v[34:37], v[34:35], off
	s_waitcnt vmcnt(0)
	v_fmac_f64_e32 v[18:19], v[30:31], v[34:35]
	v_fmac_f64_e32 v[14:15], v[32:33], v[34:35]
	;; [unrolled: 1-line block ×4, first 2 shown]
	v_fma_f64 v[18:19], -v[32:33], v[36:37], v[18:19]
	v_fmac_f64_e32 v[14:15], v[30:31], v[36:37]
	v_fma_f64 v[12:13], -v[28:29], v[36:37], v[12:13]
	v_fmac_f64_e32 v[10:11], v[26:27], v[36:37]
	s_andn2_b64 exec, exec, s[14:15]
	s_cbranch_execnz .LBB232_11
; %bb.12:
	s_or_b64 exec, exec, s[14:15]
.LBB232_13:
	s_or_b64 exec, exec, s[12:13]
	s_andn2_b64 vcc, exec, s[4:5]
	s_cbranch_vccz .LBB232_15
	s_branch .LBB232_20
.LBB232_14:
                                        ; implicit-def: $vgpr14_vgpr15
                                        ; implicit-def: $vgpr18_vgpr19
                                        ; implicit-def: $vgpr12_vgpr13
                                        ; implicit-def: $vgpr10_vgpr11
.LBB232_15:
	v_mov_b64_e32 v[14:15], 0
	v_mov_b64_e32 v[18:19], v[14:15]
	;; [unrolled: 1-line block ×4, first 2 shown]
	s_and_saveexec_b64 s[4:5], s[0:1]
	s_cbranch_execz .LBB232_19
; %bb.16:
	v_mov_b64_e32 v[14:15], 0
	v_lshlrev_b32_e32 v20, 1, v16
	s_mov_b64 s[0:1], 0
	v_mov_b32_e32 v21, 0
	v_mov_b64_e32 v[18:19], v[14:15]
	v_mov_b64_e32 v[12:13], v[14:15]
	;; [unrolled: 1-line block ×3, first 2 shown]
.LBB232_17:                             ; =>This Inner Loop Header: Depth=1
	v_ashrrev_i32_e32 v17, 31, v16
	v_lshl_add_u64 v[22:23], v[16:17], 2, s[6:7]
	global_load_dword v17, v[22:23], off
	v_lshl_add_u64 v[22:23], v[20:21], 4, s[8:9]
	v_mov_b32_e32 v35, v21
	global_load_dwordx4 v[26:29], v[22:23], off offset:16
	global_load_dwordx4 v[30:33], v[22:23], off
	v_add_u32_e32 v16, 64, v16
	v_cmp_ge_i32_e32 vcc, v16, v24
	v_add_u32_e32 v20, 0x80, v20
	s_or_b64 s[0:1], vcc, s[0:1]
	s_waitcnt vmcnt(2)
	v_subrev_u32_e32 v34, s16, v17
	v_lshl_add_u64 v[22:23], v[34:35], 4, s[10:11]
	global_load_dwordx4 v[34:37], v[22:23], off
	s_waitcnt vmcnt(0)
	v_fmac_f64_e32 v[18:19], v[30:31], v[34:35]
	v_fmac_f64_e32 v[14:15], v[32:33], v[34:35]
	;; [unrolled: 1-line block ×4, first 2 shown]
	v_fma_f64 v[18:19], -v[32:33], v[36:37], v[18:19]
	v_fmac_f64_e32 v[14:15], v[30:31], v[36:37]
	v_fma_f64 v[12:13], -v[28:29], v[36:37], v[12:13]
	v_fmac_f64_e32 v[10:11], v[26:27], v[36:37]
	s_andn2_b64 exec, exec, s[0:1]
	s_cbranch_execnz .LBB232_17
; %bb.18:
	s_or_b64 exec, exec, s[0:1]
.LBB232_19:
	s_or_b64 exec, exec, s[4:5]
.LBB232_20:
	v_mov_b32_dpp v20, v14 row_shr:1 row_mask:0xf bank_mask:0xf
	v_mov_b32_dpp v21, v15 row_shr:1 row_mask:0xf bank_mask:0xf
	v_add_f64 v[14:15], v[14:15], v[20:21]
	v_mov_b32_dpp v16, v18 row_shr:1 row_mask:0xf bank_mask:0xf
	v_mov_b32_dpp v17, v19 row_shr:1 row_mask:0xf bank_mask:0xf
	;; [unrolled: 1-line block ×4, first 2 shown]
	v_add_f64 v[14:15], v[14:15], v[20:21]
	v_add_f64 v[16:17], v[18:19], v[16:17]
	v_cmp_eq_u32_e32 vcc, 63, v9
	v_mov_b32_dpp v20, v14 row_shr:4 row_mask:0xf bank_mask:0xe
	v_mov_b32_dpp v21, v15 row_shr:4 row_mask:0xf bank_mask:0xe
	v_add_f64 v[14:15], v[14:15], v[20:21]
	v_mov_b32_dpp v18, v16 row_shr:2 row_mask:0xf bank_mask:0xf
	v_mov_b32_dpp v19, v17 row_shr:2 row_mask:0xf bank_mask:0xf
	;; [unrolled: 1-line block ×4, first 2 shown]
	v_add_f64 v[14:15], v[14:15], v[20:21]
	v_add_f64 v[16:17], v[16:17], v[18:19]
	s_nop 0
	v_mov_b32_dpp v20, v14 row_bcast:15 row_mask:0xa bank_mask:0xf
	v_mov_b32_dpp v21, v15 row_bcast:15 row_mask:0xa bank_mask:0xf
	v_add_f64 v[20:21], v[14:15], v[20:21]
	v_mov_b32_dpp v14, v12 row_shr:1 row_mask:0xf bank_mask:0xf
	v_mov_b32_dpp v15, v13 row_shr:1 row_mask:0xf bank_mask:0xf
	v_add_f64 v[12:13], v[12:13], v[14:15]
	v_mov_b32_dpp v18, v16 row_shr:4 row_mask:0xf bank_mask:0xe
	v_mov_b32_dpp v19, v17 row_shr:4 row_mask:0xf bank_mask:0xe
	;; [unrolled: 1-line block ×4, first 2 shown]
	v_add_f64 v[12:13], v[12:13], v[14:15]
	v_add_f64 v[16:17], v[16:17], v[18:19]
	v_mov_b32_dpp v22, v20 row_bcast:31 row_mask:0xc bank_mask:0xf
	v_mov_b32_dpp v14, v12 row_shr:4 row_mask:0xf bank_mask:0xe
	v_mov_b32_dpp v15, v13 row_shr:4 row_mask:0xf bank_mask:0xe
	v_add_f64 v[12:13], v[12:13], v[14:15]
	v_mov_b32_dpp v18, v16 row_shr:8 row_mask:0xf bank_mask:0xc
	v_mov_b32_dpp v19, v17 row_shr:8 row_mask:0xf bank_mask:0xc
	;; [unrolled: 1-line block ×4, first 2 shown]
	v_add_f64 v[12:13], v[12:13], v[14:15]
	v_add_f64 v[16:17], v[16:17], v[18:19]
	v_mov_b32_dpp v23, v21 row_bcast:31 row_mask:0xc bank_mask:0xf
	v_mov_b32_dpp v14, v12 row_bcast:15 row_mask:0xa bank_mask:0xf
	;; [unrolled: 1-line block ×3, first 2 shown]
	v_add_f64 v[12:13], v[12:13], v[14:15]
	v_mov_b32_dpp v14, v10 row_shr:1 row_mask:0xf bank_mask:0xf
	v_mov_b32_dpp v15, v11 row_shr:1 row_mask:0xf bank_mask:0xf
	v_add_f64 v[10:11], v[10:11], v[14:15]
	v_mov_b32_dpp v18, v16 row_bcast:15 row_mask:0xa bank_mask:0xf
	v_mov_b32_dpp v19, v17 row_bcast:15 row_mask:0xa bank_mask:0xf
	v_mov_b32_dpp v14, v10 row_shr:2 row_mask:0xf bank_mask:0xf
	v_mov_b32_dpp v15, v11 row_shr:2 row_mask:0xf bank_mask:0xf
	v_add_f64 v[10:11], v[10:11], v[14:15]
	v_add_f64 v[16:17], v[16:17], v[18:19]
	v_mov_b32_dpp v24, v12 row_bcast:31 row_mask:0xc bank_mask:0xf
	v_mov_b32_dpp v14, v10 row_shr:4 row_mask:0xf bank_mask:0xe
	v_mov_b32_dpp v15, v11 row_shr:4 row_mask:0xf bank_mask:0xe
	v_add_f64 v[10:11], v[10:11], v[14:15]
	v_mov_b32_dpp v18, v16 row_bcast:31 row_mask:0xc bank_mask:0xf
	v_mov_b32_dpp v19, v17 row_bcast:31 row_mask:0xc bank_mask:0xf
	v_mov_b32_dpp v14, v10 row_shr:8 row_mask:0xf bank_mask:0xc
	v_mov_b32_dpp v15, v11 row_shr:8 row_mask:0xf bank_mask:0xc
	v_add_f64 v[10:11], v[10:11], v[14:15]
	v_mov_b32_dpp v25, v13 row_bcast:31 row_mask:0xc bank_mask:0xf
	s_nop 0
	v_mov_b32_dpp v14, v10 row_bcast:15 row_mask:0xa bank_mask:0xf
	v_mov_b32_dpp v15, v11 row_bcast:15 row_mask:0xa bank_mask:0xf
	v_add_f64 v[26:27], v[10:11], v[14:15]
	s_nop 1
	v_mov_b32_dpp v28, v26 row_bcast:31 row_mask:0xc bank_mask:0xf
	v_mov_b32_dpp v29, v27 row_bcast:31 row_mask:0xc bank_mask:0xf
	s_and_b64 exec, exec, vcc
	s_cbranch_execz .LBB232_25
; %bb.21:
	s_load_dwordx2 s[2:3], s[2:3], 0x48
	v_cmp_eq_f64_e32 vcc, 0, v[4:5]
	v_cmp_eq_f64_e64 s[0:1], 0, v[6:7]
	v_add_f64 v[14:15], v[16:17], v[18:19]
	v_add_f64 v[16:17], v[20:21], v[22:23]
	;; [unrolled: 1-line block ×4, first 2 shown]
	s_and_b64 s[0:1], vcc, s[0:1]
	s_and_saveexec_b64 s[4:5], s[0:1]
	s_xor_b64 s[0:1], exec, s[4:5]
	s_cbranch_execz .LBB232_23
; %bb.22:
	v_lshlrev_b32_e32 v8, 1, v8
	v_mul_f64 v[4:5], v[16:17], -v[2:3]
	v_mul_f64 v[6:7], v[0:1], v[16:17]
	v_ashrrev_i32_e32 v9, 31, v8
	v_fmac_f64_e32 v[4:5], v[0:1], v[14:15]
	v_fmac_f64_e32 v[6:7], v[2:3], v[14:15]
	s_waitcnt lgkmcnt(0)
	v_lshl_add_u64 v[8:9], v[8:9], 4, s[2:3]
	global_store_dwordx4 v[8:9], v[4:7], off
                                        ; implicit-def: $vgpr14_vgpr15
                                        ; implicit-def: $vgpr16_vgpr17
	s_nop 1
	v_mul_f64 v[4:5], v[12:13], -v[2:3]
	v_mul_f64 v[6:7], v[0:1], v[12:13]
	v_fmac_f64_e32 v[4:5], v[0:1], v[10:11]
	v_fmac_f64_e32 v[6:7], v[2:3], v[10:11]
	global_store_dwordx4 v[8:9], v[4:7], off offset:16
                                        ; implicit-def: $vgpr0_vgpr1
                                        ; implicit-def: $vgpr2_vgpr3
                                        ; implicit-def: $vgpr4_vgpr5
                                        ; implicit-def: $vgpr6_vgpr7
                                        ; implicit-def: $vgpr8
                                        ; implicit-def: $vgpr10_vgpr11
                                        ; implicit-def: $vgpr12_vgpr13
.LBB232_23:
	s_andn2_saveexec_b64 s[0:1], s[0:1]
	s_cbranch_execz .LBB232_25
; %bb.24:
	v_lshlrev_b32_e32 v8, 1, v8
	v_ashrrev_i32_e32 v9, 31, v8
	s_waitcnt lgkmcnt(0)
	v_lshl_add_u64 v[26:27], v[8:9], 4, s[2:3]
	global_load_dwordx4 v[18:21], v[26:27], off
	global_load_dwordx4 v[22:25], v[26:27], off offset:16
	v_mul_f64 v[28:29], v[16:17], -v[2:3]
	v_mul_f64 v[16:17], v[0:1], v[16:17]
	v_mul_f64 v[30:31], v[12:13], -v[2:3]
	v_mul_f64 v[8:9], v[0:1], v[12:13]
	v_fmac_f64_e32 v[28:29], v[0:1], v[14:15]
	v_fmac_f64_e32 v[16:17], v[2:3], v[14:15]
	;; [unrolled: 1-line block ×4, first 2 shown]
	s_waitcnt vmcnt(1)
	v_fmac_f64_e32 v[28:29], v[4:5], v[18:19]
	v_fmac_f64_e32 v[16:17], v[6:7], v[18:19]
	s_waitcnt vmcnt(0)
	v_fmac_f64_e32 v[30:31], v[4:5], v[22:23]
	v_fmac_f64_e32 v[8:9], v[6:7], v[22:23]
	v_fma_f64 v[14:15], -v[6:7], v[20:21], v[28:29]
	v_fmac_f64_e32 v[16:17], v[4:5], v[20:21]
	v_fma_f64 v[6:7], -v[6:7], v[24:25], v[30:31]
	v_fmac_f64_e32 v[8:9], v[4:5], v[24:25]
	global_store_dwordx4 v[26:27], v[14:17], off
	global_store_dwordx4 v[26:27], v[6:9], off offset:16
.LBB232_25:
	s_endpgm
	.section	.rodata,"a",@progbits
	.p2align	6, 0x0
	.amdhsa_kernel _ZN9rocsparseL19gebsrmvn_2xn_kernelILj128ELj1ELj64E21rocsparse_complex_numIdEEEvi20rocsparse_direction_NS_24const_host_device_scalarIT2_EEPKiS8_PKS5_SA_S6_PS5_21rocsparse_index_base_b
		.amdhsa_group_segment_fixed_size 2048
		.amdhsa_private_segment_fixed_size 0
		.amdhsa_kernarg_size 88
		.amdhsa_user_sgpr_count 4
		.amdhsa_user_sgpr_dispatch_ptr 1
		.amdhsa_user_sgpr_queue_ptr 0
		.amdhsa_user_sgpr_kernarg_segment_ptr 1
		.amdhsa_user_sgpr_dispatch_id 0
		.amdhsa_user_sgpr_kernarg_preload_length 0
		.amdhsa_user_sgpr_kernarg_preload_offset 0
		.amdhsa_user_sgpr_private_segment_size 0
		.amdhsa_uses_dynamic_stack 0
		.amdhsa_enable_private_segment 0
		.amdhsa_system_sgpr_workgroup_id_x 1
		.amdhsa_system_sgpr_workgroup_id_y 0
		.amdhsa_system_sgpr_workgroup_id_z 0
		.amdhsa_system_sgpr_workgroup_info 0
		.amdhsa_system_vgpr_workitem_id 2
		.amdhsa_next_free_vgpr 38
		.amdhsa_next_free_sgpr 20
		.amdhsa_accum_offset 40
		.amdhsa_reserve_vcc 1
		.amdhsa_float_round_mode_32 0
		.amdhsa_float_round_mode_16_64 0
		.amdhsa_float_denorm_mode_32 3
		.amdhsa_float_denorm_mode_16_64 3
		.amdhsa_dx10_clamp 1
		.amdhsa_ieee_mode 1
		.amdhsa_fp16_overflow 0
		.amdhsa_tg_split 0
		.amdhsa_exception_fp_ieee_invalid_op 0
		.amdhsa_exception_fp_denorm_src 0
		.amdhsa_exception_fp_ieee_div_zero 0
		.amdhsa_exception_fp_ieee_overflow 0
		.amdhsa_exception_fp_ieee_underflow 0
		.amdhsa_exception_fp_ieee_inexact 0
		.amdhsa_exception_int_div_zero 0
	.end_amdhsa_kernel
	.section	.text._ZN9rocsparseL19gebsrmvn_2xn_kernelILj128ELj1ELj64E21rocsparse_complex_numIdEEEvi20rocsparse_direction_NS_24const_host_device_scalarIT2_EEPKiS8_PKS5_SA_S6_PS5_21rocsparse_index_base_b,"axG",@progbits,_ZN9rocsparseL19gebsrmvn_2xn_kernelILj128ELj1ELj64E21rocsparse_complex_numIdEEEvi20rocsparse_direction_NS_24const_host_device_scalarIT2_EEPKiS8_PKS5_SA_S6_PS5_21rocsparse_index_base_b,comdat
.Lfunc_end232:
	.size	_ZN9rocsparseL19gebsrmvn_2xn_kernelILj128ELj1ELj64E21rocsparse_complex_numIdEEEvi20rocsparse_direction_NS_24const_host_device_scalarIT2_EEPKiS8_PKS5_SA_S6_PS5_21rocsparse_index_base_b, .Lfunc_end232-_ZN9rocsparseL19gebsrmvn_2xn_kernelILj128ELj1ELj64E21rocsparse_complex_numIdEEEvi20rocsparse_direction_NS_24const_host_device_scalarIT2_EEPKiS8_PKS5_SA_S6_PS5_21rocsparse_index_base_b
                                        ; -- End function
	.section	.AMDGPU.csdata,"",@progbits
; Kernel info:
; codeLenInByte = 1712
; NumSgprs: 26
; NumVgprs: 38
; NumAgprs: 0
; TotalNumVgprs: 38
; ScratchSize: 0
; MemoryBound: 0
; FloatMode: 240
; IeeeMode: 1
; LDSByteSize: 2048 bytes/workgroup (compile time only)
; SGPRBlocks: 3
; VGPRBlocks: 4
; NumSGPRsForWavesPerEU: 26
; NumVGPRsForWavesPerEU: 38
; AccumOffset: 40
; Occupancy: 8
; WaveLimiterHint : 1
; COMPUTE_PGM_RSRC2:SCRATCH_EN: 0
; COMPUTE_PGM_RSRC2:USER_SGPR: 4
; COMPUTE_PGM_RSRC2:TRAP_HANDLER: 0
; COMPUTE_PGM_RSRC2:TGID_X_EN: 1
; COMPUTE_PGM_RSRC2:TGID_Y_EN: 0
; COMPUTE_PGM_RSRC2:TGID_Z_EN: 0
; COMPUTE_PGM_RSRC2:TIDIG_COMP_CNT: 2
; COMPUTE_PGM_RSRC3_GFX90A:ACCUM_OFFSET: 9
; COMPUTE_PGM_RSRC3_GFX90A:TG_SPLIT: 0
	.section	.text._ZN9rocsparseL19gebsrmvn_2xn_kernelILj128ELj3ELj4E21rocsparse_complex_numIdEEEvi20rocsparse_direction_NS_24const_host_device_scalarIT2_EEPKiS8_PKS5_SA_S6_PS5_21rocsparse_index_base_b,"axG",@progbits,_ZN9rocsparseL19gebsrmvn_2xn_kernelILj128ELj3ELj4E21rocsparse_complex_numIdEEEvi20rocsparse_direction_NS_24const_host_device_scalarIT2_EEPKiS8_PKS5_SA_S6_PS5_21rocsparse_index_base_b,comdat
	.globl	_ZN9rocsparseL19gebsrmvn_2xn_kernelILj128ELj3ELj4E21rocsparse_complex_numIdEEEvi20rocsparse_direction_NS_24const_host_device_scalarIT2_EEPKiS8_PKS5_SA_S6_PS5_21rocsparse_index_base_b ; -- Begin function _ZN9rocsparseL19gebsrmvn_2xn_kernelILj128ELj3ELj4E21rocsparse_complex_numIdEEEvi20rocsparse_direction_NS_24const_host_device_scalarIT2_EEPKiS8_PKS5_SA_S6_PS5_21rocsparse_index_base_b
	.p2align	8
	.type	_ZN9rocsparseL19gebsrmvn_2xn_kernelILj128ELj3ELj4E21rocsparse_complex_numIdEEEvi20rocsparse_direction_NS_24const_host_device_scalarIT2_EEPKiS8_PKS5_SA_S6_PS5_21rocsparse_index_base_b,@function
_ZN9rocsparseL19gebsrmvn_2xn_kernelILj128ELj3ELj4E21rocsparse_complex_numIdEEEvi20rocsparse_direction_NS_24const_host_device_scalarIT2_EEPKiS8_PKS5_SA_S6_PS5_21rocsparse_index_base_b: ; @_ZN9rocsparseL19gebsrmvn_2xn_kernelILj128ELj3ELj4E21rocsparse_complex_numIdEEEvi20rocsparse_direction_NS_24const_host_device_scalarIT2_EEPKiS8_PKS5_SA_S6_PS5_21rocsparse_index_base_b
; %bb.0:
	s_load_dwordx2 s[16:17], s[2:3], 0x50
	s_load_dwordx4 s[12:15], s[2:3], 0x8
	s_load_dwordx4 s[8:11], s[2:3], 0x38
	s_load_dwordx2 s[18:19], s[0:1], 0x4
	s_mov_b64 s[6:7], src_shared_base
	s_waitcnt lgkmcnt(0)
	s_bitcmp1_b32 s17, 0
	s_cselect_b64 s[0:1], -1, 0
	s_and_b64 vcc, s[0:1], exec
	s_cselect_b32 s5, s7, s13
	s_lshr_b32 s6, s18, 16
	v_bfe_u32 v1, v0, 10, 10
	v_and_b32_e32 v10, 0x3ff, v0
	s_mul_i32 s6, s6, s19
	v_mul_u32_u24_e32 v1, s19, v1
	v_mad_u32_u24 v1, s6, v10, v1
	v_bfe_u32 v0, v0, 20, 10
	v_add_lshl_u32 v4, v1, v0, 3
	v_mov_b32_e32 v5, s12
	v_add_u32_e32 v6, 0x400, v4
	v_mov_b64_e32 v[0:1], s[12:13]
	v_mov_b64_e32 v[2:3], s[8:9]
	ds_write2st64_b64 v4, v[2:3], v[0:1] offset1:2
	v_cndmask_b32_e64 v0, v5, v6, s[0:1]
	v_mov_b32_e32 v1, s5
	flat_load_dwordx2 v[0:1], v[0:1]
	s_xor_b64 s[18:19], s[0:1], -1
	v_mov_b64_e32 v[2:3], s[14:15]
	s_cbranch_vccnz .LBB233_2
; %bb.1:
	v_mov_b64_e32 v[2:3], s[12:13]
	flat_load_dwordx2 v[2:3], v[2:3] offset:8
.LBB233_2:
	s_and_b64 s[12:13], s[0:1], exec
	s_cselect_b32 s5, s7, s9
	v_mov_b32_e32 v5, s8
	v_cndmask_b32_e64 v4, v5, v4, s[0:1]
	v_mov_b32_e32 v5, s5
	flat_load_dwordx2 v[4:5], v[4:5]
	s_andn2_b64 vcc, exec, s[18:19]
	v_mov_b64_e32 v[6:7], s[10:11]
	s_cbranch_vccnz .LBB233_4
; %bb.3:
	v_mov_b64_e32 v[6:7], s[8:9]
	flat_load_dwordx2 v[6:7], v[6:7] offset:8
.LBB233_4:
	s_waitcnt vmcnt(0) lgkmcnt(0)
	v_cmp_eq_f64_e32 vcc, 0, v[0:1]
	v_cmp_eq_f64_e64 s[0:1], 0, v[2:3]
	s_and_b64 s[8:9], vcc, s[0:1]
	s_mov_b64 s[0:1], -1
	s_and_saveexec_b64 s[6:7], s[8:9]
; %bb.5:
	v_cmp_neq_f64_e32 vcc, 1.0, v[4:5]
	v_cmp_neq_f64_e64 s[0:1], 0, v[6:7]
	s_or_b64 s[0:1], vcc, s[0:1]
	s_orn2_b64 s[0:1], s[0:1], exec
; %bb.6:
	s_or_b64 exec, exec, s[6:7]
	s_and_saveexec_b64 s[6:7], s[0:1]
	s_cbranch_execz .LBB233_25
; %bb.7:
	s_load_dwordx2 s[0:1], s[2:3], 0x0
	v_lshrrev_b32_e32 v8, 2, v10
	v_lshl_or_b32 v8, s4, 5, v8
	s_waitcnt lgkmcnt(0)
	v_cmp_gt_i32_e32 vcc, s0, v8
	s_and_b64 exec, exec, vcc
	s_cbranch_execz .LBB233_25
; %bb.8:
	s_load_dwordx8 s[4:11], s[2:3], 0x18
	v_ashrrev_i32_e32 v9, 31, v8
	s_cmp_lg_u32 s1, 0
	s_waitcnt lgkmcnt(0)
	v_lshl_add_u64 v[12:13], v[8:9], 2, s[4:5]
	global_load_dwordx2 v[12:13], v[12:13], off
	v_and_b32_e32 v9, 3, v10
	s_waitcnt vmcnt(0)
	v_subrev_u32_e32 v10, s16, v12
	v_subrev_u32_e32 v24, s16, v13
	v_add_u32_e32 v14, v10, v9
	v_cmp_lt_i32_e64 s[0:1], v14, v24
	s_cbranch_scc0 .LBB233_14
; %bb.9:
	v_mov_b64_e32 v[10:11], 0
	s_mov_b64 s[4:5], 0
	v_mov_b64_e32 v[18:19], v[10:11]
	v_mov_b64_e32 v[16:17], v[10:11]
	;; [unrolled: 1-line block ×3, first 2 shown]
	s_and_saveexec_b64 s[12:13], s[0:1]
	s_cbranch_execz .LBB233_13
; %bb.10:
	v_mov_b64_e32 v[10:11], 0
	v_mul_lo_u32 v20, v14, 6
	s_mov_b64 s[14:15], 0
	v_mov_b32_e32 v21, 0
	v_mov_b32_e32 v22, v14
	v_mov_b64_e32 v[18:19], v[10:11]
	v_mov_b64_e32 v[16:17], v[10:11]
	;; [unrolled: 1-line block ×3, first 2 shown]
.LBB233_11:                             ; =>This Inner Loop Header: Depth=1
	v_ashrrev_i32_e32 v23, 31, v22
	v_lshl_add_u64 v[26:27], v[22:23], 2, s[6:7]
	global_load_dword v15, v[26:27], off
	v_add_u32_e32 v36, 2, v20
	v_mov_b32_e32 v37, v21
	v_lshl_add_u64 v[34:35], v[20:21], 4, s[8:9]
	v_mov_b32_e32 v51, v21
	v_add_u32_e32 v38, 4, v20
	v_mov_b32_e32 v39, v21
	v_lshl_add_u64 v[52:53], v[36:37], 4, s[8:9]
	global_load_dwordx4 v[26:29], v[34:35], off offset:16
	global_load_dwordx4 v[30:33], v[34:35], off
	v_lshl_add_u64 v[58:59], v[38:39], 4, s[8:9]
	global_load_dwordx4 v[34:37], v[52:53], off offset:16
	global_load_dwordx4 v[38:41], v[52:53], off
	global_load_dwordx4 v[42:45], v[58:59], off offset:16
	global_load_dwordx4 v[46:49], v[58:59], off
	v_mov_b32_e32 v55, v21
	v_mov_b32_e32 v57, v21
	v_add_u32_e32 v22, 4, v22
	v_cmp_ge_i32_e32 vcc, v22, v24
	v_add_u32_e32 v20, 24, v20
	s_or_b64 s[14:15], vcc, s[14:15]
	s_waitcnt vmcnt(6)
	v_subrev_u32_e32 v15, s16, v15
	v_lshl_add_u32 v50, v15, 1, v15
	v_lshl_add_u64 v[52:53], v[50:51], 4, s[10:11]
	v_add_u32_e32 v54, 1, v50
	v_add_u32_e32 v56, 2, v50
	global_load_dwordx4 v[50:53], v[52:53], off
	v_lshl_add_u64 v[62:63], v[54:55], 4, s[10:11]
	v_lshl_add_u64 v[64:65], v[56:57], 4, s[10:11]
	global_load_dwordx4 v[54:57], v[62:63], off
	global_load_dwordx4 v[58:61], v[64:65], off
	s_waitcnt vmcnt(2)
	v_fmac_f64_e32 v[18:19], v[30:31], v[50:51]
	v_fmac_f64_e32 v[10:11], v[32:33], v[50:51]
	v_fmac_f64_e32 v[16:17], v[26:27], v[50:51]
	v_fmac_f64_e32 v[12:13], v[28:29], v[50:51]
	v_fma_f64 v[18:19], -v[32:33], v[52:53], v[18:19]
	v_fmac_f64_e32 v[10:11], v[30:31], v[52:53]
	v_fma_f64 v[16:17], -v[28:29], v[52:53], v[16:17]
	v_fmac_f64_e32 v[12:13], v[26:27], v[52:53]
	s_waitcnt vmcnt(1)
	v_fmac_f64_e32 v[18:19], v[38:39], v[54:55]
	v_fmac_f64_e32 v[10:11], v[40:41], v[54:55]
	v_fmac_f64_e32 v[16:17], v[34:35], v[54:55]
	v_fmac_f64_e32 v[12:13], v[36:37], v[54:55]
	v_fma_f64 v[18:19], -v[40:41], v[56:57], v[18:19]
	v_fmac_f64_e32 v[10:11], v[38:39], v[56:57]
	v_fma_f64 v[16:17], -v[36:37], v[56:57], v[16:17]
	v_fmac_f64_e32 v[12:13], v[34:35], v[56:57]
	;; [unrolled: 9-line block ×3, first 2 shown]
	s_andn2_b64 exec, exec, s[14:15]
	s_cbranch_execnz .LBB233_11
; %bb.12:
	s_or_b64 exec, exec, s[14:15]
.LBB233_13:
	s_or_b64 exec, exec, s[12:13]
	s_andn2_b64 vcc, exec, s[4:5]
	s_cbranch_vccz .LBB233_15
	s_branch .LBB233_20
.LBB233_14:
                                        ; implicit-def: $vgpr10_vgpr11
                                        ; implicit-def: $vgpr18_vgpr19
                                        ; implicit-def: $vgpr16_vgpr17
                                        ; implicit-def: $vgpr12_vgpr13
.LBB233_15:
	v_mov_b64_e32 v[10:11], 0
	v_mov_b64_e32 v[18:19], v[10:11]
	;; [unrolled: 1-line block ×4, first 2 shown]
	s_and_saveexec_b64 s[4:5], s[0:1]
	s_cbranch_execz .LBB233_19
; %bb.16:
	v_mad_u64_u32 v[20:21], s[0:1], v14, 6, 5
	v_mov_b64_e32 v[10:11], 0
	s_mov_b64 s[0:1], 0
	v_mov_b32_e32 v23, 0
	v_mov_b64_e32 v[18:19], v[10:11]
	v_mov_b64_e32 v[16:17], v[10:11]
	;; [unrolled: 1-line block ×3, first 2 shown]
.LBB233_17:                             ; =>This Inner Loop Header: Depth=1
	v_ashrrev_i32_e32 v15, 31, v14
	v_lshl_add_u64 v[26:27], v[14:15], 2, s[6:7]
	global_load_dword v15, v[26:27], off
	v_add_u32_e32 v22, -5, v20
	v_add_u32_e32 v26, -2, v20
	v_mov_b32_e32 v55, v23
	v_mov_b32_e32 v27, v23
	;; [unrolled: 1-line block ×3, first 2 shown]
	v_lshl_add_u64 v[42:43], v[22:23], 4, s[8:9]
	v_lshl_add_u64 v[44:45], v[26:27], 4, s[8:9]
	;; [unrolled: 1-line block ×3, first 2 shown]
	global_load_dwordx4 v[26:29], v[42:43], off offset:16
	global_load_dwordx4 v[30:33], v[42:43], off
	global_load_dwordx4 v[34:37], v[44:45], off
	;; [unrolled: 1-line block ×3, first 2 shown]
	v_add_u32_e32 v14, 4, v14
	v_cmp_ge_i32_e32 vcc, v14, v24
	s_or_b64 s[0:1], vcc, s[0:1]
	s_waitcnt vmcnt(4)
	v_subrev_u32_e32 v15, s16, v15
	v_lshl_add_u32 v54, v15, 1, v15
	v_lshl_add_u64 v[42:43], v[54:55], 4, s[10:11]
	v_add_u32_e32 v22, 1, v54
	global_load_dwordx4 v[42:45], v[42:43], off
	v_lshl_add_u64 v[46:47], v[22:23], 4, s[10:11]
	global_load_dwordx4 v[46:49], v[46:47], off
	v_add_u32_e32 v22, -1, v20
	v_lshl_add_u64 v[50:51], v[22:23], 4, s[8:9]
	v_add_u32_e32 v22, -3, v20
	global_load_dwordx4 v[50:53], v[50:51], off
	v_lshl_add_u64 v[56:57], v[22:23], 4, s[8:9]
	v_add_u32_e32 v22, 2, v54
	global_load_dwordx4 v[54:57], v[56:57], off
	v_lshl_add_u64 v[58:59], v[22:23], 4, s[10:11]
	global_load_dwordx4 v[58:61], v[58:59], off
	v_add_u32_e32 v20, 24, v20
	s_waitcnt vmcnt(4)
	v_fmac_f64_e32 v[18:19], v[30:31], v[42:43]
	v_fmac_f64_e32 v[10:11], v[32:33], v[42:43]
	;; [unrolled: 1-line block ×4, first 2 shown]
	v_fma_f64 v[18:19], -v[32:33], v[44:45], v[18:19]
	v_fmac_f64_e32 v[10:11], v[30:31], v[44:45]
	v_fma_f64 v[16:17], -v[36:37], v[44:45], v[16:17]
	v_fmac_f64_e32 v[12:13], v[34:35], v[44:45]
	s_waitcnt vmcnt(3)
	v_fmac_f64_e32 v[18:19], v[26:27], v[46:47]
	v_fmac_f64_e32 v[10:11], v[28:29], v[46:47]
	s_waitcnt vmcnt(2)
	v_fmac_f64_e32 v[16:17], v[50:51], v[46:47]
	v_fmac_f64_e32 v[12:13], v[52:53], v[46:47]
	v_fma_f64 v[18:19], -v[28:29], v[48:49], v[18:19]
	v_fmac_f64_e32 v[10:11], v[26:27], v[48:49]
	v_fma_f64 v[16:17], -v[52:53], v[48:49], v[16:17]
	v_fmac_f64_e32 v[12:13], v[50:51], v[48:49]
	s_waitcnt vmcnt(0)
	v_fmac_f64_e32 v[18:19], v[54:55], v[58:59]
	v_fmac_f64_e32 v[10:11], v[56:57], v[58:59]
	;; [unrolled: 1-line block ×4, first 2 shown]
	v_fma_f64 v[18:19], -v[56:57], v[60:61], v[18:19]
	v_fmac_f64_e32 v[10:11], v[54:55], v[60:61]
	v_fma_f64 v[16:17], -v[40:41], v[60:61], v[16:17]
	v_fmac_f64_e32 v[12:13], v[38:39], v[60:61]
	s_andn2_b64 exec, exec, s[0:1]
	s_cbranch_execnz .LBB233_17
; %bb.18:
	s_or_b64 exec, exec, s[0:1]
.LBB233_19:
	s_or_b64 exec, exec, s[4:5]
.LBB233_20:
	v_mov_b32_dpp v22, v16 row_shr:1 row_mask:0xf bank_mask:0xf
	v_mov_b32_dpp v23, v17 row_shr:1 row_mask:0xf bank_mask:0xf
	;; [unrolled: 1-line block ×6, first 2 shown]
	v_add_f64 v[22:23], v[16:17], v[22:23]
	v_mov_b32_dpp v16, v12 row_shr:1 row_mask:0xf bank_mask:0xf
	v_mov_b32_dpp v17, v13 row_shr:1 row_mask:0xf bank_mask:0xf
	v_add_f64 v[14:15], v[18:19], v[14:15]
	v_add_f64 v[10:11], v[10:11], v[20:21]
	;; [unrolled: 1-line block ×3, first 2 shown]
	v_mov_b32_dpp v18, v14 row_shr:2 row_mask:0xf bank_mask:0xf
	v_mov_b32_dpp v19, v15 row_shr:2 row_mask:0xf bank_mask:0xf
	;; [unrolled: 1-line block ×8, first 2 shown]
	v_cmp_eq_u32_e32 vcc, 3, v9
	s_and_b64 exec, exec, vcc
	s_cbranch_execz .LBB233_25
; %bb.21:
	s_load_dwordx2 s[2:3], s[2:3], 0x48
	v_cmp_eq_f64_e32 vcc, 0, v[4:5]
	v_cmp_eq_f64_e64 s[0:1], 0, v[6:7]
	v_add_f64 v[14:15], v[14:15], v[18:19]
	v_add_f64 v[16:17], v[10:11], v[20:21]
	;; [unrolled: 1-line block ×4, first 2 shown]
	s_and_b64 s[0:1], vcc, s[0:1]
	s_and_saveexec_b64 s[4:5], s[0:1]
	s_xor_b64 s[0:1], exec, s[4:5]
	s_cbranch_execz .LBB233_23
; %bb.22:
	v_lshlrev_b32_e32 v8, 1, v8
	v_mul_f64 v[4:5], v[16:17], -v[2:3]
	v_mul_f64 v[6:7], v[0:1], v[16:17]
	v_ashrrev_i32_e32 v9, 31, v8
	v_fmac_f64_e32 v[4:5], v[0:1], v[14:15]
	v_fmac_f64_e32 v[6:7], v[2:3], v[14:15]
	s_waitcnt lgkmcnt(0)
	v_lshl_add_u64 v[8:9], v[8:9], 4, s[2:3]
	global_store_dwordx4 v[8:9], v[4:7], off
                                        ; implicit-def: $vgpr14_vgpr15
                                        ; implicit-def: $vgpr16_vgpr17
	s_nop 1
	v_mul_f64 v[4:5], v[12:13], -v[2:3]
	v_mul_f64 v[6:7], v[0:1], v[12:13]
	v_fmac_f64_e32 v[4:5], v[0:1], v[10:11]
	v_fmac_f64_e32 v[6:7], v[2:3], v[10:11]
	global_store_dwordx4 v[8:9], v[4:7], off offset:16
                                        ; implicit-def: $vgpr0_vgpr1
                                        ; implicit-def: $vgpr2_vgpr3
                                        ; implicit-def: $vgpr4_vgpr5
                                        ; implicit-def: $vgpr6_vgpr7
                                        ; implicit-def: $vgpr8
                                        ; implicit-def: $vgpr10_vgpr11
                                        ; implicit-def: $vgpr12_vgpr13
.LBB233_23:
	s_andn2_saveexec_b64 s[0:1], s[0:1]
	s_cbranch_execz .LBB233_25
; %bb.24:
	v_lshlrev_b32_e32 v8, 1, v8
	v_ashrrev_i32_e32 v9, 31, v8
	s_waitcnt lgkmcnt(0)
	v_lshl_add_u64 v[26:27], v[8:9], 4, s[2:3]
	global_load_dwordx4 v[18:21], v[26:27], off
	global_load_dwordx4 v[22:25], v[26:27], off offset:16
	v_mul_f64 v[28:29], v[16:17], -v[2:3]
	v_mul_f64 v[16:17], v[0:1], v[16:17]
	v_mul_f64 v[30:31], v[12:13], -v[2:3]
	v_mul_f64 v[8:9], v[0:1], v[12:13]
	v_fmac_f64_e32 v[28:29], v[0:1], v[14:15]
	v_fmac_f64_e32 v[16:17], v[2:3], v[14:15]
	;; [unrolled: 1-line block ×4, first 2 shown]
	s_waitcnt vmcnt(1)
	v_fmac_f64_e32 v[28:29], v[4:5], v[18:19]
	v_fmac_f64_e32 v[16:17], v[6:7], v[18:19]
	s_waitcnt vmcnt(0)
	v_fmac_f64_e32 v[30:31], v[4:5], v[22:23]
	v_fmac_f64_e32 v[8:9], v[6:7], v[22:23]
	v_fma_f64 v[14:15], -v[6:7], v[20:21], v[28:29]
	v_fmac_f64_e32 v[16:17], v[4:5], v[20:21]
	v_fma_f64 v[6:7], -v[6:7], v[24:25], v[30:31]
	v_fmac_f64_e32 v[8:9], v[4:5], v[24:25]
	global_store_dwordx4 v[26:27], v[14:17], off
	global_store_dwordx4 v[26:27], v[6:9], off offset:16
.LBB233_25:
	s_endpgm
	.section	.rodata,"a",@progbits
	.p2align	6, 0x0
	.amdhsa_kernel _ZN9rocsparseL19gebsrmvn_2xn_kernelILj128ELj3ELj4E21rocsparse_complex_numIdEEEvi20rocsparse_direction_NS_24const_host_device_scalarIT2_EEPKiS8_PKS5_SA_S6_PS5_21rocsparse_index_base_b
		.amdhsa_group_segment_fixed_size 2048
		.amdhsa_private_segment_fixed_size 0
		.amdhsa_kernarg_size 88
		.amdhsa_user_sgpr_count 4
		.amdhsa_user_sgpr_dispatch_ptr 1
		.amdhsa_user_sgpr_queue_ptr 0
		.amdhsa_user_sgpr_kernarg_segment_ptr 1
		.amdhsa_user_sgpr_dispatch_id 0
		.amdhsa_user_sgpr_kernarg_preload_length 0
		.amdhsa_user_sgpr_kernarg_preload_offset 0
		.amdhsa_user_sgpr_private_segment_size 0
		.amdhsa_uses_dynamic_stack 0
		.amdhsa_enable_private_segment 0
		.amdhsa_system_sgpr_workgroup_id_x 1
		.amdhsa_system_sgpr_workgroup_id_y 0
		.amdhsa_system_sgpr_workgroup_id_z 0
		.amdhsa_system_sgpr_workgroup_info 0
		.amdhsa_system_vgpr_workitem_id 2
		.amdhsa_next_free_vgpr 66
		.amdhsa_next_free_sgpr 20
		.amdhsa_accum_offset 68
		.amdhsa_reserve_vcc 1
		.amdhsa_float_round_mode_32 0
		.amdhsa_float_round_mode_16_64 0
		.amdhsa_float_denorm_mode_32 3
		.amdhsa_float_denorm_mode_16_64 3
		.amdhsa_dx10_clamp 1
		.amdhsa_ieee_mode 1
		.amdhsa_fp16_overflow 0
		.amdhsa_tg_split 0
		.amdhsa_exception_fp_ieee_invalid_op 0
		.amdhsa_exception_fp_denorm_src 0
		.amdhsa_exception_fp_ieee_div_zero 0
		.amdhsa_exception_fp_ieee_overflow 0
		.amdhsa_exception_fp_ieee_underflow 0
		.amdhsa_exception_fp_ieee_inexact 0
		.amdhsa_exception_int_div_zero 0
	.end_amdhsa_kernel
	.section	.text._ZN9rocsparseL19gebsrmvn_2xn_kernelILj128ELj3ELj4E21rocsparse_complex_numIdEEEvi20rocsparse_direction_NS_24const_host_device_scalarIT2_EEPKiS8_PKS5_SA_S6_PS5_21rocsparse_index_base_b,"axG",@progbits,_ZN9rocsparseL19gebsrmvn_2xn_kernelILj128ELj3ELj4E21rocsparse_complex_numIdEEEvi20rocsparse_direction_NS_24const_host_device_scalarIT2_EEPKiS8_PKS5_SA_S6_PS5_21rocsparse_index_base_b,comdat
.Lfunc_end233:
	.size	_ZN9rocsparseL19gebsrmvn_2xn_kernelILj128ELj3ELj4E21rocsparse_complex_numIdEEEvi20rocsparse_direction_NS_24const_host_device_scalarIT2_EEPKiS8_PKS5_SA_S6_PS5_21rocsparse_index_base_b, .Lfunc_end233-_ZN9rocsparseL19gebsrmvn_2xn_kernelILj128ELj3ELj4E21rocsparse_complex_numIdEEEvi20rocsparse_direction_NS_24const_host_device_scalarIT2_EEPKiS8_PKS5_SA_S6_PS5_21rocsparse_index_base_b
                                        ; -- End function
	.section	.AMDGPU.csdata,"",@progbits
; Kernel info:
; codeLenInByte = 1752
; NumSgprs: 26
; NumVgprs: 66
; NumAgprs: 0
; TotalNumVgprs: 66
; ScratchSize: 0
; MemoryBound: 0
; FloatMode: 240
; IeeeMode: 1
; LDSByteSize: 2048 bytes/workgroup (compile time only)
; SGPRBlocks: 3
; VGPRBlocks: 8
; NumSGPRsForWavesPerEU: 26
; NumVGPRsForWavesPerEU: 66
; AccumOffset: 68
; Occupancy: 7
; WaveLimiterHint : 1
; COMPUTE_PGM_RSRC2:SCRATCH_EN: 0
; COMPUTE_PGM_RSRC2:USER_SGPR: 4
; COMPUTE_PGM_RSRC2:TRAP_HANDLER: 0
; COMPUTE_PGM_RSRC2:TGID_X_EN: 1
; COMPUTE_PGM_RSRC2:TGID_Y_EN: 0
; COMPUTE_PGM_RSRC2:TGID_Z_EN: 0
; COMPUTE_PGM_RSRC2:TIDIG_COMP_CNT: 2
; COMPUTE_PGM_RSRC3_GFX90A:ACCUM_OFFSET: 16
; COMPUTE_PGM_RSRC3_GFX90A:TG_SPLIT: 0
	.section	.text._ZN9rocsparseL19gebsrmvn_2xn_kernelILj128ELj3ELj8E21rocsparse_complex_numIdEEEvi20rocsparse_direction_NS_24const_host_device_scalarIT2_EEPKiS8_PKS5_SA_S6_PS5_21rocsparse_index_base_b,"axG",@progbits,_ZN9rocsparseL19gebsrmvn_2xn_kernelILj128ELj3ELj8E21rocsparse_complex_numIdEEEvi20rocsparse_direction_NS_24const_host_device_scalarIT2_EEPKiS8_PKS5_SA_S6_PS5_21rocsparse_index_base_b,comdat
	.globl	_ZN9rocsparseL19gebsrmvn_2xn_kernelILj128ELj3ELj8E21rocsparse_complex_numIdEEEvi20rocsparse_direction_NS_24const_host_device_scalarIT2_EEPKiS8_PKS5_SA_S6_PS5_21rocsparse_index_base_b ; -- Begin function _ZN9rocsparseL19gebsrmvn_2xn_kernelILj128ELj3ELj8E21rocsparse_complex_numIdEEEvi20rocsparse_direction_NS_24const_host_device_scalarIT2_EEPKiS8_PKS5_SA_S6_PS5_21rocsparse_index_base_b
	.p2align	8
	.type	_ZN9rocsparseL19gebsrmvn_2xn_kernelILj128ELj3ELj8E21rocsparse_complex_numIdEEEvi20rocsparse_direction_NS_24const_host_device_scalarIT2_EEPKiS8_PKS5_SA_S6_PS5_21rocsparse_index_base_b,@function
_ZN9rocsparseL19gebsrmvn_2xn_kernelILj128ELj3ELj8E21rocsparse_complex_numIdEEEvi20rocsparse_direction_NS_24const_host_device_scalarIT2_EEPKiS8_PKS5_SA_S6_PS5_21rocsparse_index_base_b: ; @_ZN9rocsparseL19gebsrmvn_2xn_kernelILj128ELj3ELj8E21rocsparse_complex_numIdEEEvi20rocsparse_direction_NS_24const_host_device_scalarIT2_EEPKiS8_PKS5_SA_S6_PS5_21rocsparse_index_base_b
; %bb.0:
	s_load_dwordx2 s[16:17], s[2:3], 0x50
	s_load_dwordx4 s[12:15], s[2:3], 0x8
	s_load_dwordx4 s[8:11], s[2:3], 0x38
	s_load_dwordx2 s[18:19], s[0:1], 0x4
	s_mov_b64 s[6:7], src_shared_base
	s_waitcnt lgkmcnt(0)
	s_bitcmp1_b32 s17, 0
	s_cselect_b64 s[0:1], -1, 0
	s_and_b64 vcc, s[0:1], exec
	s_cselect_b32 s5, s7, s13
	s_lshr_b32 s6, s18, 16
	v_bfe_u32 v1, v0, 10, 10
	v_and_b32_e32 v10, 0x3ff, v0
	s_mul_i32 s6, s6, s19
	v_mul_u32_u24_e32 v1, s19, v1
	v_mad_u32_u24 v1, s6, v10, v1
	v_bfe_u32 v0, v0, 20, 10
	v_add_lshl_u32 v4, v1, v0, 3
	v_mov_b32_e32 v5, s12
	v_add_u32_e32 v6, 0x400, v4
	v_mov_b64_e32 v[0:1], s[12:13]
	v_mov_b64_e32 v[2:3], s[8:9]
	ds_write2st64_b64 v4, v[2:3], v[0:1] offset1:2
	v_cndmask_b32_e64 v0, v5, v6, s[0:1]
	v_mov_b32_e32 v1, s5
	flat_load_dwordx2 v[0:1], v[0:1]
	s_xor_b64 s[18:19], s[0:1], -1
	v_mov_b64_e32 v[2:3], s[14:15]
	s_cbranch_vccnz .LBB234_2
; %bb.1:
	v_mov_b64_e32 v[2:3], s[12:13]
	flat_load_dwordx2 v[2:3], v[2:3] offset:8
.LBB234_2:
	s_and_b64 s[12:13], s[0:1], exec
	s_cselect_b32 s5, s7, s9
	v_mov_b32_e32 v5, s8
	v_cndmask_b32_e64 v4, v5, v4, s[0:1]
	v_mov_b32_e32 v5, s5
	flat_load_dwordx2 v[4:5], v[4:5]
	s_andn2_b64 vcc, exec, s[18:19]
	v_mov_b64_e32 v[6:7], s[10:11]
	s_cbranch_vccnz .LBB234_4
; %bb.3:
	v_mov_b64_e32 v[6:7], s[8:9]
	flat_load_dwordx2 v[6:7], v[6:7] offset:8
.LBB234_4:
	s_waitcnt vmcnt(0) lgkmcnt(0)
	v_cmp_eq_f64_e32 vcc, 0, v[0:1]
	v_cmp_eq_f64_e64 s[0:1], 0, v[2:3]
	s_and_b64 s[8:9], vcc, s[0:1]
	s_mov_b64 s[0:1], -1
	s_and_saveexec_b64 s[6:7], s[8:9]
; %bb.5:
	v_cmp_neq_f64_e32 vcc, 1.0, v[4:5]
	v_cmp_neq_f64_e64 s[0:1], 0, v[6:7]
	s_or_b64 s[0:1], vcc, s[0:1]
	s_orn2_b64 s[0:1], s[0:1], exec
; %bb.6:
	s_or_b64 exec, exec, s[6:7]
	s_and_saveexec_b64 s[6:7], s[0:1]
	s_cbranch_execz .LBB234_25
; %bb.7:
	s_load_dwordx2 s[0:1], s[2:3], 0x0
	v_lshrrev_b32_e32 v8, 3, v10
	v_lshl_or_b32 v8, s4, 4, v8
	s_waitcnt lgkmcnt(0)
	v_cmp_gt_i32_e32 vcc, s0, v8
	s_and_b64 exec, exec, vcc
	s_cbranch_execz .LBB234_25
; %bb.8:
	s_load_dwordx8 s[4:11], s[2:3], 0x18
	v_ashrrev_i32_e32 v9, 31, v8
	s_cmp_lg_u32 s1, 0
	s_waitcnt lgkmcnt(0)
	v_lshl_add_u64 v[12:13], v[8:9], 2, s[4:5]
	global_load_dwordx2 v[12:13], v[12:13], off
	v_and_b32_e32 v9, 7, v10
	s_waitcnt vmcnt(0)
	v_subrev_u32_e32 v10, s16, v12
	v_subrev_u32_e32 v24, s16, v13
	v_add_u32_e32 v14, v10, v9
	v_cmp_lt_i32_e64 s[0:1], v14, v24
	s_cbranch_scc0 .LBB234_14
; %bb.9:
	v_mov_b64_e32 v[10:11], 0
	s_mov_b64 s[4:5], 0
	v_mov_b64_e32 v[18:19], v[10:11]
	v_mov_b64_e32 v[16:17], v[10:11]
	;; [unrolled: 1-line block ×3, first 2 shown]
	s_and_saveexec_b64 s[12:13], s[0:1]
	s_cbranch_execz .LBB234_13
; %bb.10:
	v_mov_b64_e32 v[10:11], 0
	v_mul_lo_u32 v20, v14, 6
	s_mov_b64 s[14:15], 0
	v_mov_b32_e32 v21, 0
	v_mov_b32_e32 v22, v14
	v_mov_b64_e32 v[18:19], v[10:11]
	v_mov_b64_e32 v[16:17], v[10:11]
	;; [unrolled: 1-line block ×3, first 2 shown]
.LBB234_11:                             ; =>This Inner Loop Header: Depth=1
	v_ashrrev_i32_e32 v23, 31, v22
	v_lshl_add_u64 v[26:27], v[22:23], 2, s[6:7]
	global_load_dword v15, v[26:27], off
	v_add_u32_e32 v36, 2, v20
	v_mov_b32_e32 v37, v21
	v_lshl_add_u64 v[34:35], v[20:21], 4, s[8:9]
	v_mov_b32_e32 v51, v21
	v_add_u32_e32 v38, 4, v20
	v_mov_b32_e32 v39, v21
	v_lshl_add_u64 v[52:53], v[36:37], 4, s[8:9]
	global_load_dwordx4 v[26:29], v[34:35], off offset:16
	global_load_dwordx4 v[30:33], v[34:35], off
	v_lshl_add_u64 v[58:59], v[38:39], 4, s[8:9]
	global_load_dwordx4 v[34:37], v[52:53], off offset:16
	global_load_dwordx4 v[38:41], v[52:53], off
	global_load_dwordx4 v[42:45], v[58:59], off offset:16
	global_load_dwordx4 v[46:49], v[58:59], off
	v_mov_b32_e32 v55, v21
	v_mov_b32_e32 v57, v21
	v_add_u32_e32 v22, 8, v22
	v_cmp_ge_i32_e32 vcc, v22, v24
	v_add_u32_e32 v20, 48, v20
	s_or_b64 s[14:15], vcc, s[14:15]
	s_waitcnt vmcnt(6)
	v_subrev_u32_e32 v15, s16, v15
	v_lshl_add_u32 v50, v15, 1, v15
	v_lshl_add_u64 v[52:53], v[50:51], 4, s[10:11]
	v_add_u32_e32 v54, 1, v50
	v_add_u32_e32 v56, 2, v50
	global_load_dwordx4 v[50:53], v[52:53], off
	v_lshl_add_u64 v[62:63], v[54:55], 4, s[10:11]
	v_lshl_add_u64 v[64:65], v[56:57], 4, s[10:11]
	global_load_dwordx4 v[54:57], v[62:63], off
	global_load_dwordx4 v[58:61], v[64:65], off
	s_waitcnt vmcnt(2)
	v_fmac_f64_e32 v[18:19], v[30:31], v[50:51]
	v_fmac_f64_e32 v[10:11], v[32:33], v[50:51]
	v_fmac_f64_e32 v[16:17], v[26:27], v[50:51]
	v_fmac_f64_e32 v[12:13], v[28:29], v[50:51]
	v_fma_f64 v[18:19], -v[32:33], v[52:53], v[18:19]
	v_fmac_f64_e32 v[10:11], v[30:31], v[52:53]
	v_fma_f64 v[16:17], -v[28:29], v[52:53], v[16:17]
	v_fmac_f64_e32 v[12:13], v[26:27], v[52:53]
	s_waitcnt vmcnt(1)
	v_fmac_f64_e32 v[18:19], v[38:39], v[54:55]
	v_fmac_f64_e32 v[10:11], v[40:41], v[54:55]
	v_fmac_f64_e32 v[16:17], v[34:35], v[54:55]
	v_fmac_f64_e32 v[12:13], v[36:37], v[54:55]
	v_fma_f64 v[18:19], -v[40:41], v[56:57], v[18:19]
	v_fmac_f64_e32 v[10:11], v[38:39], v[56:57]
	v_fma_f64 v[16:17], -v[36:37], v[56:57], v[16:17]
	v_fmac_f64_e32 v[12:13], v[34:35], v[56:57]
	s_waitcnt vmcnt(0)
	v_fmac_f64_e32 v[18:19], v[46:47], v[58:59]
	v_fmac_f64_e32 v[10:11], v[48:49], v[58:59]
	v_fmac_f64_e32 v[16:17], v[42:43], v[58:59]
	v_fmac_f64_e32 v[12:13], v[44:45], v[58:59]
	v_fma_f64 v[18:19], -v[48:49], v[60:61], v[18:19]
	v_fmac_f64_e32 v[10:11], v[46:47], v[60:61]
	v_fma_f64 v[16:17], -v[44:45], v[60:61], v[16:17]
	v_fmac_f64_e32 v[12:13], v[42:43], v[60:61]
	s_andn2_b64 exec, exec, s[14:15]
	s_cbranch_execnz .LBB234_11
; %bb.12:
	s_or_b64 exec, exec, s[14:15]
.LBB234_13:
	s_or_b64 exec, exec, s[12:13]
	s_andn2_b64 vcc, exec, s[4:5]
	s_cbranch_vccz .LBB234_15
	s_branch .LBB234_20
.LBB234_14:
                                        ; implicit-def: $vgpr10_vgpr11
                                        ; implicit-def: $vgpr18_vgpr19
                                        ; implicit-def: $vgpr16_vgpr17
                                        ; implicit-def: $vgpr12_vgpr13
.LBB234_15:
	v_mov_b64_e32 v[10:11], 0
	v_mov_b64_e32 v[18:19], v[10:11]
	v_mov_b64_e32 v[16:17], v[10:11]
	v_mov_b64_e32 v[12:13], v[10:11]
	s_and_saveexec_b64 s[4:5], s[0:1]
	s_cbranch_execz .LBB234_19
; %bb.16:
	v_mad_u64_u32 v[20:21], s[0:1], v14, 6, 5
	v_mov_b64_e32 v[10:11], 0
	s_mov_b64 s[0:1], 0
	v_mov_b32_e32 v23, 0
	v_mov_b64_e32 v[18:19], v[10:11]
	v_mov_b64_e32 v[16:17], v[10:11]
	;; [unrolled: 1-line block ×3, first 2 shown]
.LBB234_17:                             ; =>This Inner Loop Header: Depth=1
	v_ashrrev_i32_e32 v15, 31, v14
	v_lshl_add_u64 v[26:27], v[14:15], 2, s[6:7]
	global_load_dword v15, v[26:27], off
	v_add_u32_e32 v22, -5, v20
	v_add_u32_e32 v26, -2, v20
	v_mov_b32_e32 v55, v23
	v_mov_b32_e32 v27, v23
	;; [unrolled: 1-line block ×3, first 2 shown]
	v_lshl_add_u64 v[42:43], v[22:23], 4, s[8:9]
	v_lshl_add_u64 v[44:45], v[26:27], 4, s[8:9]
	;; [unrolled: 1-line block ×3, first 2 shown]
	global_load_dwordx4 v[26:29], v[42:43], off offset:16
	global_load_dwordx4 v[30:33], v[42:43], off
	global_load_dwordx4 v[34:37], v[44:45], off
	;; [unrolled: 1-line block ×3, first 2 shown]
	v_add_u32_e32 v14, 8, v14
	v_cmp_ge_i32_e32 vcc, v14, v24
	s_or_b64 s[0:1], vcc, s[0:1]
	s_waitcnt vmcnt(4)
	v_subrev_u32_e32 v15, s16, v15
	v_lshl_add_u32 v54, v15, 1, v15
	v_lshl_add_u64 v[42:43], v[54:55], 4, s[10:11]
	v_add_u32_e32 v22, 1, v54
	global_load_dwordx4 v[42:45], v[42:43], off
	v_lshl_add_u64 v[46:47], v[22:23], 4, s[10:11]
	global_load_dwordx4 v[46:49], v[46:47], off
	v_add_u32_e32 v22, -1, v20
	v_lshl_add_u64 v[50:51], v[22:23], 4, s[8:9]
	v_add_u32_e32 v22, -3, v20
	global_load_dwordx4 v[50:53], v[50:51], off
	v_lshl_add_u64 v[56:57], v[22:23], 4, s[8:9]
	v_add_u32_e32 v22, 2, v54
	global_load_dwordx4 v[54:57], v[56:57], off
	v_lshl_add_u64 v[58:59], v[22:23], 4, s[10:11]
	global_load_dwordx4 v[58:61], v[58:59], off
	v_add_u32_e32 v20, 48, v20
	s_waitcnt vmcnt(4)
	v_fmac_f64_e32 v[18:19], v[30:31], v[42:43]
	v_fmac_f64_e32 v[10:11], v[32:33], v[42:43]
	;; [unrolled: 1-line block ×4, first 2 shown]
	v_fma_f64 v[18:19], -v[32:33], v[44:45], v[18:19]
	v_fmac_f64_e32 v[10:11], v[30:31], v[44:45]
	v_fma_f64 v[16:17], -v[36:37], v[44:45], v[16:17]
	v_fmac_f64_e32 v[12:13], v[34:35], v[44:45]
	s_waitcnt vmcnt(3)
	v_fmac_f64_e32 v[18:19], v[26:27], v[46:47]
	v_fmac_f64_e32 v[10:11], v[28:29], v[46:47]
	s_waitcnt vmcnt(2)
	v_fmac_f64_e32 v[16:17], v[50:51], v[46:47]
	v_fmac_f64_e32 v[12:13], v[52:53], v[46:47]
	v_fma_f64 v[18:19], -v[28:29], v[48:49], v[18:19]
	v_fmac_f64_e32 v[10:11], v[26:27], v[48:49]
	v_fma_f64 v[16:17], -v[52:53], v[48:49], v[16:17]
	v_fmac_f64_e32 v[12:13], v[50:51], v[48:49]
	s_waitcnt vmcnt(0)
	v_fmac_f64_e32 v[18:19], v[54:55], v[58:59]
	v_fmac_f64_e32 v[10:11], v[56:57], v[58:59]
	;; [unrolled: 1-line block ×4, first 2 shown]
	v_fma_f64 v[18:19], -v[56:57], v[60:61], v[18:19]
	v_fmac_f64_e32 v[10:11], v[54:55], v[60:61]
	v_fma_f64 v[16:17], -v[40:41], v[60:61], v[16:17]
	v_fmac_f64_e32 v[12:13], v[38:39], v[60:61]
	s_andn2_b64 exec, exec, s[0:1]
	s_cbranch_execnz .LBB234_17
; %bb.18:
	s_or_b64 exec, exec, s[0:1]
.LBB234_19:
	s_or_b64 exec, exec, s[4:5]
.LBB234_20:
	v_mov_b32_dpp v22, v16 row_shr:1 row_mask:0xf bank_mask:0xf
	v_mov_b32_dpp v23, v17 row_shr:1 row_mask:0xf bank_mask:0xf
	v_add_f64 v[16:17], v[16:17], v[22:23]
	v_mov_b32_dpp v14, v18 row_shr:1 row_mask:0xf bank_mask:0xf
	v_mov_b32_dpp v15, v19 row_shr:1 row_mask:0xf bank_mask:0xf
	;; [unrolled: 1-line block ×6, first 2 shown]
	v_add_f64 v[22:23], v[16:17], v[22:23]
	v_mov_b32_dpp v16, v12 row_shr:1 row_mask:0xf bank_mask:0xf
	v_mov_b32_dpp v17, v13 row_shr:1 row_mask:0xf bank_mask:0xf
	v_add_f64 v[14:15], v[18:19], v[14:15]
	v_add_f64 v[10:11], v[10:11], v[20:21]
	;; [unrolled: 1-line block ×3, first 2 shown]
	v_mov_b32_dpp v18, v14 row_shr:2 row_mask:0xf bank_mask:0xf
	v_mov_b32_dpp v19, v15 row_shr:2 row_mask:0xf bank_mask:0xf
	;; [unrolled: 1-line block ×6, first 2 shown]
	v_add_f64 v[14:15], v[14:15], v[18:19]
	v_add_f64 v[10:11], v[10:11], v[20:21]
	;; [unrolled: 1-line block ×3, first 2 shown]
	v_mov_b32_dpp v18, v14 row_shr:4 row_mask:0xf bank_mask:0xe
	v_mov_b32_dpp v19, v15 row_shr:4 row_mask:0xf bank_mask:0xe
	;; [unrolled: 1-line block ×8, first 2 shown]
	v_cmp_eq_u32_e32 vcc, 7, v9
	s_and_b64 exec, exec, vcc
	s_cbranch_execz .LBB234_25
; %bb.21:
	s_load_dwordx2 s[2:3], s[2:3], 0x48
	v_cmp_eq_f64_e32 vcc, 0, v[4:5]
	v_cmp_eq_f64_e64 s[0:1], 0, v[6:7]
	v_add_f64 v[14:15], v[14:15], v[18:19]
	v_add_f64 v[16:17], v[10:11], v[20:21]
	;; [unrolled: 1-line block ×4, first 2 shown]
	s_and_b64 s[0:1], vcc, s[0:1]
	s_and_saveexec_b64 s[4:5], s[0:1]
	s_xor_b64 s[0:1], exec, s[4:5]
	s_cbranch_execz .LBB234_23
; %bb.22:
	v_lshlrev_b32_e32 v8, 1, v8
	v_mul_f64 v[4:5], v[16:17], -v[2:3]
	v_mul_f64 v[6:7], v[0:1], v[16:17]
	v_ashrrev_i32_e32 v9, 31, v8
	v_fmac_f64_e32 v[4:5], v[0:1], v[14:15]
	v_fmac_f64_e32 v[6:7], v[2:3], v[14:15]
	s_waitcnt lgkmcnt(0)
	v_lshl_add_u64 v[8:9], v[8:9], 4, s[2:3]
	global_store_dwordx4 v[8:9], v[4:7], off
                                        ; implicit-def: $vgpr14_vgpr15
                                        ; implicit-def: $vgpr16_vgpr17
	s_nop 1
	v_mul_f64 v[4:5], v[12:13], -v[2:3]
	v_mul_f64 v[6:7], v[0:1], v[12:13]
	v_fmac_f64_e32 v[4:5], v[0:1], v[10:11]
	v_fmac_f64_e32 v[6:7], v[2:3], v[10:11]
	global_store_dwordx4 v[8:9], v[4:7], off offset:16
                                        ; implicit-def: $vgpr0_vgpr1
                                        ; implicit-def: $vgpr2_vgpr3
                                        ; implicit-def: $vgpr4_vgpr5
                                        ; implicit-def: $vgpr6_vgpr7
                                        ; implicit-def: $vgpr8
                                        ; implicit-def: $vgpr10_vgpr11
                                        ; implicit-def: $vgpr12_vgpr13
.LBB234_23:
	s_andn2_saveexec_b64 s[0:1], s[0:1]
	s_cbranch_execz .LBB234_25
; %bb.24:
	v_lshlrev_b32_e32 v8, 1, v8
	v_ashrrev_i32_e32 v9, 31, v8
	s_waitcnt lgkmcnt(0)
	v_lshl_add_u64 v[26:27], v[8:9], 4, s[2:3]
	global_load_dwordx4 v[18:21], v[26:27], off
	global_load_dwordx4 v[22:25], v[26:27], off offset:16
	v_mul_f64 v[28:29], v[16:17], -v[2:3]
	v_mul_f64 v[16:17], v[0:1], v[16:17]
	v_mul_f64 v[30:31], v[12:13], -v[2:3]
	v_mul_f64 v[8:9], v[0:1], v[12:13]
	v_fmac_f64_e32 v[28:29], v[0:1], v[14:15]
	v_fmac_f64_e32 v[16:17], v[2:3], v[14:15]
	;; [unrolled: 1-line block ×4, first 2 shown]
	s_waitcnt vmcnt(1)
	v_fmac_f64_e32 v[28:29], v[4:5], v[18:19]
	v_fmac_f64_e32 v[16:17], v[6:7], v[18:19]
	s_waitcnt vmcnt(0)
	v_fmac_f64_e32 v[30:31], v[4:5], v[22:23]
	v_fmac_f64_e32 v[8:9], v[6:7], v[22:23]
	v_fma_f64 v[14:15], -v[6:7], v[20:21], v[28:29]
	v_fmac_f64_e32 v[16:17], v[4:5], v[20:21]
	v_fma_f64 v[6:7], -v[6:7], v[24:25], v[30:31]
	v_fmac_f64_e32 v[8:9], v[4:5], v[24:25]
	global_store_dwordx4 v[26:27], v[14:17], off
	global_store_dwordx4 v[26:27], v[6:9], off offset:16
.LBB234_25:
	s_endpgm
	.section	.rodata,"a",@progbits
	.p2align	6, 0x0
	.amdhsa_kernel _ZN9rocsparseL19gebsrmvn_2xn_kernelILj128ELj3ELj8E21rocsparse_complex_numIdEEEvi20rocsparse_direction_NS_24const_host_device_scalarIT2_EEPKiS8_PKS5_SA_S6_PS5_21rocsparse_index_base_b
		.amdhsa_group_segment_fixed_size 2048
		.amdhsa_private_segment_fixed_size 0
		.amdhsa_kernarg_size 88
		.amdhsa_user_sgpr_count 4
		.amdhsa_user_sgpr_dispatch_ptr 1
		.amdhsa_user_sgpr_queue_ptr 0
		.amdhsa_user_sgpr_kernarg_segment_ptr 1
		.amdhsa_user_sgpr_dispatch_id 0
		.amdhsa_user_sgpr_kernarg_preload_length 0
		.amdhsa_user_sgpr_kernarg_preload_offset 0
		.amdhsa_user_sgpr_private_segment_size 0
		.amdhsa_uses_dynamic_stack 0
		.amdhsa_enable_private_segment 0
		.amdhsa_system_sgpr_workgroup_id_x 1
		.amdhsa_system_sgpr_workgroup_id_y 0
		.amdhsa_system_sgpr_workgroup_id_z 0
		.amdhsa_system_sgpr_workgroup_info 0
		.amdhsa_system_vgpr_workitem_id 2
		.amdhsa_next_free_vgpr 66
		.amdhsa_next_free_sgpr 20
		.amdhsa_accum_offset 68
		.amdhsa_reserve_vcc 1
		.amdhsa_float_round_mode_32 0
		.amdhsa_float_round_mode_16_64 0
		.amdhsa_float_denorm_mode_32 3
		.amdhsa_float_denorm_mode_16_64 3
		.amdhsa_dx10_clamp 1
		.amdhsa_ieee_mode 1
		.amdhsa_fp16_overflow 0
		.amdhsa_tg_split 0
		.amdhsa_exception_fp_ieee_invalid_op 0
		.amdhsa_exception_fp_denorm_src 0
		.amdhsa_exception_fp_ieee_div_zero 0
		.amdhsa_exception_fp_ieee_overflow 0
		.amdhsa_exception_fp_ieee_underflow 0
		.amdhsa_exception_fp_ieee_inexact 0
		.amdhsa_exception_int_div_zero 0
	.end_amdhsa_kernel
	.section	.text._ZN9rocsparseL19gebsrmvn_2xn_kernelILj128ELj3ELj8E21rocsparse_complex_numIdEEEvi20rocsparse_direction_NS_24const_host_device_scalarIT2_EEPKiS8_PKS5_SA_S6_PS5_21rocsparse_index_base_b,"axG",@progbits,_ZN9rocsparseL19gebsrmvn_2xn_kernelILj128ELj3ELj8E21rocsparse_complex_numIdEEEvi20rocsparse_direction_NS_24const_host_device_scalarIT2_EEPKiS8_PKS5_SA_S6_PS5_21rocsparse_index_base_b,comdat
.Lfunc_end234:
	.size	_ZN9rocsparseL19gebsrmvn_2xn_kernelILj128ELj3ELj8E21rocsparse_complex_numIdEEEvi20rocsparse_direction_NS_24const_host_device_scalarIT2_EEPKiS8_PKS5_SA_S6_PS5_21rocsparse_index_base_b, .Lfunc_end234-_ZN9rocsparseL19gebsrmvn_2xn_kernelILj128ELj3ELj8E21rocsparse_complex_numIdEEEvi20rocsparse_direction_NS_24const_host_device_scalarIT2_EEPKiS8_PKS5_SA_S6_PS5_21rocsparse_index_base_b
                                        ; -- End function
	.section	.AMDGPU.csdata,"",@progbits
; Kernel info:
; codeLenInByte = 1848
; NumSgprs: 26
; NumVgprs: 66
; NumAgprs: 0
; TotalNumVgprs: 66
; ScratchSize: 0
; MemoryBound: 0
; FloatMode: 240
; IeeeMode: 1
; LDSByteSize: 2048 bytes/workgroup (compile time only)
; SGPRBlocks: 3
; VGPRBlocks: 8
; NumSGPRsForWavesPerEU: 26
; NumVGPRsForWavesPerEU: 66
; AccumOffset: 68
; Occupancy: 7
; WaveLimiterHint : 1
; COMPUTE_PGM_RSRC2:SCRATCH_EN: 0
; COMPUTE_PGM_RSRC2:USER_SGPR: 4
; COMPUTE_PGM_RSRC2:TRAP_HANDLER: 0
; COMPUTE_PGM_RSRC2:TGID_X_EN: 1
; COMPUTE_PGM_RSRC2:TGID_Y_EN: 0
; COMPUTE_PGM_RSRC2:TGID_Z_EN: 0
; COMPUTE_PGM_RSRC2:TIDIG_COMP_CNT: 2
; COMPUTE_PGM_RSRC3_GFX90A:ACCUM_OFFSET: 16
; COMPUTE_PGM_RSRC3_GFX90A:TG_SPLIT: 0
	.section	.text._ZN9rocsparseL19gebsrmvn_2xn_kernelILj128ELj3ELj16E21rocsparse_complex_numIdEEEvi20rocsparse_direction_NS_24const_host_device_scalarIT2_EEPKiS8_PKS5_SA_S6_PS5_21rocsparse_index_base_b,"axG",@progbits,_ZN9rocsparseL19gebsrmvn_2xn_kernelILj128ELj3ELj16E21rocsparse_complex_numIdEEEvi20rocsparse_direction_NS_24const_host_device_scalarIT2_EEPKiS8_PKS5_SA_S6_PS5_21rocsparse_index_base_b,comdat
	.globl	_ZN9rocsparseL19gebsrmvn_2xn_kernelILj128ELj3ELj16E21rocsparse_complex_numIdEEEvi20rocsparse_direction_NS_24const_host_device_scalarIT2_EEPKiS8_PKS5_SA_S6_PS5_21rocsparse_index_base_b ; -- Begin function _ZN9rocsparseL19gebsrmvn_2xn_kernelILj128ELj3ELj16E21rocsparse_complex_numIdEEEvi20rocsparse_direction_NS_24const_host_device_scalarIT2_EEPKiS8_PKS5_SA_S6_PS5_21rocsparse_index_base_b
	.p2align	8
	.type	_ZN9rocsparseL19gebsrmvn_2xn_kernelILj128ELj3ELj16E21rocsparse_complex_numIdEEEvi20rocsparse_direction_NS_24const_host_device_scalarIT2_EEPKiS8_PKS5_SA_S6_PS5_21rocsparse_index_base_b,@function
_ZN9rocsparseL19gebsrmvn_2xn_kernelILj128ELj3ELj16E21rocsparse_complex_numIdEEEvi20rocsparse_direction_NS_24const_host_device_scalarIT2_EEPKiS8_PKS5_SA_S6_PS5_21rocsparse_index_base_b: ; @_ZN9rocsparseL19gebsrmvn_2xn_kernelILj128ELj3ELj16E21rocsparse_complex_numIdEEEvi20rocsparse_direction_NS_24const_host_device_scalarIT2_EEPKiS8_PKS5_SA_S6_PS5_21rocsparse_index_base_b
; %bb.0:
	s_load_dwordx2 s[16:17], s[2:3], 0x50
	s_load_dwordx4 s[12:15], s[2:3], 0x8
	s_load_dwordx4 s[8:11], s[2:3], 0x38
	s_load_dwordx2 s[18:19], s[0:1], 0x4
	s_mov_b64 s[6:7], src_shared_base
	s_waitcnt lgkmcnt(0)
	s_bitcmp1_b32 s17, 0
	s_cselect_b64 s[0:1], -1, 0
	s_and_b64 vcc, s[0:1], exec
	s_cselect_b32 s5, s7, s13
	s_lshr_b32 s6, s18, 16
	v_bfe_u32 v1, v0, 10, 10
	v_and_b32_e32 v10, 0x3ff, v0
	s_mul_i32 s6, s6, s19
	v_mul_u32_u24_e32 v1, s19, v1
	v_mad_u32_u24 v1, s6, v10, v1
	v_bfe_u32 v0, v0, 20, 10
	v_add_lshl_u32 v4, v1, v0, 3
	v_mov_b32_e32 v5, s12
	v_add_u32_e32 v6, 0x400, v4
	v_mov_b64_e32 v[0:1], s[12:13]
	v_mov_b64_e32 v[2:3], s[8:9]
	ds_write2st64_b64 v4, v[2:3], v[0:1] offset1:2
	v_cndmask_b32_e64 v0, v5, v6, s[0:1]
	v_mov_b32_e32 v1, s5
	flat_load_dwordx2 v[0:1], v[0:1]
	s_xor_b64 s[18:19], s[0:1], -1
	v_mov_b64_e32 v[2:3], s[14:15]
	s_cbranch_vccnz .LBB235_2
; %bb.1:
	v_mov_b64_e32 v[2:3], s[12:13]
	flat_load_dwordx2 v[2:3], v[2:3] offset:8
.LBB235_2:
	s_and_b64 s[12:13], s[0:1], exec
	s_cselect_b32 s5, s7, s9
	v_mov_b32_e32 v5, s8
	v_cndmask_b32_e64 v4, v5, v4, s[0:1]
	v_mov_b32_e32 v5, s5
	flat_load_dwordx2 v[4:5], v[4:5]
	s_andn2_b64 vcc, exec, s[18:19]
	v_mov_b64_e32 v[6:7], s[10:11]
	s_cbranch_vccnz .LBB235_4
; %bb.3:
	v_mov_b64_e32 v[6:7], s[8:9]
	flat_load_dwordx2 v[6:7], v[6:7] offset:8
.LBB235_4:
	s_waitcnt vmcnt(0) lgkmcnt(0)
	v_cmp_eq_f64_e32 vcc, 0, v[0:1]
	v_cmp_eq_f64_e64 s[0:1], 0, v[2:3]
	s_and_b64 s[8:9], vcc, s[0:1]
	s_mov_b64 s[0:1], -1
	s_and_saveexec_b64 s[6:7], s[8:9]
; %bb.5:
	v_cmp_neq_f64_e32 vcc, 1.0, v[4:5]
	v_cmp_neq_f64_e64 s[0:1], 0, v[6:7]
	s_or_b64 s[0:1], vcc, s[0:1]
	s_orn2_b64 s[0:1], s[0:1], exec
; %bb.6:
	s_or_b64 exec, exec, s[6:7]
	s_and_saveexec_b64 s[6:7], s[0:1]
	s_cbranch_execz .LBB235_25
; %bb.7:
	s_load_dwordx2 s[0:1], s[2:3], 0x0
	v_lshrrev_b32_e32 v8, 4, v10
	v_lshl_or_b32 v8, s4, 3, v8
	s_waitcnt lgkmcnt(0)
	v_cmp_gt_i32_e32 vcc, s0, v8
	s_and_b64 exec, exec, vcc
	s_cbranch_execz .LBB235_25
; %bb.8:
	s_load_dwordx8 s[4:11], s[2:3], 0x18
	v_ashrrev_i32_e32 v9, 31, v8
	s_cmp_lg_u32 s1, 0
	s_waitcnt lgkmcnt(0)
	v_lshl_add_u64 v[12:13], v[8:9], 2, s[4:5]
	global_load_dwordx2 v[12:13], v[12:13], off
	v_and_b32_e32 v9, 15, v10
	s_waitcnt vmcnt(0)
	v_subrev_u32_e32 v10, s16, v12
	v_subrev_u32_e32 v24, s16, v13
	v_add_u32_e32 v14, v10, v9
	v_cmp_lt_i32_e64 s[0:1], v14, v24
	s_cbranch_scc0 .LBB235_14
; %bb.9:
	v_mov_b64_e32 v[12:13], 0
	s_mov_b64 s[4:5], 0
	v_mov_b64_e32 v[18:19], v[12:13]
	v_mov_b64_e32 v[16:17], v[12:13]
	;; [unrolled: 1-line block ×3, first 2 shown]
	s_and_saveexec_b64 s[12:13], s[0:1]
	s_cbranch_execz .LBB235_13
; %bb.10:
	v_mov_b64_e32 v[12:13], 0
	v_mul_lo_u32 v20, v14, 6
	s_mov_b64 s[14:15], 0
	v_mov_b32_e32 v21, 0
	v_mov_b32_e32 v22, v14
	v_mov_b64_e32 v[18:19], v[12:13]
	v_mov_b64_e32 v[16:17], v[12:13]
	;; [unrolled: 1-line block ×3, first 2 shown]
.LBB235_11:                             ; =>This Inner Loop Header: Depth=1
	v_ashrrev_i32_e32 v23, 31, v22
	v_lshl_add_u64 v[26:27], v[22:23], 2, s[6:7]
	global_load_dword v15, v[26:27], off
	v_add_u32_e32 v36, 2, v20
	v_mov_b32_e32 v37, v21
	v_lshl_add_u64 v[34:35], v[20:21], 4, s[8:9]
	v_mov_b32_e32 v51, v21
	v_add_u32_e32 v38, 4, v20
	v_mov_b32_e32 v39, v21
	v_lshl_add_u64 v[52:53], v[36:37], 4, s[8:9]
	global_load_dwordx4 v[26:29], v[34:35], off offset:16
	global_load_dwordx4 v[30:33], v[34:35], off
	v_lshl_add_u64 v[58:59], v[38:39], 4, s[8:9]
	global_load_dwordx4 v[34:37], v[52:53], off offset:16
	global_load_dwordx4 v[38:41], v[52:53], off
	global_load_dwordx4 v[42:45], v[58:59], off offset:16
	global_load_dwordx4 v[46:49], v[58:59], off
	v_mov_b32_e32 v55, v21
	v_mov_b32_e32 v57, v21
	v_add_u32_e32 v22, 16, v22
	v_cmp_ge_i32_e32 vcc, v22, v24
	v_add_u32_e32 v20, 0x60, v20
	s_or_b64 s[14:15], vcc, s[14:15]
	s_waitcnt vmcnt(6)
	v_subrev_u32_e32 v15, s16, v15
	v_lshl_add_u32 v50, v15, 1, v15
	v_lshl_add_u64 v[52:53], v[50:51], 4, s[10:11]
	v_add_u32_e32 v54, 1, v50
	v_add_u32_e32 v56, 2, v50
	global_load_dwordx4 v[50:53], v[52:53], off
	v_lshl_add_u64 v[62:63], v[54:55], 4, s[10:11]
	v_lshl_add_u64 v[64:65], v[56:57], 4, s[10:11]
	global_load_dwordx4 v[54:57], v[62:63], off
	global_load_dwordx4 v[58:61], v[64:65], off
	s_waitcnt vmcnt(2)
	v_fmac_f64_e32 v[18:19], v[30:31], v[50:51]
	v_fmac_f64_e32 v[12:13], v[32:33], v[50:51]
	v_fmac_f64_e32 v[16:17], v[26:27], v[50:51]
	v_fmac_f64_e32 v[10:11], v[28:29], v[50:51]
	v_fma_f64 v[18:19], -v[32:33], v[52:53], v[18:19]
	v_fmac_f64_e32 v[12:13], v[30:31], v[52:53]
	v_fma_f64 v[16:17], -v[28:29], v[52:53], v[16:17]
	v_fmac_f64_e32 v[10:11], v[26:27], v[52:53]
	s_waitcnt vmcnt(1)
	v_fmac_f64_e32 v[18:19], v[38:39], v[54:55]
	v_fmac_f64_e32 v[12:13], v[40:41], v[54:55]
	v_fmac_f64_e32 v[16:17], v[34:35], v[54:55]
	v_fmac_f64_e32 v[10:11], v[36:37], v[54:55]
	v_fma_f64 v[18:19], -v[40:41], v[56:57], v[18:19]
	v_fmac_f64_e32 v[12:13], v[38:39], v[56:57]
	v_fma_f64 v[16:17], -v[36:37], v[56:57], v[16:17]
	v_fmac_f64_e32 v[10:11], v[34:35], v[56:57]
	;; [unrolled: 9-line block ×3, first 2 shown]
	s_andn2_b64 exec, exec, s[14:15]
	s_cbranch_execnz .LBB235_11
; %bb.12:
	s_or_b64 exec, exec, s[14:15]
.LBB235_13:
	s_or_b64 exec, exec, s[12:13]
	s_andn2_b64 vcc, exec, s[4:5]
	s_cbranch_vccz .LBB235_15
	s_branch .LBB235_20
.LBB235_14:
                                        ; implicit-def: $vgpr12_vgpr13
                                        ; implicit-def: $vgpr18_vgpr19
                                        ; implicit-def: $vgpr16_vgpr17
                                        ; implicit-def: $vgpr10_vgpr11
.LBB235_15:
	v_mov_b64_e32 v[12:13], 0
	v_mov_b64_e32 v[18:19], v[12:13]
	;; [unrolled: 1-line block ×4, first 2 shown]
	s_and_saveexec_b64 s[4:5], s[0:1]
	s_cbranch_execz .LBB235_19
; %bb.16:
	v_mad_u64_u32 v[20:21], s[0:1], v14, 6, 5
	v_mov_b64_e32 v[12:13], 0
	s_mov_b64 s[0:1], 0
	v_mov_b32_e32 v23, 0
	v_mov_b64_e32 v[18:19], v[12:13]
	v_mov_b64_e32 v[16:17], v[12:13]
	;; [unrolled: 1-line block ×3, first 2 shown]
.LBB235_17:                             ; =>This Inner Loop Header: Depth=1
	v_ashrrev_i32_e32 v15, 31, v14
	v_lshl_add_u64 v[26:27], v[14:15], 2, s[6:7]
	global_load_dword v15, v[26:27], off
	v_add_u32_e32 v22, -5, v20
	v_add_u32_e32 v26, -2, v20
	v_mov_b32_e32 v55, v23
	v_mov_b32_e32 v27, v23
	;; [unrolled: 1-line block ×3, first 2 shown]
	v_lshl_add_u64 v[42:43], v[22:23], 4, s[8:9]
	v_lshl_add_u64 v[44:45], v[26:27], 4, s[8:9]
	;; [unrolled: 1-line block ×3, first 2 shown]
	global_load_dwordx4 v[26:29], v[42:43], off offset:16
	global_load_dwordx4 v[30:33], v[42:43], off
	global_load_dwordx4 v[34:37], v[44:45], off
	;; [unrolled: 1-line block ×3, first 2 shown]
	v_add_u32_e32 v14, 16, v14
	v_cmp_ge_i32_e32 vcc, v14, v24
	s_or_b64 s[0:1], vcc, s[0:1]
	s_waitcnt vmcnt(4)
	v_subrev_u32_e32 v15, s16, v15
	v_lshl_add_u32 v54, v15, 1, v15
	v_lshl_add_u64 v[42:43], v[54:55], 4, s[10:11]
	v_add_u32_e32 v22, 1, v54
	global_load_dwordx4 v[42:45], v[42:43], off
	v_lshl_add_u64 v[46:47], v[22:23], 4, s[10:11]
	global_load_dwordx4 v[46:49], v[46:47], off
	v_add_u32_e32 v22, -1, v20
	v_lshl_add_u64 v[50:51], v[22:23], 4, s[8:9]
	v_add_u32_e32 v22, -3, v20
	global_load_dwordx4 v[50:53], v[50:51], off
	v_lshl_add_u64 v[56:57], v[22:23], 4, s[8:9]
	v_add_u32_e32 v22, 2, v54
	global_load_dwordx4 v[54:57], v[56:57], off
	v_lshl_add_u64 v[58:59], v[22:23], 4, s[10:11]
	global_load_dwordx4 v[58:61], v[58:59], off
	v_add_u32_e32 v20, 0x60, v20
	s_waitcnt vmcnt(4)
	v_fmac_f64_e32 v[18:19], v[30:31], v[42:43]
	v_fmac_f64_e32 v[12:13], v[32:33], v[42:43]
	;; [unrolled: 1-line block ×4, first 2 shown]
	v_fma_f64 v[18:19], -v[32:33], v[44:45], v[18:19]
	v_fmac_f64_e32 v[12:13], v[30:31], v[44:45]
	v_fma_f64 v[16:17], -v[36:37], v[44:45], v[16:17]
	v_fmac_f64_e32 v[10:11], v[34:35], v[44:45]
	s_waitcnt vmcnt(3)
	v_fmac_f64_e32 v[18:19], v[26:27], v[46:47]
	v_fmac_f64_e32 v[12:13], v[28:29], v[46:47]
	s_waitcnt vmcnt(2)
	v_fmac_f64_e32 v[16:17], v[50:51], v[46:47]
	v_fmac_f64_e32 v[10:11], v[52:53], v[46:47]
	v_fma_f64 v[18:19], -v[28:29], v[48:49], v[18:19]
	v_fmac_f64_e32 v[12:13], v[26:27], v[48:49]
	v_fma_f64 v[16:17], -v[52:53], v[48:49], v[16:17]
	v_fmac_f64_e32 v[10:11], v[50:51], v[48:49]
	s_waitcnt vmcnt(0)
	v_fmac_f64_e32 v[18:19], v[54:55], v[58:59]
	v_fmac_f64_e32 v[12:13], v[56:57], v[58:59]
	;; [unrolled: 1-line block ×4, first 2 shown]
	v_fma_f64 v[18:19], -v[56:57], v[60:61], v[18:19]
	v_fmac_f64_e32 v[12:13], v[54:55], v[60:61]
	v_fma_f64 v[16:17], -v[40:41], v[60:61], v[16:17]
	v_fmac_f64_e32 v[10:11], v[38:39], v[60:61]
	s_andn2_b64 exec, exec, s[0:1]
	s_cbranch_execnz .LBB235_17
; %bb.18:
	s_or_b64 exec, exec, s[0:1]
.LBB235_19:
	s_or_b64 exec, exec, s[4:5]
.LBB235_20:
	v_mov_b32_dpp v22, v16 row_shr:1 row_mask:0xf bank_mask:0xf
	v_mov_b32_dpp v23, v17 row_shr:1 row_mask:0xf bank_mask:0xf
	v_add_f64 v[16:17], v[16:17], v[22:23]
	v_mov_b32_dpp v14, v18 row_shr:1 row_mask:0xf bank_mask:0xf
	v_mov_b32_dpp v15, v19 row_shr:1 row_mask:0xf bank_mask:0xf
	v_mov_b32_dpp v22, v16 row_shr:2 row_mask:0xf bank_mask:0xf
	v_mov_b32_dpp v23, v17 row_shr:2 row_mask:0xf bank_mask:0xf
	v_add_f64 v[16:17], v[16:17], v[22:23]
	v_mov_b32_dpp v20, v12 row_shr:1 row_mask:0xf bank_mask:0xf
	v_mov_b32_dpp v21, v13 row_shr:1 row_mask:0xf bank_mask:0xf
	;; [unrolled: 5-line block ×3, first 2 shown]
	v_add_f64 v[14:15], v[18:19], v[14:15]
	v_add_f64 v[12:13], v[12:13], v[20:21]
	v_add_f64 v[10:11], v[10:11], v[16:17]
	v_mov_b32_dpp v18, v14 row_shr:2 row_mask:0xf bank_mask:0xf
	v_mov_b32_dpp v19, v15 row_shr:2 row_mask:0xf bank_mask:0xf
	v_mov_b32_dpp v20, v12 row_shr:2 row_mask:0xf bank_mask:0xf
	v_mov_b32_dpp v21, v13 row_shr:2 row_mask:0xf bank_mask:0xf
	v_mov_b32_dpp v16, v10 row_shr:2 row_mask:0xf bank_mask:0xf
	v_mov_b32_dpp v17, v11 row_shr:2 row_mask:0xf bank_mask:0xf
	v_add_f64 v[14:15], v[14:15], v[18:19]
	v_add_f64 v[12:13], v[12:13], v[20:21]
	v_add_f64 v[10:11], v[10:11], v[16:17]
	v_mov_b32_dpp v18, v14 row_shr:4 row_mask:0xf bank_mask:0xe
	v_mov_b32_dpp v19, v15 row_shr:4 row_mask:0xf bank_mask:0xe
	v_mov_b32_dpp v20, v12 row_shr:4 row_mask:0xf bank_mask:0xe
	v_mov_b32_dpp v21, v13 row_shr:4 row_mask:0xf bank_mask:0xe
	v_mov_b32_dpp v16, v10 row_shr:4 row_mask:0xf bank_mask:0xe
	v_mov_b32_dpp v17, v11 row_shr:4 row_mask:0xf bank_mask:0xe
	v_add_f64 v[14:15], v[14:15], v[18:19]
	v_add_f64 v[12:13], v[12:13], v[20:21]
	v_add_f64 v[26:27], v[10:11], v[16:17]
	v_mov_b32_dpp v18, v14 row_shr:8 row_mask:0xf bank_mask:0xc
	v_mov_b32_dpp v19, v15 row_shr:8 row_mask:0xf bank_mask:0xc
	v_mov_b32_dpp v20, v12 row_shr:8 row_mask:0xf bank_mask:0xc
	v_mov_b32_dpp v21, v13 row_shr:8 row_mask:0xf bank_mask:0xc
	v_mov_b32_dpp v24, v22 row_shr:8 row_mask:0xf bank_mask:0xc
	v_mov_b32_dpp v25, v23 row_shr:8 row_mask:0xf bank_mask:0xc
	v_mov_b32_dpp v28, v26 row_shr:8 row_mask:0xf bank_mask:0xc
	v_mov_b32_dpp v29, v27 row_shr:8 row_mask:0xf bank_mask:0xc
	v_cmp_eq_u32_e32 vcc, 15, v9
	s_and_b64 exec, exec, vcc
	s_cbranch_execz .LBB235_25
; %bb.21:
	s_load_dwordx2 s[2:3], s[2:3], 0x48
	v_cmp_eq_f64_e32 vcc, 0, v[4:5]
	v_cmp_eq_f64_e64 s[0:1], 0, v[6:7]
	v_add_f64 v[14:15], v[14:15], v[18:19]
	v_add_f64 v[16:17], v[12:13], v[20:21]
	;; [unrolled: 1-line block ×4, first 2 shown]
	s_and_b64 s[0:1], vcc, s[0:1]
	s_and_saveexec_b64 s[4:5], s[0:1]
	s_xor_b64 s[0:1], exec, s[4:5]
	s_cbranch_execz .LBB235_23
; %bb.22:
	v_lshlrev_b32_e32 v8, 1, v8
	v_mul_f64 v[4:5], v[16:17], -v[2:3]
	v_mul_f64 v[6:7], v[0:1], v[16:17]
	v_ashrrev_i32_e32 v9, 31, v8
	v_fmac_f64_e32 v[4:5], v[0:1], v[14:15]
	v_fmac_f64_e32 v[6:7], v[2:3], v[14:15]
	s_waitcnt lgkmcnt(0)
	v_lshl_add_u64 v[8:9], v[8:9], 4, s[2:3]
	global_store_dwordx4 v[8:9], v[4:7], off
                                        ; implicit-def: $vgpr14_vgpr15
                                        ; implicit-def: $vgpr16_vgpr17
	s_nop 1
	v_mul_f64 v[4:5], v[12:13], -v[2:3]
	v_mul_f64 v[6:7], v[0:1], v[12:13]
	v_fmac_f64_e32 v[4:5], v[0:1], v[10:11]
	v_fmac_f64_e32 v[6:7], v[2:3], v[10:11]
	global_store_dwordx4 v[8:9], v[4:7], off offset:16
                                        ; implicit-def: $vgpr0_vgpr1
                                        ; implicit-def: $vgpr2_vgpr3
                                        ; implicit-def: $vgpr4_vgpr5
                                        ; implicit-def: $vgpr6_vgpr7
                                        ; implicit-def: $vgpr8
                                        ; implicit-def: $vgpr10_vgpr11
                                        ; implicit-def: $vgpr12_vgpr13
.LBB235_23:
	s_andn2_saveexec_b64 s[0:1], s[0:1]
	s_cbranch_execz .LBB235_25
; %bb.24:
	v_lshlrev_b32_e32 v8, 1, v8
	v_ashrrev_i32_e32 v9, 31, v8
	s_waitcnt lgkmcnt(0)
	v_lshl_add_u64 v[26:27], v[8:9], 4, s[2:3]
	global_load_dwordx4 v[18:21], v[26:27], off
	global_load_dwordx4 v[22:25], v[26:27], off offset:16
	v_mul_f64 v[28:29], v[16:17], -v[2:3]
	v_mul_f64 v[16:17], v[0:1], v[16:17]
	v_mul_f64 v[30:31], v[12:13], -v[2:3]
	v_mul_f64 v[8:9], v[0:1], v[12:13]
	v_fmac_f64_e32 v[28:29], v[0:1], v[14:15]
	v_fmac_f64_e32 v[16:17], v[2:3], v[14:15]
	v_fmac_f64_e32 v[30:31], v[0:1], v[10:11]
	v_fmac_f64_e32 v[8:9], v[2:3], v[10:11]
	s_waitcnt vmcnt(1)
	v_fmac_f64_e32 v[28:29], v[4:5], v[18:19]
	v_fmac_f64_e32 v[16:17], v[6:7], v[18:19]
	s_waitcnt vmcnt(0)
	v_fmac_f64_e32 v[30:31], v[4:5], v[22:23]
	v_fmac_f64_e32 v[8:9], v[6:7], v[22:23]
	v_fma_f64 v[14:15], -v[6:7], v[20:21], v[28:29]
	v_fmac_f64_e32 v[16:17], v[4:5], v[20:21]
	v_fma_f64 v[6:7], -v[6:7], v[24:25], v[30:31]
	v_fmac_f64_e32 v[8:9], v[4:5], v[24:25]
	global_store_dwordx4 v[26:27], v[14:17], off
	global_store_dwordx4 v[26:27], v[6:9], off offset:16
.LBB235_25:
	s_endpgm
	.section	.rodata,"a",@progbits
	.p2align	6, 0x0
	.amdhsa_kernel _ZN9rocsparseL19gebsrmvn_2xn_kernelILj128ELj3ELj16E21rocsparse_complex_numIdEEEvi20rocsparse_direction_NS_24const_host_device_scalarIT2_EEPKiS8_PKS5_SA_S6_PS5_21rocsparse_index_base_b
		.amdhsa_group_segment_fixed_size 2048
		.amdhsa_private_segment_fixed_size 0
		.amdhsa_kernarg_size 88
		.amdhsa_user_sgpr_count 4
		.amdhsa_user_sgpr_dispatch_ptr 1
		.amdhsa_user_sgpr_queue_ptr 0
		.amdhsa_user_sgpr_kernarg_segment_ptr 1
		.amdhsa_user_sgpr_dispatch_id 0
		.amdhsa_user_sgpr_kernarg_preload_length 0
		.amdhsa_user_sgpr_kernarg_preload_offset 0
		.amdhsa_user_sgpr_private_segment_size 0
		.amdhsa_uses_dynamic_stack 0
		.amdhsa_enable_private_segment 0
		.amdhsa_system_sgpr_workgroup_id_x 1
		.amdhsa_system_sgpr_workgroup_id_y 0
		.amdhsa_system_sgpr_workgroup_id_z 0
		.amdhsa_system_sgpr_workgroup_info 0
		.amdhsa_system_vgpr_workitem_id 2
		.amdhsa_next_free_vgpr 66
		.amdhsa_next_free_sgpr 20
		.amdhsa_accum_offset 68
		.amdhsa_reserve_vcc 1
		.amdhsa_float_round_mode_32 0
		.amdhsa_float_round_mode_16_64 0
		.amdhsa_float_denorm_mode_32 3
		.amdhsa_float_denorm_mode_16_64 3
		.amdhsa_dx10_clamp 1
		.amdhsa_ieee_mode 1
		.amdhsa_fp16_overflow 0
		.amdhsa_tg_split 0
		.amdhsa_exception_fp_ieee_invalid_op 0
		.amdhsa_exception_fp_denorm_src 0
		.amdhsa_exception_fp_ieee_div_zero 0
		.amdhsa_exception_fp_ieee_overflow 0
		.amdhsa_exception_fp_ieee_underflow 0
		.amdhsa_exception_fp_ieee_inexact 0
		.amdhsa_exception_int_div_zero 0
	.end_amdhsa_kernel
	.section	.text._ZN9rocsparseL19gebsrmvn_2xn_kernelILj128ELj3ELj16E21rocsparse_complex_numIdEEEvi20rocsparse_direction_NS_24const_host_device_scalarIT2_EEPKiS8_PKS5_SA_S6_PS5_21rocsparse_index_base_b,"axG",@progbits,_ZN9rocsparseL19gebsrmvn_2xn_kernelILj128ELj3ELj16E21rocsparse_complex_numIdEEEvi20rocsparse_direction_NS_24const_host_device_scalarIT2_EEPKiS8_PKS5_SA_S6_PS5_21rocsparse_index_base_b,comdat
.Lfunc_end235:
	.size	_ZN9rocsparseL19gebsrmvn_2xn_kernelILj128ELj3ELj16E21rocsparse_complex_numIdEEEvi20rocsparse_direction_NS_24const_host_device_scalarIT2_EEPKiS8_PKS5_SA_S6_PS5_21rocsparse_index_base_b, .Lfunc_end235-_ZN9rocsparseL19gebsrmvn_2xn_kernelILj128ELj3ELj16E21rocsparse_complex_numIdEEEvi20rocsparse_direction_NS_24const_host_device_scalarIT2_EEPKiS8_PKS5_SA_S6_PS5_21rocsparse_index_base_b
                                        ; -- End function
	.section	.AMDGPU.csdata,"",@progbits
; Kernel info:
; codeLenInByte = 1952
; NumSgprs: 26
; NumVgprs: 66
; NumAgprs: 0
; TotalNumVgprs: 66
; ScratchSize: 0
; MemoryBound: 0
; FloatMode: 240
; IeeeMode: 1
; LDSByteSize: 2048 bytes/workgroup (compile time only)
; SGPRBlocks: 3
; VGPRBlocks: 8
; NumSGPRsForWavesPerEU: 26
; NumVGPRsForWavesPerEU: 66
; AccumOffset: 68
; Occupancy: 7
; WaveLimiterHint : 1
; COMPUTE_PGM_RSRC2:SCRATCH_EN: 0
; COMPUTE_PGM_RSRC2:USER_SGPR: 4
; COMPUTE_PGM_RSRC2:TRAP_HANDLER: 0
; COMPUTE_PGM_RSRC2:TGID_X_EN: 1
; COMPUTE_PGM_RSRC2:TGID_Y_EN: 0
; COMPUTE_PGM_RSRC2:TGID_Z_EN: 0
; COMPUTE_PGM_RSRC2:TIDIG_COMP_CNT: 2
; COMPUTE_PGM_RSRC3_GFX90A:ACCUM_OFFSET: 16
; COMPUTE_PGM_RSRC3_GFX90A:TG_SPLIT: 0
	.section	.text._ZN9rocsparseL19gebsrmvn_2xn_kernelILj128ELj3ELj32E21rocsparse_complex_numIdEEEvi20rocsparse_direction_NS_24const_host_device_scalarIT2_EEPKiS8_PKS5_SA_S6_PS5_21rocsparse_index_base_b,"axG",@progbits,_ZN9rocsparseL19gebsrmvn_2xn_kernelILj128ELj3ELj32E21rocsparse_complex_numIdEEEvi20rocsparse_direction_NS_24const_host_device_scalarIT2_EEPKiS8_PKS5_SA_S6_PS5_21rocsparse_index_base_b,comdat
	.globl	_ZN9rocsparseL19gebsrmvn_2xn_kernelILj128ELj3ELj32E21rocsparse_complex_numIdEEEvi20rocsparse_direction_NS_24const_host_device_scalarIT2_EEPKiS8_PKS5_SA_S6_PS5_21rocsparse_index_base_b ; -- Begin function _ZN9rocsparseL19gebsrmvn_2xn_kernelILj128ELj3ELj32E21rocsparse_complex_numIdEEEvi20rocsparse_direction_NS_24const_host_device_scalarIT2_EEPKiS8_PKS5_SA_S6_PS5_21rocsparse_index_base_b
	.p2align	8
	.type	_ZN9rocsparseL19gebsrmvn_2xn_kernelILj128ELj3ELj32E21rocsparse_complex_numIdEEEvi20rocsparse_direction_NS_24const_host_device_scalarIT2_EEPKiS8_PKS5_SA_S6_PS5_21rocsparse_index_base_b,@function
_ZN9rocsparseL19gebsrmvn_2xn_kernelILj128ELj3ELj32E21rocsparse_complex_numIdEEEvi20rocsparse_direction_NS_24const_host_device_scalarIT2_EEPKiS8_PKS5_SA_S6_PS5_21rocsparse_index_base_b: ; @_ZN9rocsparseL19gebsrmvn_2xn_kernelILj128ELj3ELj32E21rocsparse_complex_numIdEEEvi20rocsparse_direction_NS_24const_host_device_scalarIT2_EEPKiS8_PKS5_SA_S6_PS5_21rocsparse_index_base_b
; %bb.0:
	s_load_dwordx2 s[16:17], s[2:3], 0x50
	s_load_dwordx4 s[12:15], s[2:3], 0x8
	s_load_dwordx4 s[8:11], s[2:3], 0x38
	s_load_dwordx2 s[18:19], s[0:1], 0x4
	s_mov_b64 s[6:7], src_shared_base
	s_waitcnt lgkmcnt(0)
	s_bitcmp1_b32 s17, 0
	s_cselect_b64 s[0:1], -1, 0
	s_and_b64 vcc, s[0:1], exec
	s_cselect_b32 s5, s7, s13
	s_lshr_b32 s6, s18, 16
	v_bfe_u32 v1, v0, 10, 10
	v_and_b32_e32 v10, 0x3ff, v0
	s_mul_i32 s6, s6, s19
	v_mul_u32_u24_e32 v1, s19, v1
	v_mad_u32_u24 v1, s6, v10, v1
	v_bfe_u32 v0, v0, 20, 10
	v_add_lshl_u32 v4, v1, v0, 3
	v_mov_b32_e32 v5, s12
	v_add_u32_e32 v6, 0x400, v4
	v_mov_b64_e32 v[0:1], s[12:13]
	v_mov_b64_e32 v[2:3], s[8:9]
	ds_write2st64_b64 v4, v[2:3], v[0:1] offset1:2
	v_cndmask_b32_e64 v0, v5, v6, s[0:1]
	v_mov_b32_e32 v1, s5
	flat_load_dwordx2 v[0:1], v[0:1]
	s_xor_b64 s[18:19], s[0:1], -1
	v_mov_b64_e32 v[2:3], s[14:15]
	s_cbranch_vccnz .LBB236_2
; %bb.1:
	v_mov_b64_e32 v[2:3], s[12:13]
	flat_load_dwordx2 v[2:3], v[2:3] offset:8
.LBB236_2:
	s_and_b64 s[12:13], s[0:1], exec
	s_cselect_b32 s5, s7, s9
	v_mov_b32_e32 v5, s8
	v_cndmask_b32_e64 v4, v5, v4, s[0:1]
	v_mov_b32_e32 v5, s5
	flat_load_dwordx2 v[4:5], v[4:5]
	s_andn2_b64 vcc, exec, s[18:19]
	v_mov_b64_e32 v[6:7], s[10:11]
	s_cbranch_vccnz .LBB236_4
; %bb.3:
	v_mov_b64_e32 v[6:7], s[8:9]
	flat_load_dwordx2 v[6:7], v[6:7] offset:8
.LBB236_4:
	s_waitcnt vmcnt(0) lgkmcnt(0)
	v_cmp_eq_f64_e32 vcc, 0, v[0:1]
	v_cmp_eq_f64_e64 s[0:1], 0, v[2:3]
	s_and_b64 s[8:9], vcc, s[0:1]
	s_mov_b64 s[0:1], -1
	s_and_saveexec_b64 s[6:7], s[8:9]
; %bb.5:
	v_cmp_neq_f64_e32 vcc, 1.0, v[4:5]
	v_cmp_neq_f64_e64 s[0:1], 0, v[6:7]
	s_or_b64 s[0:1], vcc, s[0:1]
	s_orn2_b64 s[0:1], s[0:1], exec
; %bb.6:
	s_or_b64 exec, exec, s[6:7]
	s_and_saveexec_b64 s[6:7], s[0:1]
	s_cbranch_execz .LBB236_25
; %bb.7:
	s_load_dwordx2 s[0:1], s[2:3], 0x0
	v_lshrrev_b32_e32 v8, 5, v10
	v_lshl_or_b32 v8, s4, 2, v8
	s_waitcnt lgkmcnt(0)
	v_cmp_gt_i32_e32 vcc, s0, v8
	s_and_b64 exec, exec, vcc
	s_cbranch_execz .LBB236_25
; %bb.8:
	s_load_dwordx8 s[4:11], s[2:3], 0x18
	v_ashrrev_i32_e32 v9, 31, v8
	s_cmp_lg_u32 s1, 0
	s_waitcnt lgkmcnt(0)
	v_lshl_add_u64 v[12:13], v[8:9], 2, s[4:5]
	global_load_dwordx2 v[12:13], v[12:13], off
	v_and_b32_e32 v9, 31, v10
	s_waitcnt vmcnt(0)
	v_subrev_u32_e32 v10, s16, v12
	v_subrev_u32_e32 v24, s16, v13
	v_add_u32_e32 v16, v10, v9
	v_cmp_lt_i32_e64 s[0:1], v16, v24
	s_cbranch_scc0 .LBB236_14
; %bb.9:
	v_mov_b64_e32 v[12:13], 0
	s_mov_b64 s[4:5], 0
	v_mov_b64_e32 v[18:19], v[12:13]
	v_mov_b64_e32 v[14:15], v[12:13]
	;; [unrolled: 1-line block ×3, first 2 shown]
	s_and_saveexec_b64 s[12:13], s[0:1]
	s_cbranch_execz .LBB236_13
; %bb.10:
	v_mov_b64_e32 v[12:13], 0
	v_mul_lo_u32 v20, v16, 6
	s_mov_b64 s[14:15], 0
	v_mov_b32_e32 v21, 0
	v_mov_b32_e32 v22, v16
	v_mov_b64_e32 v[18:19], v[12:13]
	v_mov_b64_e32 v[14:15], v[12:13]
	;; [unrolled: 1-line block ×3, first 2 shown]
.LBB236_11:                             ; =>This Inner Loop Header: Depth=1
	v_ashrrev_i32_e32 v23, 31, v22
	v_lshl_add_u64 v[26:27], v[22:23], 2, s[6:7]
	global_load_dword v17, v[26:27], off
	v_add_u32_e32 v36, 2, v20
	v_mov_b32_e32 v37, v21
	v_lshl_add_u64 v[34:35], v[20:21], 4, s[8:9]
	v_mov_b32_e32 v51, v21
	v_add_u32_e32 v38, 4, v20
	v_mov_b32_e32 v39, v21
	v_lshl_add_u64 v[52:53], v[36:37], 4, s[8:9]
	global_load_dwordx4 v[26:29], v[34:35], off offset:16
	global_load_dwordx4 v[30:33], v[34:35], off
	v_lshl_add_u64 v[58:59], v[38:39], 4, s[8:9]
	global_load_dwordx4 v[34:37], v[52:53], off offset:16
	global_load_dwordx4 v[38:41], v[52:53], off
	global_load_dwordx4 v[42:45], v[58:59], off offset:16
	global_load_dwordx4 v[46:49], v[58:59], off
	v_mov_b32_e32 v55, v21
	v_mov_b32_e32 v57, v21
	v_add_u32_e32 v22, 32, v22
	v_cmp_ge_i32_e32 vcc, v22, v24
	v_add_u32_e32 v20, 0xc0, v20
	s_or_b64 s[14:15], vcc, s[14:15]
	s_waitcnt vmcnt(6)
	v_subrev_u32_e32 v17, s16, v17
	v_lshl_add_u32 v50, v17, 1, v17
	v_lshl_add_u64 v[52:53], v[50:51], 4, s[10:11]
	v_add_u32_e32 v54, 1, v50
	v_add_u32_e32 v56, 2, v50
	global_load_dwordx4 v[50:53], v[52:53], off
	v_lshl_add_u64 v[62:63], v[54:55], 4, s[10:11]
	v_lshl_add_u64 v[64:65], v[56:57], 4, s[10:11]
	global_load_dwordx4 v[54:57], v[62:63], off
	global_load_dwordx4 v[58:61], v[64:65], off
	s_waitcnt vmcnt(2)
	v_fmac_f64_e32 v[18:19], v[30:31], v[50:51]
	v_fmac_f64_e32 v[12:13], v[32:33], v[50:51]
	v_fmac_f64_e32 v[14:15], v[26:27], v[50:51]
	v_fmac_f64_e32 v[10:11], v[28:29], v[50:51]
	v_fma_f64 v[18:19], -v[32:33], v[52:53], v[18:19]
	v_fmac_f64_e32 v[12:13], v[30:31], v[52:53]
	v_fma_f64 v[14:15], -v[28:29], v[52:53], v[14:15]
	v_fmac_f64_e32 v[10:11], v[26:27], v[52:53]
	s_waitcnt vmcnt(1)
	v_fmac_f64_e32 v[18:19], v[38:39], v[54:55]
	v_fmac_f64_e32 v[12:13], v[40:41], v[54:55]
	v_fmac_f64_e32 v[14:15], v[34:35], v[54:55]
	v_fmac_f64_e32 v[10:11], v[36:37], v[54:55]
	v_fma_f64 v[18:19], -v[40:41], v[56:57], v[18:19]
	v_fmac_f64_e32 v[12:13], v[38:39], v[56:57]
	v_fma_f64 v[14:15], -v[36:37], v[56:57], v[14:15]
	v_fmac_f64_e32 v[10:11], v[34:35], v[56:57]
	;; [unrolled: 9-line block ×3, first 2 shown]
	s_andn2_b64 exec, exec, s[14:15]
	s_cbranch_execnz .LBB236_11
; %bb.12:
	s_or_b64 exec, exec, s[14:15]
.LBB236_13:
	s_or_b64 exec, exec, s[12:13]
	s_andn2_b64 vcc, exec, s[4:5]
	s_cbranch_vccz .LBB236_15
	s_branch .LBB236_20
.LBB236_14:
                                        ; implicit-def: $vgpr12_vgpr13
                                        ; implicit-def: $vgpr18_vgpr19
                                        ; implicit-def: $vgpr14_vgpr15
                                        ; implicit-def: $vgpr10_vgpr11
.LBB236_15:
	v_mov_b64_e32 v[12:13], 0
	v_mov_b64_e32 v[18:19], v[12:13]
	;; [unrolled: 1-line block ×4, first 2 shown]
	s_and_saveexec_b64 s[4:5], s[0:1]
	s_cbranch_execz .LBB236_19
; %bb.16:
	v_mad_u64_u32 v[20:21], s[0:1], v16, 6, 5
	v_mov_b64_e32 v[12:13], 0
	s_mov_b64 s[0:1], 0
	v_mov_b32_e32 v23, 0
	v_mov_b64_e32 v[18:19], v[12:13]
	v_mov_b64_e32 v[14:15], v[12:13]
	v_mov_b64_e32 v[10:11], v[12:13]
.LBB236_17:                             ; =>This Inner Loop Header: Depth=1
	v_ashrrev_i32_e32 v17, 31, v16
	v_lshl_add_u64 v[26:27], v[16:17], 2, s[6:7]
	global_load_dword v17, v[26:27], off
	v_add_u32_e32 v22, -5, v20
	v_add_u32_e32 v26, -2, v20
	v_mov_b32_e32 v55, v23
	v_mov_b32_e32 v27, v23
	;; [unrolled: 1-line block ×3, first 2 shown]
	v_lshl_add_u64 v[42:43], v[22:23], 4, s[8:9]
	v_lshl_add_u64 v[44:45], v[26:27], 4, s[8:9]
	;; [unrolled: 1-line block ×3, first 2 shown]
	global_load_dwordx4 v[26:29], v[42:43], off offset:16
	global_load_dwordx4 v[30:33], v[42:43], off
	global_load_dwordx4 v[34:37], v[44:45], off
	;; [unrolled: 1-line block ×3, first 2 shown]
	v_add_u32_e32 v16, 32, v16
	v_cmp_ge_i32_e32 vcc, v16, v24
	s_or_b64 s[0:1], vcc, s[0:1]
	s_waitcnt vmcnt(4)
	v_subrev_u32_e32 v17, s16, v17
	v_lshl_add_u32 v54, v17, 1, v17
	v_lshl_add_u64 v[42:43], v[54:55], 4, s[10:11]
	v_add_u32_e32 v22, 1, v54
	global_load_dwordx4 v[42:45], v[42:43], off
	v_lshl_add_u64 v[46:47], v[22:23], 4, s[10:11]
	global_load_dwordx4 v[46:49], v[46:47], off
	v_add_u32_e32 v22, -1, v20
	v_lshl_add_u64 v[50:51], v[22:23], 4, s[8:9]
	v_add_u32_e32 v22, -3, v20
	global_load_dwordx4 v[50:53], v[50:51], off
	v_lshl_add_u64 v[56:57], v[22:23], 4, s[8:9]
	v_add_u32_e32 v22, 2, v54
	global_load_dwordx4 v[54:57], v[56:57], off
	v_lshl_add_u64 v[58:59], v[22:23], 4, s[10:11]
	global_load_dwordx4 v[58:61], v[58:59], off
	v_add_u32_e32 v20, 0xc0, v20
	s_waitcnt vmcnt(4)
	v_fmac_f64_e32 v[18:19], v[30:31], v[42:43]
	v_fmac_f64_e32 v[12:13], v[32:33], v[42:43]
	v_fmac_f64_e32 v[14:15], v[34:35], v[42:43]
	v_fmac_f64_e32 v[10:11], v[36:37], v[42:43]
	v_fma_f64 v[18:19], -v[32:33], v[44:45], v[18:19]
	v_fmac_f64_e32 v[12:13], v[30:31], v[44:45]
	v_fma_f64 v[14:15], -v[36:37], v[44:45], v[14:15]
	v_fmac_f64_e32 v[10:11], v[34:35], v[44:45]
	s_waitcnt vmcnt(3)
	v_fmac_f64_e32 v[18:19], v[26:27], v[46:47]
	v_fmac_f64_e32 v[12:13], v[28:29], v[46:47]
	s_waitcnt vmcnt(2)
	v_fmac_f64_e32 v[14:15], v[50:51], v[46:47]
	v_fmac_f64_e32 v[10:11], v[52:53], v[46:47]
	v_fma_f64 v[18:19], -v[28:29], v[48:49], v[18:19]
	v_fmac_f64_e32 v[12:13], v[26:27], v[48:49]
	v_fma_f64 v[14:15], -v[52:53], v[48:49], v[14:15]
	v_fmac_f64_e32 v[10:11], v[50:51], v[48:49]
	s_waitcnt vmcnt(0)
	v_fmac_f64_e32 v[18:19], v[54:55], v[58:59]
	v_fmac_f64_e32 v[12:13], v[56:57], v[58:59]
	;; [unrolled: 1-line block ×4, first 2 shown]
	v_fma_f64 v[18:19], -v[56:57], v[60:61], v[18:19]
	v_fmac_f64_e32 v[12:13], v[54:55], v[60:61]
	v_fma_f64 v[14:15], -v[40:41], v[60:61], v[14:15]
	v_fmac_f64_e32 v[10:11], v[38:39], v[60:61]
	s_andn2_b64 exec, exec, s[0:1]
	s_cbranch_execnz .LBB236_17
; %bb.18:
	s_or_b64 exec, exec, s[0:1]
.LBB236_19:
	s_or_b64 exec, exec, s[4:5]
.LBB236_20:
	v_mov_b32_dpp v22, v14 row_shr:1 row_mask:0xf bank_mask:0xf
	v_mov_b32_dpp v23, v15 row_shr:1 row_mask:0xf bank_mask:0xf
	v_add_f64 v[14:15], v[14:15], v[22:23]
	v_mov_b32_dpp v16, v18 row_shr:1 row_mask:0xf bank_mask:0xf
	v_mov_b32_dpp v17, v19 row_shr:1 row_mask:0xf bank_mask:0xf
	;; [unrolled: 1-line block ×4, first 2 shown]
	v_add_f64 v[14:15], v[14:15], v[22:23]
	v_mov_b32_dpp v20, v12 row_shr:1 row_mask:0xf bank_mask:0xf
	v_mov_b32_dpp v21, v13 row_shr:1 row_mask:0xf bank_mask:0xf
	;; [unrolled: 1-line block ×4, first 2 shown]
	v_add_f64 v[14:15], v[14:15], v[22:23]
	v_add_f64 v[16:17], v[18:19], v[16:17]
	;; [unrolled: 1-line block ×3, first 2 shown]
	v_mov_b32_dpp v22, v14 row_shr:8 row_mask:0xf bank_mask:0xc
	v_mov_b32_dpp v23, v15 row_shr:8 row_mask:0xf bank_mask:0xc
	v_add_f64 v[22:23], v[14:15], v[22:23]
	v_mov_b32_dpp v14, v10 row_shr:1 row_mask:0xf bank_mask:0xf
	v_mov_b32_dpp v15, v11 row_shr:1 row_mask:0xf bank_mask:0xf
	v_add_f64 v[10:11], v[10:11], v[14:15]
	v_mov_b32_dpp v18, v16 row_shr:2 row_mask:0xf bank_mask:0xf
	v_mov_b32_dpp v19, v17 row_shr:2 row_mask:0xf bank_mask:0xf
	v_mov_b32_dpp v20, v12 row_shr:2 row_mask:0xf bank_mask:0xf
	v_mov_b32_dpp v21, v13 row_shr:2 row_mask:0xf bank_mask:0xf
	v_mov_b32_dpp v14, v10 row_shr:2 row_mask:0xf bank_mask:0xf
	v_mov_b32_dpp v15, v11 row_shr:2 row_mask:0xf bank_mask:0xf
	v_add_f64 v[16:17], v[16:17], v[18:19]
	v_add_f64 v[12:13], v[12:13], v[20:21]
	v_add_f64 v[10:11], v[10:11], v[14:15]
	v_mov_b32_dpp v18, v16 row_shr:4 row_mask:0xf bank_mask:0xe
	v_mov_b32_dpp v19, v17 row_shr:4 row_mask:0xf bank_mask:0xe
	v_mov_b32_dpp v20, v12 row_shr:4 row_mask:0xf bank_mask:0xe
	v_mov_b32_dpp v21, v13 row_shr:4 row_mask:0xf bank_mask:0xe
	v_mov_b32_dpp v14, v10 row_shr:4 row_mask:0xf bank_mask:0xe
	v_mov_b32_dpp v15, v11 row_shr:4 row_mask:0xf bank_mask:0xe
	v_add_f64 v[16:17], v[16:17], v[18:19]
	v_add_f64 v[12:13], v[12:13], v[20:21]
	;; [unrolled: 9-line block ×3, first 2 shown]
	v_add_f64 v[26:27], v[10:11], v[14:15]
	v_mov_b32_dpp v18, v16 row_bcast:15 row_mask:0xa bank_mask:0xf
	v_mov_b32_dpp v19, v17 row_bcast:15 row_mask:0xa bank_mask:0xf
	;; [unrolled: 1-line block ×8, first 2 shown]
	v_cmp_eq_u32_e32 vcc, 31, v9
	s_and_b64 exec, exec, vcc
	s_cbranch_execz .LBB236_25
; %bb.21:
	s_load_dwordx2 s[2:3], s[2:3], 0x48
	v_cmp_eq_f64_e32 vcc, 0, v[4:5]
	v_cmp_eq_f64_e64 s[0:1], 0, v[6:7]
	v_add_f64 v[14:15], v[16:17], v[18:19]
	v_add_f64 v[16:17], v[12:13], v[20:21]
	;; [unrolled: 1-line block ×4, first 2 shown]
	s_and_b64 s[0:1], vcc, s[0:1]
	s_and_saveexec_b64 s[4:5], s[0:1]
	s_xor_b64 s[0:1], exec, s[4:5]
	s_cbranch_execz .LBB236_23
; %bb.22:
	v_lshlrev_b32_e32 v8, 1, v8
	v_mul_f64 v[4:5], v[16:17], -v[2:3]
	v_mul_f64 v[6:7], v[0:1], v[16:17]
	v_ashrrev_i32_e32 v9, 31, v8
	v_fmac_f64_e32 v[4:5], v[0:1], v[14:15]
	v_fmac_f64_e32 v[6:7], v[2:3], v[14:15]
	s_waitcnt lgkmcnt(0)
	v_lshl_add_u64 v[8:9], v[8:9], 4, s[2:3]
	global_store_dwordx4 v[8:9], v[4:7], off
                                        ; implicit-def: $vgpr14_vgpr15
                                        ; implicit-def: $vgpr16_vgpr17
	s_nop 1
	v_mul_f64 v[4:5], v[12:13], -v[2:3]
	v_mul_f64 v[6:7], v[0:1], v[12:13]
	v_fmac_f64_e32 v[4:5], v[0:1], v[10:11]
	v_fmac_f64_e32 v[6:7], v[2:3], v[10:11]
	global_store_dwordx4 v[8:9], v[4:7], off offset:16
                                        ; implicit-def: $vgpr0_vgpr1
                                        ; implicit-def: $vgpr2_vgpr3
                                        ; implicit-def: $vgpr4_vgpr5
                                        ; implicit-def: $vgpr6_vgpr7
                                        ; implicit-def: $vgpr8
                                        ; implicit-def: $vgpr10_vgpr11
                                        ; implicit-def: $vgpr12_vgpr13
.LBB236_23:
	s_andn2_saveexec_b64 s[0:1], s[0:1]
	s_cbranch_execz .LBB236_25
; %bb.24:
	v_lshlrev_b32_e32 v8, 1, v8
	v_ashrrev_i32_e32 v9, 31, v8
	s_waitcnt lgkmcnt(0)
	v_lshl_add_u64 v[26:27], v[8:9], 4, s[2:3]
	global_load_dwordx4 v[18:21], v[26:27], off
	global_load_dwordx4 v[22:25], v[26:27], off offset:16
	v_mul_f64 v[28:29], v[16:17], -v[2:3]
	v_mul_f64 v[16:17], v[0:1], v[16:17]
	v_mul_f64 v[30:31], v[12:13], -v[2:3]
	v_mul_f64 v[8:9], v[0:1], v[12:13]
	v_fmac_f64_e32 v[28:29], v[0:1], v[14:15]
	v_fmac_f64_e32 v[16:17], v[2:3], v[14:15]
	;; [unrolled: 1-line block ×4, first 2 shown]
	s_waitcnt vmcnt(1)
	v_fmac_f64_e32 v[28:29], v[4:5], v[18:19]
	v_fmac_f64_e32 v[16:17], v[6:7], v[18:19]
	s_waitcnt vmcnt(0)
	v_fmac_f64_e32 v[30:31], v[4:5], v[22:23]
	v_fmac_f64_e32 v[8:9], v[6:7], v[22:23]
	v_fma_f64 v[14:15], -v[6:7], v[20:21], v[28:29]
	v_fmac_f64_e32 v[16:17], v[4:5], v[20:21]
	v_fma_f64 v[6:7], -v[6:7], v[24:25], v[30:31]
	v_fmac_f64_e32 v[8:9], v[4:5], v[24:25]
	global_store_dwordx4 v[26:27], v[14:17], off
	global_store_dwordx4 v[26:27], v[6:9], off offset:16
.LBB236_25:
	s_endpgm
	.section	.rodata,"a",@progbits
	.p2align	6, 0x0
	.amdhsa_kernel _ZN9rocsparseL19gebsrmvn_2xn_kernelILj128ELj3ELj32E21rocsparse_complex_numIdEEEvi20rocsparse_direction_NS_24const_host_device_scalarIT2_EEPKiS8_PKS5_SA_S6_PS5_21rocsparse_index_base_b
		.amdhsa_group_segment_fixed_size 2048
		.amdhsa_private_segment_fixed_size 0
		.amdhsa_kernarg_size 88
		.amdhsa_user_sgpr_count 4
		.amdhsa_user_sgpr_dispatch_ptr 1
		.amdhsa_user_sgpr_queue_ptr 0
		.amdhsa_user_sgpr_kernarg_segment_ptr 1
		.amdhsa_user_sgpr_dispatch_id 0
		.amdhsa_user_sgpr_kernarg_preload_length 0
		.amdhsa_user_sgpr_kernarg_preload_offset 0
		.amdhsa_user_sgpr_private_segment_size 0
		.amdhsa_uses_dynamic_stack 0
		.amdhsa_enable_private_segment 0
		.amdhsa_system_sgpr_workgroup_id_x 1
		.amdhsa_system_sgpr_workgroup_id_y 0
		.amdhsa_system_sgpr_workgroup_id_z 0
		.amdhsa_system_sgpr_workgroup_info 0
		.amdhsa_system_vgpr_workitem_id 2
		.amdhsa_next_free_vgpr 66
		.amdhsa_next_free_sgpr 20
		.amdhsa_accum_offset 68
		.amdhsa_reserve_vcc 1
		.amdhsa_float_round_mode_32 0
		.amdhsa_float_round_mode_16_64 0
		.amdhsa_float_denorm_mode_32 3
		.amdhsa_float_denorm_mode_16_64 3
		.amdhsa_dx10_clamp 1
		.amdhsa_ieee_mode 1
		.amdhsa_fp16_overflow 0
		.amdhsa_tg_split 0
		.amdhsa_exception_fp_ieee_invalid_op 0
		.amdhsa_exception_fp_denorm_src 0
		.amdhsa_exception_fp_ieee_div_zero 0
		.amdhsa_exception_fp_ieee_overflow 0
		.amdhsa_exception_fp_ieee_underflow 0
		.amdhsa_exception_fp_ieee_inexact 0
		.amdhsa_exception_int_div_zero 0
	.end_amdhsa_kernel
	.section	.text._ZN9rocsparseL19gebsrmvn_2xn_kernelILj128ELj3ELj32E21rocsparse_complex_numIdEEEvi20rocsparse_direction_NS_24const_host_device_scalarIT2_EEPKiS8_PKS5_SA_S6_PS5_21rocsparse_index_base_b,"axG",@progbits,_ZN9rocsparseL19gebsrmvn_2xn_kernelILj128ELj3ELj32E21rocsparse_complex_numIdEEEvi20rocsparse_direction_NS_24const_host_device_scalarIT2_EEPKiS8_PKS5_SA_S6_PS5_21rocsparse_index_base_b,comdat
.Lfunc_end236:
	.size	_ZN9rocsparseL19gebsrmvn_2xn_kernelILj128ELj3ELj32E21rocsparse_complex_numIdEEEvi20rocsparse_direction_NS_24const_host_device_scalarIT2_EEPKiS8_PKS5_SA_S6_PS5_21rocsparse_index_base_b, .Lfunc_end236-_ZN9rocsparseL19gebsrmvn_2xn_kernelILj128ELj3ELj32E21rocsparse_complex_numIdEEEvi20rocsparse_direction_NS_24const_host_device_scalarIT2_EEPKiS8_PKS5_SA_S6_PS5_21rocsparse_index_base_b
                                        ; -- End function
	.section	.AMDGPU.csdata,"",@progbits
; Kernel info:
; codeLenInByte = 2048
; NumSgprs: 26
; NumVgprs: 66
; NumAgprs: 0
; TotalNumVgprs: 66
; ScratchSize: 0
; MemoryBound: 0
; FloatMode: 240
; IeeeMode: 1
; LDSByteSize: 2048 bytes/workgroup (compile time only)
; SGPRBlocks: 3
; VGPRBlocks: 8
; NumSGPRsForWavesPerEU: 26
; NumVGPRsForWavesPerEU: 66
; AccumOffset: 68
; Occupancy: 7
; WaveLimiterHint : 1
; COMPUTE_PGM_RSRC2:SCRATCH_EN: 0
; COMPUTE_PGM_RSRC2:USER_SGPR: 4
; COMPUTE_PGM_RSRC2:TRAP_HANDLER: 0
; COMPUTE_PGM_RSRC2:TGID_X_EN: 1
; COMPUTE_PGM_RSRC2:TGID_Y_EN: 0
; COMPUTE_PGM_RSRC2:TGID_Z_EN: 0
; COMPUTE_PGM_RSRC2:TIDIG_COMP_CNT: 2
; COMPUTE_PGM_RSRC3_GFX90A:ACCUM_OFFSET: 16
; COMPUTE_PGM_RSRC3_GFX90A:TG_SPLIT: 0
	.section	.text._ZN9rocsparseL19gebsrmvn_2xn_kernelILj128ELj3ELj64E21rocsparse_complex_numIdEEEvi20rocsparse_direction_NS_24const_host_device_scalarIT2_EEPKiS8_PKS5_SA_S6_PS5_21rocsparse_index_base_b,"axG",@progbits,_ZN9rocsparseL19gebsrmvn_2xn_kernelILj128ELj3ELj64E21rocsparse_complex_numIdEEEvi20rocsparse_direction_NS_24const_host_device_scalarIT2_EEPKiS8_PKS5_SA_S6_PS5_21rocsparse_index_base_b,comdat
	.globl	_ZN9rocsparseL19gebsrmvn_2xn_kernelILj128ELj3ELj64E21rocsparse_complex_numIdEEEvi20rocsparse_direction_NS_24const_host_device_scalarIT2_EEPKiS8_PKS5_SA_S6_PS5_21rocsparse_index_base_b ; -- Begin function _ZN9rocsparseL19gebsrmvn_2xn_kernelILj128ELj3ELj64E21rocsparse_complex_numIdEEEvi20rocsparse_direction_NS_24const_host_device_scalarIT2_EEPKiS8_PKS5_SA_S6_PS5_21rocsparse_index_base_b
	.p2align	8
	.type	_ZN9rocsparseL19gebsrmvn_2xn_kernelILj128ELj3ELj64E21rocsparse_complex_numIdEEEvi20rocsparse_direction_NS_24const_host_device_scalarIT2_EEPKiS8_PKS5_SA_S6_PS5_21rocsparse_index_base_b,@function
_ZN9rocsparseL19gebsrmvn_2xn_kernelILj128ELj3ELj64E21rocsparse_complex_numIdEEEvi20rocsparse_direction_NS_24const_host_device_scalarIT2_EEPKiS8_PKS5_SA_S6_PS5_21rocsparse_index_base_b: ; @_ZN9rocsparseL19gebsrmvn_2xn_kernelILj128ELj3ELj64E21rocsparse_complex_numIdEEEvi20rocsparse_direction_NS_24const_host_device_scalarIT2_EEPKiS8_PKS5_SA_S6_PS5_21rocsparse_index_base_b
; %bb.0:
	s_load_dwordx2 s[16:17], s[2:3], 0x50
	s_load_dwordx4 s[12:15], s[2:3], 0x8
	s_load_dwordx4 s[8:11], s[2:3], 0x38
	s_load_dwordx2 s[18:19], s[0:1], 0x4
	s_mov_b64 s[6:7], src_shared_base
	s_waitcnt lgkmcnt(0)
	s_bitcmp1_b32 s17, 0
	s_cselect_b64 s[0:1], -1, 0
	s_and_b64 vcc, s[0:1], exec
	s_cselect_b32 s5, s7, s13
	s_lshr_b32 s6, s18, 16
	v_bfe_u32 v1, v0, 10, 10
	v_and_b32_e32 v10, 0x3ff, v0
	s_mul_i32 s6, s6, s19
	v_mul_u32_u24_e32 v1, s19, v1
	v_mad_u32_u24 v1, s6, v10, v1
	v_bfe_u32 v0, v0, 20, 10
	v_add_lshl_u32 v4, v1, v0, 3
	v_mov_b32_e32 v5, s12
	v_add_u32_e32 v6, 0x400, v4
	v_mov_b64_e32 v[0:1], s[12:13]
	v_mov_b64_e32 v[2:3], s[8:9]
	ds_write2st64_b64 v4, v[2:3], v[0:1] offset1:2
	v_cndmask_b32_e64 v0, v5, v6, s[0:1]
	v_mov_b32_e32 v1, s5
	flat_load_dwordx2 v[0:1], v[0:1]
	s_xor_b64 s[18:19], s[0:1], -1
	v_mov_b64_e32 v[2:3], s[14:15]
	s_cbranch_vccnz .LBB237_2
; %bb.1:
	v_mov_b64_e32 v[2:3], s[12:13]
	flat_load_dwordx2 v[2:3], v[2:3] offset:8
.LBB237_2:
	s_and_b64 s[12:13], s[0:1], exec
	s_cselect_b32 s5, s7, s9
	v_mov_b32_e32 v5, s8
	v_cndmask_b32_e64 v4, v5, v4, s[0:1]
	v_mov_b32_e32 v5, s5
	flat_load_dwordx2 v[4:5], v[4:5]
	s_andn2_b64 vcc, exec, s[18:19]
	v_mov_b64_e32 v[6:7], s[10:11]
	s_cbranch_vccnz .LBB237_4
; %bb.3:
	v_mov_b64_e32 v[6:7], s[8:9]
	flat_load_dwordx2 v[6:7], v[6:7] offset:8
.LBB237_4:
	s_waitcnt vmcnt(0) lgkmcnt(0)
	v_cmp_eq_f64_e32 vcc, 0, v[0:1]
	v_cmp_eq_f64_e64 s[0:1], 0, v[2:3]
	s_and_b64 s[8:9], vcc, s[0:1]
	s_mov_b64 s[0:1], -1
	s_and_saveexec_b64 s[6:7], s[8:9]
; %bb.5:
	v_cmp_neq_f64_e32 vcc, 1.0, v[4:5]
	v_cmp_neq_f64_e64 s[0:1], 0, v[6:7]
	s_or_b64 s[0:1], vcc, s[0:1]
	s_orn2_b64 s[0:1], s[0:1], exec
; %bb.6:
	s_or_b64 exec, exec, s[6:7]
	s_and_saveexec_b64 s[6:7], s[0:1]
	s_cbranch_execz .LBB237_25
; %bb.7:
	s_load_dwordx2 s[0:1], s[2:3], 0x0
	v_lshrrev_b32_e32 v8, 6, v10
	v_lshl_or_b32 v8, s4, 1, v8
	s_waitcnt lgkmcnt(0)
	v_cmp_gt_i32_e32 vcc, s0, v8
	s_and_b64 exec, exec, vcc
	s_cbranch_execz .LBB237_25
; %bb.8:
	s_load_dwordx8 s[4:11], s[2:3], 0x18
	v_ashrrev_i32_e32 v9, 31, v8
	s_cmp_lg_u32 s1, 0
	s_waitcnt lgkmcnt(0)
	v_lshl_add_u64 v[12:13], v[8:9], 2, s[4:5]
	global_load_dwordx2 v[12:13], v[12:13], off
	v_and_b32_e32 v9, 63, v10
	s_waitcnt vmcnt(0)
	v_subrev_u32_e32 v10, s16, v12
	v_subrev_u32_e32 v24, s16, v13
	v_add_u32_e32 v16, v10, v9
	v_cmp_lt_i32_e64 s[0:1], v16, v24
	s_cbranch_scc0 .LBB237_14
; %bb.9:
	v_mov_b64_e32 v[12:13], 0
	s_mov_b64 s[4:5], 0
	v_mov_b64_e32 v[18:19], v[12:13]
	v_mov_b64_e32 v[14:15], v[12:13]
	v_mov_b64_e32 v[10:11], v[12:13]
	s_and_saveexec_b64 s[12:13], s[0:1]
	s_cbranch_execz .LBB237_13
; %bb.10:
	v_mov_b64_e32 v[12:13], 0
	v_mul_lo_u32 v20, v16, 6
	s_mov_b64 s[14:15], 0
	v_mov_b32_e32 v21, 0
	v_mov_b32_e32 v22, v16
	v_mov_b64_e32 v[18:19], v[12:13]
	v_mov_b64_e32 v[14:15], v[12:13]
	;; [unrolled: 1-line block ×3, first 2 shown]
.LBB237_11:                             ; =>This Inner Loop Header: Depth=1
	v_ashrrev_i32_e32 v23, 31, v22
	v_lshl_add_u64 v[26:27], v[22:23], 2, s[6:7]
	global_load_dword v17, v[26:27], off
	v_add_u32_e32 v36, 2, v20
	v_mov_b32_e32 v37, v21
	v_lshl_add_u64 v[34:35], v[20:21], 4, s[8:9]
	v_mov_b32_e32 v51, v21
	v_add_u32_e32 v38, 4, v20
	v_mov_b32_e32 v39, v21
	v_lshl_add_u64 v[52:53], v[36:37], 4, s[8:9]
	global_load_dwordx4 v[26:29], v[34:35], off offset:16
	global_load_dwordx4 v[30:33], v[34:35], off
	v_lshl_add_u64 v[58:59], v[38:39], 4, s[8:9]
	global_load_dwordx4 v[34:37], v[52:53], off offset:16
	global_load_dwordx4 v[38:41], v[52:53], off
	global_load_dwordx4 v[42:45], v[58:59], off offset:16
	global_load_dwordx4 v[46:49], v[58:59], off
	v_mov_b32_e32 v55, v21
	v_mov_b32_e32 v57, v21
	v_add_u32_e32 v22, 64, v22
	v_cmp_ge_i32_e32 vcc, v22, v24
	v_add_u32_e32 v20, 0x180, v20
	s_or_b64 s[14:15], vcc, s[14:15]
	s_waitcnt vmcnt(6)
	v_subrev_u32_e32 v17, s16, v17
	v_lshl_add_u32 v50, v17, 1, v17
	v_lshl_add_u64 v[52:53], v[50:51], 4, s[10:11]
	v_add_u32_e32 v54, 1, v50
	v_add_u32_e32 v56, 2, v50
	global_load_dwordx4 v[50:53], v[52:53], off
	v_lshl_add_u64 v[62:63], v[54:55], 4, s[10:11]
	v_lshl_add_u64 v[64:65], v[56:57], 4, s[10:11]
	global_load_dwordx4 v[54:57], v[62:63], off
	global_load_dwordx4 v[58:61], v[64:65], off
	s_waitcnt vmcnt(2)
	v_fmac_f64_e32 v[18:19], v[30:31], v[50:51]
	v_fmac_f64_e32 v[12:13], v[32:33], v[50:51]
	v_fmac_f64_e32 v[14:15], v[26:27], v[50:51]
	v_fmac_f64_e32 v[10:11], v[28:29], v[50:51]
	v_fma_f64 v[18:19], -v[32:33], v[52:53], v[18:19]
	v_fmac_f64_e32 v[12:13], v[30:31], v[52:53]
	v_fma_f64 v[14:15], -v[28:29], v[52:53], v[14:15]
	v_fmac_f64_e32 v[10:11], v[26:27], v[52:53]
	s_waitcnt vmcnt(1)
	v_fmac_f64_e32 v[18:19], v[38:39], v[54:55]
	v_fmac_f64_e32 v[12:13], v[40:41], v[54:55]
	v_fmac_f64_e32 v[14:15], v[34:35], v[54:55]
	v_fmac_f64_e32 v[10:11], v[36:37], v[54:55]
	v_fma_f64 v[18:19], -v[40:41], v[56:57], v[18:19]
	v_fmac_f64_e32 v[12:13], v[38:39], v[56:57]
	v_fma_f64 v[14:15], -v[36:37], v[56:57], v[14:15]
	v_fmac_f64_e32 v[10:11], v[34:35], v[56:57]
	;; [unrolled: 9-line block ×3, first 2 shown]
	s_andn2_b64 exec, exec, s[14:15]
	s_cbranch_execnz .LBB237_11
; %bb.12:
	s_or_b64 exec, exec, s[14:15]
.LBB237_13:
	s_or_b64 exec, exec, s[12:13]
	s_andn2_b64 vcc, exec, s[4:5]
	s_cbranch_vccz .LBB237_15
	s_branch .LBB237_20
.LBB237_14:
                                        ; implicit-def: $vgpr12_vgpr13
                                        ; implicit-def: $vgpr18_vgpr19
                                        ; implicit-def: $vgpr14_vgpr15
                                        ; implicit-def: $vgpr10_vgpr11
.LBB237_15:
	v_mov_b64_e32 v[12:13], 0
	v_mov_b64_e32 v[18:19], v[12:13]
	;; [unrolled: 1-line block ×4, first 2 shown]
	s_and_saveexec_b64 s[4:5], s[0:1]
	s_cbranch_execz .LBB237_19
; %bb.16:
	v_mad_u64_u32 v[20:21], s[0:1], v16, 6, 5
	v_mov_b64_e32 v[12:13], 0
	s_mov_b64 s[0:1], 0
	v_mov_b32_e32 v23, 0
	v_mov_b64_e32 v[18:19], v[12:13]
	v_mov_b64_e32 v[14:15], v[12:13]
	v_mov_b64_e32 v[10:11], v[12:13]
.LBB237_17:                             ; =>This Inner Loop Header: Depth=1
	v_ashrrev_i32_e32 v17, 31, v16
	v_lshl_add_u64 v[26:27], v[16:17], 2, s[6:7]
	global_load_dword v17, v[26:27], off
	v_add_u32_e32 v22, -5, v20
	v_add_u32_e32 v26, -2, v20
	v_mov_b32_e32 v55, v23
	v_mov_b32_e32 v27, v23
	;; [unrolled: 1-line block ×3, first 2 shown]
	v_lshl_add_u64 v[42:43], v[22:23], 4, s[8:9]
	v_lshl_add_u64 v[44:45], v[26:27], 4, s[8:9]
	;; [unrolled: 1-line block ×3, first 2 shown]
	global_load_dwordx4 v[26:29], v[42:43], off offset:16
	global_load_dwordx4 v[30:33], v[42:43], off
	global_load_dwordx4 v[34:37], v[44:45], off
	;; [unrolled: 1-line block ×3, first 2 shown]
	v_add_u32_e32 v16, 64, v16
	v_cmp_ge_i32_e32 vcc, v16, v24
	s_or_b64 s[0:1], vcc, s[0:1]
	s_waitcnt vmcnt(4)
	v_subrev_u32_e32 v17, s16, v17
	v_lshl_add_u32 v54, v17, 1, v17
	v_lshl_add_u64 v[42:43], v[54:55], 4, s[10:11]
	v_add_u32_e32 v22, 1, v54
	global_load_dwordx4 v[42:45], v[42:43], off
	v_lshl_add_u64 v[46:47], v[22:23], 4, s[10:11]
	global_load_dwordx4 v[46:49], v[46:47], off
	v_add_u32_e32 v22, -1, v20
	v_lshl_add_u64 v[50:51], v[22:23], 4, s[8:9]
	v_add_u32_e32 v22, -3, v20
	global_load_dwordx4 v[50:53], v[50:51], off
	v_lshl_add_u64 v[56:57], v[22:23], 4, s[8:9]
	v_add_u32_e32 v22, 2, v54
	global_load_dwordx4 v[54:57], v[56:57], off
	v_lshl_add_u64 v[58:59], v[22:23], 4, s[10:11]
	global_load_dwordx4 v[58:61], v[58:59], off
	v_add_u32_e32 v20, 0x180, v20
	s_waitcnt vmcnt(4)
	v_fmac_f64_e32 v[18:19], v[30:31], v[42:43]
	v_fmac_f64_e32 v[12:13], v[32:33], v[42:43]
	;; [unrolled: 1-line block ×4, first 2 shown]
	v_fma_f64 v[18:19], -v[32:33], v[44:45], v[18:19]
	v_fmac_f64_e32 v[12:13], v[30:31], v[44:45]
	v_fma_f64 v[14:15], -v[36:37], v[44:45], v[14:15]
	v_fmac_f64_e32 v[10:11], v[34:35], v[44:45]
	s_waitcnt vmcnt(3)
	v_fmac_f64_e32 v[18:19], v[26:27], v[46:47]
	v_fmac_f64_e32 v[12:13], v[28:29], v[46:47]
	s_waitcnt vmcnt(2)
	v_fmac_f64_e32 v[14:15], v[50:51], v[46:47]
	v_fmac_f64_e32 v[10:11], v[52:53], v[46:47]
	v_fma_f64 v[18:19], -v[28:29], v[48:49], v[18:19]
	v_fmac_f64_e32 v[12:13], v[26:27], v[48:49]
	v_fma_f64 v[14:15], -v[52:53], v[48:49], v[14:15]
	v_fmac_f64_e32 v[10:11], v[50:51], v[48:49]
	s_waitcnt vmcnt(0)
	v_fmac_f64_e32 v[18:19], v[54:55], v[58:59]
	v_fmac_f64_e32 v[12:13], v[56:57], v[58:59]
	;; [unrolled: 1-line block ×4, first 2 shown]
	v_fma_f64 v[18:19], -v[56:57], v[60:61], v[18:19]
	v_fmac_f64_e32 v[12:13], v[54:55], v[60:61]
	v_fma_f64 v[14:15], -v[40:41], v[60:61], v[14:15]
	v_fmac_f64_e32 v[10:11], v[38:39], v[60:61]
	s_andn2_b64 exec, exec, s[0:1]
	s_cbranch_execnz .LBB237_17
; %bb.18:
	s_or_b64 exec, exec, s[0:1]
.LBB237_19:
	s_or_b64 exec, exec, s[4:5]
.LBB237_20:
	v_mov_b32_dpp v22, v14 row_shr:1 row_mask:0xf bank_mask:0xf
	v_mov_b32_dpp v23, v15 row_shr:1 row_mask:0xf bank_mask:0xf
	v_add_f64 v[14:15], v[14:15], v[22:23]
	v_mov_b32_dpp v16, v18 row_shr:1 row_mask:0xf bank_mask:0xf
	v_mov_b32_dpp v17, v19 row_shr:1 row_mask:0xf bank_mask:0xf
	;; [unrolled: 1-line block ×4, first 2 shown]
	v_add_f64 v[14:15], v[14:15], v[22:23]
	v_mov_b32_dpp v20, v12 row_shr:1 row_mask:0xf bank_mask:0xf
	v_mov_b32_dpp v21, v13 row_shr:1 row_mask:0xf bank_mask:0xf
	;; [unrolled: 1-line block ×4, first 2 shown]
	v_add_f64 v[14:15], v[14:15], v[22:23]
	v_add_f64 v[16:17], v[18:19], v[16:17]
	;; [unrolled: 1-line block ×3, first 2 shown]
	v_mov_b32_dpp v22, v14 row_shr:8 row_mask:0xf bank_mask:0xc
	v_mov_b32_dpp v23, v15 row_shr:8 row_mask:0xf bank_mask:0xc
	v_add_f64 v[14:15], v[14:15], v[22:23]
	v_mov_b32_dpp v18, v16 row_shr:2 row_mask:0xf bank_mask:0xf
	v_mov_b32_dpp v19, v17 row_shr:2 row_mask:0xf bank_mask:0xf
	v_mov_b32_dpp v22, v14 row_bcast:15 row_mask:0xa bank_mask:0xf
	v_mov_b32_dpp v23, v15 row_bcast:15 row_mask:0xa bank_mask:0xf
	v_add_f64 v[22:23], v[14:15], v[22:23]
	v_mov_b32_dpp v14, v10 row_shr:1 row_mask:0xf bank_mask:0xf
	v_mov_b32_dpp v15, v11 row_shr:1 row_mask:0xf bank_mask:0xf
	v_add_f64 v[10:11], v[10:11], v[14:15]
	v_mov_b32_dpp v20, v12 row_shr:2 row_mask:0xf bank_mask:0xf
	v_mov_b32_dpp v21, v13 row_shr:2 row_mask:0xf bank_mask:0xf
	;; [unrolled: 1-line block ×4, first 2 shown]
	v_add_f64 v[16:17], v[16:17], v[18:19]
	v_add_f64 v[12:13], v[12:13], v[20:21]
	;; [unrolled: 1-line block ×3, first 2 shown]
	v_mov_b32_dpp v18, v16 row_shr:4 row_mask:0xf bank_mask:0xe
	v_mov_b32_dpp v19, v17 row_shr:4 row_mask:0xf bank_mask:0xe
	;; [unrolled: 1-line block ×6, first 2 shown]
	v_add_f64 v[16:17], v[16:17], v[18:19]
	v_add_f64 v[12:13], v[12:13], v[20:21]
	;; [unrolled: 1-line block ×3, first 2 shown]
	v_mov_b32_dpp v18, v16 row_shr:8 row_mask:0xf bank_mask:0xc
	v_mov_b32_dpp v19, v17 row_shr:8 row_mask:0xf bank_mask:0xc
	;; [unrolled: 1-line block ×6, first 2 shown]
	v_add_f64 v[16:17], v[16:17], v[18:19]
	v_add_f64 v[12:13], v[12:13], v[20:21]
	;; [unrolled: 1-line block ×3, first 2 shown]
	v_mov_b32_dpp v18, v16 row_bcast:15 row_mask:0xa bank_mask:0xf
	v_mov_b32_dpp v19, v17 row_bcast:15 row_mask:0xa bank_mask:0xf
	;; [unrolled: 1-line block ×6, first 2 shown]
	v_add_f64 v[16:17], v[16:17], v[18:19]
	v_add_f64 v[12:13], v[12:13], v[20:21]
	;; [unrolled: 1-line block ×3, first 2 shown]
	v_mov_b32_dpp v18, v16 row_bcast:31 row_mask:0xc bank_mask:0xf
	v_mov_b32_dpp v19, v17 row_bcast:31 row_mask:0xc bank_mask:0xf
	;; [unrolled: 1-line block ×8, first 2 shown]
	v_cmp_eq_u32_e32 vcc, 63, v9
	s_and_b64 exec, exec, vcc
	s_cbranch_execz .LBB237_25
; %bb.21:
	s_load_dwordx2 s[2:3], s[2:3], 0x48
	v_cmp_eq_f64_e32 vcc, 0, v[4:5]
	v_cmp_eq_f64_e64 s[0:1], 0, v[6:7]
	v_add_f64 v[14:15], v[16:17], v[18:19]
	v_add_f64 v[16:17], v[12:13], v[20:21]
	;; [unrolled: 1-line block ×4, first 2 shown]
	s_and_b64 s[0:1], vcc, s[0:1]
	s_and_saveexec_b64 s[4:5], s[0:1]
	s_xor_b64 s[0:1], exec, s[4:5]
	s_cbranch_execz .LBB237_23
; %bb.22:
	v_lshlrev_b32_e32 v8, 1, v8
	v_mul_f64 v[4:5], v[16:17], -v[2:3]
	v_mul_f64 v[6:7], v[0:1], v[16:17]
	v_ashrrev_i32_e32 v9, 31, v8
	v_fmac_f64_e32 v[4:5], v[0:1], v[14:15]
	v_fmac_f64_e32 v[6:7], v[2:3], v[14:15]
	s_waitcnt lgkmcnt(0)
	v_lshl_add_u64 v[8:9], v[8:9], 4, s[2:3]
	global_store_dwordx4 v[8:9], v[4:7], off
                                        ; implicit-def: $vgpr14_vgpr15
                                        ; implicit-def: $vgpr16_vgpr17
	s_nop 1
	v_mul_f64 v[4:5], v[12:13], -v[2:3]
	v_mul_f64 v[6:7], v[0:1], v[12:13]
	v_fmac_f64_e32 v[4:5], v[0:1], v[10:11]
	v_fmac_f64_e32 v[6:7], v[2:3], v[10:11]
	global_store_dwordx4 v[8:9], v[4:7], off offset:16
                                        ; implicit-def: $vgpr0_vgpr1
                                        ; implicit-def: $vgpr2_vgpr3
                                        ; implicit-def: $vgpr4_vgpr5
                                        ; implicit-def: $vgpr6_vgpr7
                                        ; implicit-def: $vgpr8
                                        ; implicit-def: $vgpr10_vgpr11
                                        ; implicit-def: $vgpr12_vgpr13
.LBB237_23:
	s_andn2_saveexec_b64 s[0:1], s[0:1]
	s_cbranch_execz .LBB237_25
; %bb.24:
	v_lshlrev_b32_e32 v8, 1, v8
	v_ashrrev_i32_e32 v9, 31, v8
	s_waitcnt lgkmcnt(0)
	v_lshl_add_u64 v[26:27], v[8:9], 4, s[2:3]
	global_load_dwordx4 v[18:21], v[26:27], off
	global_load_dwordx4 v[22:25], v[26:27], off offset:16
	v_mul_f64 v[28:29], v[16:17], -v[2:3]
	v_mul_f64 v[16:17], v[0:1], v[16:17]
	v_mul_f64 v[30:31], v[12:13], -v[2:3]
	v_mul_f64 v[8:9], v[0:1], v[12:13]
	v_fmac_f64_e32 v[28:29], v[0:1], v[14:15]
	v_fmac_f64_e32 v[16:17], v[2:3], v[14:15]
	;; [unrolled: 1-line block ×4, first 2 shown]
	s_waitcnt vmcnt(1)
	v_fmac_f64_e32 v[28:29], v[4:5], v[18:19]
	v_fmac_f64_e32 v[16:17], v[6:7], v[18:19]
	s_waitcnt vmcnt(0)
	v_fmac_f64_e32 v[30:31], v[4:5], v[22:23]
	v_fmac_f64_e32 v[8:9], v[6:7], v[22:23]
	v_fma_f64 v[14:15], -v[6:7], v[20:21], v[28:29]
	v_fmac_f64_e32 v[16:17], v[4:5], v[20:21]
	v_fma_f64 v[6:7], -v[6:7], v[24:25], v[30:31]
	v_fmac_f64_e32 v[8:9], v[4:5], v[24:25]
	global_store_dwordx4 v[26:27], v[14:17], off
	global_store_dwordx4 v[26:27], v[6:9], off offset:16
.LBB237_25:
	s_endpgm
	.section	.rodata,"a",@progbits
	.p2align	6, 0x0
	.amdhsa_kernel _ZN9rocsparseL19gebsrmvn_2xn_kernelILj128ELj3ELj64E21rocsparse_complex_numIdEEEvi20rocsparse_direction_NS_24const_host_device_scalarIT2_EEPKiS8_PKS5_SA_S6_PS5_21rocsparse_index_base_b
		.amdhsa_group_segment_fixed_size 2048
		.amdhsa_private_segment_fixed_size 0
		.amdhsa_kernarg_size 88
		.amdhsa_user_sgpr_count 4
		.amdhsa_user_sgpr_dispatch_ptr 1
		.amdhsa_user_sgpr_queue_ptr 0
		.amdhsa_user_sgpr_kernarg_segment_ptr 1
		.amdhsa_user_sgpr_dispatch_id 0
		.amdhsa_user_sgpr_kernarg_preload_length 0
		.amdhsa_user_sgpr_kernarg_preload_offset 0
		.amdhsa_user_sgpr_private_segment_size 0
		.amdhsa_uses_dynamic_stack 0
		.amdhsa_enable_private_segment 0
		.amdhsa_system_sgpr_workgroup_id_x 1
		.amdhsa_system_sgpr_workgroup_id_y 0
		.amdhsa_system_sgpr_workgroup_id_z 0
		.amdhsa_system_sgpr_workgroup_info 0
		.amdhsa_system_vgpr_workitem_id 2
		.amdhsa_next_free_vgpr 66
		.amdhsa_next_free_sgpr 20
		.amdhsa_accum_offset 68
		.amdhsa_reserve_vcc 1
		.amdhsa_float_round_mode_32 0
		.amdhsa_float_round_mode_16_64 0
		.amdhsa_float_denorm_mode_32 3
		.amdhsa_float_denorm_mode_16_64 3
		.amdhsa_dx10_clamp 1
		.amdhsa_ieee_mode 1
		.amdhsa_fp16_overflow 0
		.amdhsa_tg_split 0
		.amdhsa_exception_fp_ieee_invalid_op 0
		.amdhsa_exception_fp_denorm_src 0
		.amdhsa_exception_fp_ieee_div_zero 0
		.amdhsa_exception_fp_ieee_overflow 0
		.amdhsa_exception_fp_ieee_underflow 0
		.amdhsa_exception_fp_ieee_inexact 0
		.amdhsa_exception_int_div_zero 0
	.end_amdhsa_kernel
	.section	.text._ZN9rocsparseL19gebsrmvn_2xn_kernelILj128ELj3ELj64E21rocsparse_complex_numIdEEEvi20rocsparse_direction_NS_24const_host_device_scalarIT2_EEPKiS8_PKS5_SA_S6_PS5_21rocsparse_index_base_b,"axG",@progbits,_ZN9rocsparseL19gebsrmvn_2xn_kernelILj128ELj3ELj64E21rocsparse_complex_numIdEEEvi20rocsparse_direction_NS_24const_host_device_scalarIT2_EEPKiS8_PKS5_SA_S6_PS5_21rocsparse_index_base_b,comdat
.Lfunc_end237:
	.size	_ZN9rocsparseL19gebsrmvn_2xn_kernelILj128ELj3ELj64E21rocsparse_complex_numIdEEEvi20rocsparse_direction_NS_24const_host_device_scalarIT2_EEPKiS8_PKS5_SA_S6_PS5_21rocsparse_index_base_b, .Lfunc_end237-_ZN9rocsparseL19gebsrmvn_2xn_kernelILj128ELj3ELj64E21rocsparse_complex_numIdEEEvi20rocsparse_direction_NS_24const_host_device_scalarIT2_EEPKiS8_PKS5_SA_S6_PS5_21rocsparse_index_base_b
                                        ; -- End function
	.section	.AMDGPU.csdata,"",@progbits
; Kernel info:
; codeLenInByte = 2144
; NumSgprs: 26
; NumVgprs: 66
; NumAgprs: 0
; TotalNumVgprs: 66
; ScratchSize: 0
; MemoryBound: 0
; FloatMode: 240
; IeeeMode: 1
; LDSByteSize: 2048 bytes/workgroup (compile time only)
; SGPRBlocks: 3
; VGPRBlocks: 8
; NumSGPRsForWavesPerEU: 26
; NumVGPRsForWavesPerEU: 66
; AccumOffset: 68
; Occupancy: 7
; WaveLimiterHint : 1
; COMPUTE_PGM_RSRC2:SCRATCH_EN: 0
; COMPUTE_PGM_RSRC2:USER_SGPR: 4
; COMPUTE_PGM_RSRC2:TRAP_HANDLER: 0
; COMPUTE_PGM_RSRC2:TGID_X_EN: 1
; COMPUTE_PGM_RSRC2:TGID_Y_EN: 0
; COMPUTE_PGM_RSRC2:TGID_Z_EN: 0
; COMPUTE_PGM_RSRC2:TIDIG_COMP_CNT: 2
; COMPUTE_PGM_RSRC3_GFX90A:ACCUM_OFFSET: 16
; COMPUTE_PGM_RSRC3_GFX90A:TG_SPLIT: 0
	.section	.text._ZN9rocsparseL19gebsrmvn_2xn_kernelILj128ELj4ELj4E21rocsparse_complex_numIdEEEvi20rocsparse_direction_NS_24const_host_device_scalarIT2_EEPKiS8_PKS5_SA_S6_PS5_21rocsparse_index_base_b,"axG",@progbits,_ZN9rocsparseL19gebsrmvn_2xn_kernelILj128ELj4ELj4E21rocsparse_complex_numIdEEEvi20rocsparse_direction_NS_24const_host_device_scalarIT2_EEPKiS8_PKS5_SA_S6_PS5_21rocsparse_index_base_b,comdat
	.globl	_ZN9rocsparseL19gebsrmvn_2xn_kernelILj128ELj4ELj4E21rocsparse_complex_numIdEEEvi20rocsparse_direction_NS_24const_host_device_scalarIT2_EEPKiS8_PKS5_SA_S6_PS5_21rocsparse_index_base_b ; -- Begin function _ZN9rocsparseL19gebsrmvn_2xn_kernelILj128ELj4ELj4E21rocsparse_complex_numIdEEEvi20rocsparse_direction_NS_24const_host_device_scalarIT2_EEPKiS8_PKS5_SA_S6_PS5_21rocsparse_index_base_b
	.p2align	8
	.type	_ZN9rocsparseL19gebsrmvn_2xn_kernelILj128ELj4ELj4E21rocsparse_complex_numIdEEEvi20rocsparse_direction_NS_24const_host_device_scalarIT2_EEPKiS8_PKS5_SA_S6_PS5_21rocsparse_index_base_b,@function
_ZN9rocsparseL19gebsrmvn_2xn_kernelILj128ELj4ELj4E21rocsparse_complex_numIdEEEvi20rocsparse_direction_NS_24const_host_device_scalarIT2_EEPKiS8_PKS5_SA_S6_PS5_21rocsparse_index_base_b: ; @_ZN9rocsparseL19gebsrmvn_2xn_kernelILj128ELj4ELj4E21rocsparse_complex_numIdEEEvi20rocsparse_direction_NS_24const_host_device_scalarIT2_EEPKiS8_PKS5_SA_S6_PS5_21rocsparse_index_base_b
; %bb.0:
	s_load_dwordx2 s[16:17], s[2:3], 0x50
	s_load_dwordx4 s[12:15], s[2:3], 0x8
	s_load_dwordx4 s[8:11], s[2:3], 0x38
	s_load_dwordx2 s[18:19], s[0:1], 0x4
	s_mov_b64 s[6:7], src_shared_base
	s_waitcnt lgkmcnt(0)
	s_bitcmp1_b32 s17, 0
	s_cselect_b64 s[0:1], -1, 0
	s_and_b64 vcc, s[0:1], exec
	s_cselect_b32 s5, s7, s13
	s_lshr_b32 s6, s18, 16
	v_bfe_u32 v1, v0, 10, 10
	v_and_b32_e32 v10, 0x3ff, v0
	s_mul_i32 s6, s6, s19
	v_mul_u32_u24_e32 v1, s19, v1
	v_mad_u32_u24 v1, s6, v10, v1
	v_bfe_u32 v0, v0, 20, 10
	v_add_lshl_u32 v4, v1, v0, 3
	v_mov_b32_e32 v5, s12
	v_add_u32_e32 v6, 0x400, v4
	v_mov_b64_e32 v[0:1], s[12:13]
	v_mov_b64_e32 v[2:3], s[8:9]
	ds_write2st64_b64 v4, v[2:3], v[0:1] offset1:2
	v_cndmask_b32_e64 v0, v5, v6, s[0:1]
	v_mov_b32_e32 v1, s5
	flat_load_dwordx2 v[0:1], v[0:1]
	s_xor_b64 s[18:19], s[0:1], -1
	v_mov_b64_e32 v[2:3], s[14:15]
	s_cbranch_vccnz .LBB238_2
; %bb.1:
	v_mov_b64_e32 v[2:3], s[12:13]
	flat_load_dwordx2 v[2:3], v[2:3] offset:8
.LBB238_2:
	s_and_b64 s[12:13], s[0:1], exec
	s_cselect_b32 s5, s7, s9
	v_mov_b32_e32 v5, s8
	v_cndmask_b32_e64 v4, v5, v4, s[0:1]
	v_mov_b32_e32 v5, s5
	flat_load_dwordx2 v[4:5], v[4:5]
	s_andn2_b64 vcc, exec, s[18:19]
	v_mov_b64_e32 v[6:7], s[10:11]
	s_cbranch_vccnz .LBB238_4
; %bb.3:
	v_mov_b64_e32 v[6:7], s[8:9]
	flat_load_dwordx2 v[6:7], v[6:7] offset:8
.LBB238_4:
	s_waitcnt vmcnt(0) lgkmcnt(0)
	v_cmp_eq_f64_e32 vcc, 0, v[0:1]
	v_cmp_eq_f64_e64 s[0:1], 0, v[2:3]
	s_and_b64 s[8:9], vcc, s[0:1]
	s_mov_b64 s[0:1], -1
	s_and_saveexec_b64 s[6:7], s[8:9]
; %bb.5:
	v_cmp_neq_f64_e32 vcc, 1.0, v[4:5]
	v_cmp_neq_f64_e64 s[0:1], 0, v[6:7]
	s_or_b64 s[0:1], vcc, s[0:1]
	s_orn2_b64 s[0:1], s[0:1], exec
; %bb.6:
	s_or_b64 exec, exec, s[6:7]
	s_and_saveexec_b64 s[6:7], s[0:1]
	s_cbranch_execz .LBB238_25
; %bb.7:
	s_load_dwordx2 s[0:1], s[2:3], 0x0
	v_lshrrev_b32_e32 v8, 2, v10
	v_lshl_or_b32 v8, s4, 5, v8
	s_waitcnt lgkmcnt(0)
	v_cmp_gt_i32_e32 vcc, s0, v8
	s_and_b64 exec, exec, vcc
	s_cbranch_execz .LBB238_25
; %bb.8:
	s_load_dwordx8 s[4:11], s[2:3], 0x18
	v_ashrrev_i32_e32 v9, 31, v8
	s_cmp_lg_u32 s1, 0
	s_waitcnt lgkmcnt(0)
	v_lshl_add_u64 v[12:13], v[8:9], 2, s[4:5]
	global_load_dwordx2 v[12:13], v[12:13], off
	v_and_b32_e32 v9, 3, v10
	s_waitcnt vmcnt(0)
	v_subrev_u32_e32 v10, s16, v12
	v_subrev_u32_e32 v24, s16, v13
	v_add_u32_e32 v14, v10, v9
	v_cmp_lt_i32_e64 s[0:1], v14, v24
	s_cbranch_scc0 .LBB238_14
; %bb.9:
	v_mov_b64_e32 v[10:11], 0
	s_mov_b64 s[4:5], 0
	v_mov_b64_e32 v[18:19], v[10:11]
	v_mov_b64_e32 v[16:17], v[10:11]
	;; [unrolled: 1-line block ×3, first 2 shown]
	s_and_saveexec_b64 s[12:13], s[0:1]
	s_cbranch_execz .LBB238_13
; %bb.10:
	v_mov_b64_e32 v[10:11], 0
	v_lshlrev_b32_e32 v20, 3, v14
	s_mov_b64 s[14:15], 0
	v_mov_b32_e32 v21, 0
	v_mov_b32_e32 v22, v14
	v_mov_b64_e32 v[18:19], v[10:11]
	v_mov_b64_e32 v[16:17], v[10:11]
	;; [unrolled: 1-line block ×3, first 2 shown]
.LBB238_11:                             ; =>This Inner Loop Header: Depth=1
	v_ashrrev_i32_e32 v23, 31, v22
	v_lshl_add_u64 v[26:27], v[22:23], 2, s[6:7]
	global_load_dword v15, v[26:27], off
	v_mov_b32_e32 v61, v21
	v_lshl_add_u64 v[58:59], v[20:21], 4, s[8:9]
	global_load_dwordx4 v[26:29], v[58:59], off offset:48
	global_load_dwordx4 v[30:33], v[58:59], off offset:32
	;; [unrolled: 1-line block ×3, first 2 shown]
	global_load_dwordx4 v[38:41], v[58:59], off
	global_load_dwordx4 v[42:45], v[58:59], off offset:96
	global_load_dwordx4 v[46:49], v[58:59], off offset:80
	;; [unrolled: 1-line block ×4, first 2 shown]
	v_add_u32_e32 v22, 4, v22
	v_cmp_ge_i32_e32 vcc, v22, v24
	v_add_u32_e32 v20, 32, v20
	s_or_b64 s[14:15], vcc, s[14:15]
	s_waitcnt vmcnt(8)
	v_subrev_u32_e32 v15, s16, v15
	v_lshlrev_b32_e32 v60, 2, v15
	v_lshl_add_u64 v[74:75], v[60:61], 4, s[10:11]
	global_load_dwordx4 v[58:61], v[74:75], off
	global_load_dwordx4 v[62:65], v[74:75], off offset:16
	global_load_dwordx4 v[66:69], v[74:75], off offset:32
	global_load_dwordx4 v[70:73], v[74:75], off offset:48
	s_waitcnt vmcnt(3)
	v_fmac_f64_e32 v[18:19], v[38:39], v[58:59]
	v_fmac_f64_e32 v[10:11], v[40:41], v[58:59]
	v_fmac_f64_e32 v[16:17], v[34:35], v[58:59]
	v_fmac_f64_e32 v[12:13], v[36:37], v[58:59]
	v_fma_f64 v[18:19], -v[40:41], v[60:61], v[18:19]
	v_fmac_f64_e32 v[10:11], v[38:39], v[60:61]
	v_fma_f64 v[16:17], -v[36:37], v[60:61], v[16:17]
	v_fmac_f64_e32 v[12:13], v[34:35], v[60:61]
	s_waitcnt vmcnt(2)
	v_fmac_f64_e32 v[18:19], v[30:31], v[62:63]
	v_fmac_f64_e32 v[10:11], v[32:33], v[62:63]
	v_fmac_f64_e32 v[16:17], v[26:27], v[62:63]
	v_fmac_f64_e32 v[12:13], v[28:29], v[62:63]
	v_fma_f64 v[18:19], -v[32:33], v[64:65], v[18:19]
	v_fmac_f64_e32 v[10:11], v[30:31], v[64:65]
	v_fma_f64 v[16:17], -v[28:29], v[64:65], v[16:17]
	v_fmac_f64_e32 v[12:13], v[26:27], v[64:65]
	;; [unrolled: 9-line block ×4, first 2 shown]
	s_andn2_b64 exec, exec, s[14:15]
	s_cbranch_execnz .LBB238_11
; %bb.12:
	s_or_b64 exec, exec, s[14:15]
.LBB238_13:
	s_or_b64 exec, exec, s[12:13]
	s_andn2_b64 vcc, exec, s[4:5]
	s_cbranch_vccz .LBB238_15
	s_branch .LBB238_20
.LBB238_14:
                                        ; implicit-def: $vgpr10_vgpr11
                                        ; implicit-def: $vgpr18_vgpr19
                                        ; implicit-def: $vgpr16_vgpr17
                                        ; implicit-def: $vgpr12_vgpr13
.LBB238_15:
	v_mov_b64_e32 v[10:11], 0
	v_mov_b64_e32 v[18:19], v[10:11]
	;; [unrolled: 1-line block ×4, first 2 shown]
	s_and_saveexec_b64 s[4:5], s[0:1]
	s_cbranch_execz .LBB238_19
; %bb.16:
	v_mov_b64_e32 v[10:11], 0
	v_lshlrev_b32_e32 v20, 3, v14
	s_mov_b64 s[0:1], 0
	v_mov_b32_e32 v21, 0
	v_mov_b64_e32 v[18:19], v[10:11]
	v_mov_b64_e32 v[16:17], v[10:11]
	;; [unrolled: 1-line block ×3, first 2 shown]
.LBB238_17:                             ; =>This Inner Loop Header: Depth=1
	v_ashrrev_i32_e32 v15, 31, v14
	v_lshl_add_u64 v[22:23], v[14:15], 2, s[6:7]
	global_load_dword v15, v[22:23], off
	v_lshl_add_u64 v[22:23], v[20:21], 4, s[8:9]
	global_load_dwordx4 v[26:29], v[22:23], off offset:48
	global_load_dwordx4 v[30:33], v[22:23], off offset:32
	;; [unrolled: 1-line block ×3, first 2 shown]
	global_load_dwordx4 v[38:41], v[22:23], off
	global_load_dwordx4 v[42:45], v[22:23], off offset:112
	global_load_dwordx4 v[46:49], v[22:23], off offset:96
	;; [unrolled: 1-line block ×4, first 2 shown]
	v_mov_b32_e32 v59, v21
	v_add_u32_e32 v14, 4, v14
	v_cmp_ge_i32_e32 vcc, v14, v24
	v_add_u32_e32 v20, 32, v20
	s_or_b64 s[0:1], vcc, s[0:1]
	s_waitcnt vmcnt(8)
	v_subrev_u32_e32 v15, s16, v15
	v_lshlrev_b32_e32 v58, 2, v15
	v_lshl_add_u64 v[22:23], v[58:59], 4, s[10:11]
	global_load_dwordx4 v[58:61], v[22:23], off
	global_load_dwordx4 v[62:65], v[22:23], off offset:16
	global_load_dwordx4 v[66:69], v[22:23], off offset:32
	global_load_dwordx4 v[70:73], v[22:23], off offset:48
	s_waitcnt vmcnt(3)
	v_fmac_f64_e32 v[18:19], v[38:39], v[58:59]
	v_fmac_f64_e32 v[10:11], v[40:41], v[58:59]
	v_fmac_f64_e32 v[16:17], v[54:55], v[58:59]
	v_fmac_f64_e32 v[12:13], v[56:57], v[58:59]
	v_fma_f64 v[18:19], -v[40:41], v[60:61], v[18:19]
	v_fmac_f64_e32 v[10:11], v[38:39], v[60:61]
	v_fma_f64 v[16:17], -v[56:57], v[60:61], v[16:17]
	v_fmac_f64_e32 v[12:13], v[54:55], v[60:61]
	s_waitcnt vmcnt(2)
	v_fmac_f64_e32 v[18:19], v[34:35], v[62:63]
	v_fmac_f64_e32 v[10:11], v[36:37], v[62:63]
	v_fmac_f64_e32 v[16:17], v[50:51], v[62:63]
	v_fmac_f64_e32 v[12:13], v[52:53], v[62:63]
	v_fma_f64 v[18:19], -v[36:37], v[64:65], v[18:19]
	v_fmac_f64_e32 v[10:11], v[34:35], v[64:65]
	v_fma_f64 v[16:17], -v[52:53], v[64:65], v[16:17]
	v_fmac_f64_e32 v[12:13], v[50:51], v[64:65]
	;; [unrolled: 9-line block ×4, first 2 shown]
	s_andn2_b64 exec, exec, s[0:1]
	s_cbranch_execnz .LBB238_17
; %bb.18:
	s_or_b64 exec, exec, s[0:1]
.LBB238_19:
	s_or_b64 exec, exec, s[4:5]
.LBB238_20:
	v_mov_b32_dpp v22, v16 row_shr:1 row_mask:0xf bank_mask:0xf
	v_mov_b32_dpp v23, v17 row_shr:1 row_mask:0xf bank_mask:0xf
	v_mov_b32_dpp v14, v18 row_shr:1 row_mask:0xf bank_mask:0xf
	v_mov_b32_dpp v15, v19 row_shr:1 row_mask:0xf bank_mask:0xf
	v_mov_b32_dpp v20, v10 row_shr:1 row_mask:0xf bank_mask:0xf
	v_mov_b32_dpp v21, v11 row_shr:1 row_mask:0xf bank_mask:0xf
	v_add_f64 v[22:23], v[16:17], v[22:23]
	v_mov_b32_dpp v16, v12 row_shr:1 row_mask:0xf bank_mask:0xf
	v_mov_b32_dpp v17, v13 row_shr:1 row_mask:0xf bank_mask:0xf
	v_add_f64 v[14:15], v[18:19], v[14:15]
	v_add_f64 v[10:11], v[10:11], v[20:21]
	;; [unrolled: 1-line block ×3, first 2 shown]
	v_mov_b32_dpp v18, v14 row_shr:2 row_mask:0xf bank_mask:0xf
	v_mov_b32_dpp v19, v15 row_shr:2 row_mask:0xf bank_mask:0xf
	v_mov_b32_dpp v20, v10 row_shr:2 row_mask:0xf bank_mask:0xf
	v_mov_b32_dpp v21, v11 row_shr:2 row_mask:0xf bank_mask:0xf
	v_mov_b32_dpp v24, v22 row_shr:2 row_mask:0xf bank_mask:0xf
	v_mov_b32_dpp v25, v23 row_shr:2 row_mask:0xf bank_mask:0xf
	v_mov_b32_dpp v26, v12 row_shr:2 row_mask:0xf bank_mask:0xf
	v_mov_b32_dpp v27, v13 row_shr:2 row_mask:0xf bank_mask:0xf
	v_cmp_eq_u32_e32 vcc, 3, v9
	s_and_b64 exec, exec, vcc
	s_cbranch_execz .LBB238_25
; %bb.21:
	s_load_dwordx2 s[2:3], s[2:3], 0x48
	v_cmp_eq_f64_e32 vcc, 0, v[4:5]
	v_cmp_eq_f64_e64 s[0:1], 0, v[6:7]
	v_add_f64 v[14:15], v[14:15], v[18:19]
	v_add_f64 v[16:17], v[10:11], v[20:21]
	;; [unrolled: 1-line block ×4, first 2 shown]
	s_and_b64 s[0:1], vcc, s[0:1]
	s_and_saveexec_b64 s[4:5], s[0:1]
	s_xor_b64 s[0:1], exec, s[4:5]
	s_cbranch_execz .LBB238_23
; %bb.22:
	v_lshlrev_b32_e32 v8, 1, v8
	v_mul_f64 v[4:5], v[16:17], -v[2:3]
	v_mul_f64 v[6:7], v[0:1], v[16:17]
	v_ashrrev_i32_e32 v9, 31, v8
	v_fmac_f64_e32 v[4:5], v[0:1], v[14:15]
	v_fmac_f64_e32 v[6:7], v[2:3], v[14:15]
	s_waitcnt lgkmcnt(0)
	v_lshl_add_u64 v[8:9], v[8:9], 4, s[2:3]
	global_store_dwordx4 v[8:9], v[4:7], off
                                        ; implicit-def: $vgpr14_vgpr15
                                        ; implicit-def: $vgpr16_vgpr17
	s_nop 1
	v_mul_f64 v[4:5], v[12:13], -v[2:3]
	v_mul_f64 v[6:7], v[0:1], v[12:13]
	v_fmac_f64_e32 v[4:5], v[0:1], v[10:11]
	v_fmac_f64_e32 v[6:7], v[2:3], v[10:11]
	global_store_dwordx4 v[8:9], v[4:7], off offset:16
                                        ; implicit-def: $vgpr0_vgpr1
                                        ; implicit-def: $vgpr2_vgpr3
                                        ; implicit-def: $vgpr4_vgpr5
                                        ; implicit-def: $vgpr6_vgpr7
                                        ; implicit-def: $vgpr8
                                        ; implicit-def: $vgpr10_vgpr11
                                        ; implicit-def: $vgpr12_vgpr13
.LBB238_23:
	s_andn2_saveexec_b64 s[0:1], s[0:1]
	s_cbranch_execz .LBB238_25
; %bb.24:
	v_lshlrev_b32_e32 v8, 1, v8
	v_ashrrev_i32_e32 v9, 31, v8
	s_waitcnt lgkmcnt(0)
	v_lshl_add_u64 v[26:27], v[8:9], 4, s[2:3]
	global_load_dwordx4 v[18:21], v[26:27], off
	global_load_dwordx4 v[22:25], v[26:27], off offset:16
	v_mul_f64 v[28:29], v[16:17], -v[2:3]
	v_mul_f64 v[16:17], v[0:1], v[16:17]
	v_mul_f64 v[30:31], v[12:13], -v[2:3]
	v_mul_f64 v[8:9], v[0:1], v[12:13]
	v_fmac_f64_e32 v[28:29], v[0:1], v[14:15]
	v_fmac_f64_e32 v[16:17], v[2:3], v[14:15]
	;; [unrolled: 1-line block ×4, first 2 shown]
	s_waitcnt vmcnt(1)
	v_fmac_f64_e32 v[28:29], v[4:5], v[18:19]
	v_fmac_f64_e32 v[16:17], v[6:7], v[18:19]
	s_waitcnt vmcnt(0)
	v_fmac_f64_e32 v[30:31], v[4:5], v[22:23]
	v_fmac_f64_e32 v[8:9], v[6:7], v[22:23]
	v_fma_f64 v[14:15], -v[6:7], v[20:21], v[28:29]
	v_fmac_f64_e32 v[16:17], v[4:5], v[20:21]
	v_fma_f64 v[6:7], -v[6:7], v[24:25], v[30:31]
	v_fmac_f64_e32 v[8:9], v[4:5], v[24:25]
	global_store_dwordx4 v[26:27], v[14:17], off
	global_store_dwordx4 v[26:27], v[6:9], off offset:16
.LBB238_25:
	s_endpgm
	.section	.rodata,"a",@progbits
	.p2align	6, 0x0
	.amdhsa_kernel _ZN9rocsparseL19gebsrmvn_2xn_kernelILj128ELj4ELj4E21rocsparse_complex_numIdEEEvi20rocsparse_direction_NS_24const_host_device_scalarIT2_EEPKiS8_PKS5_SA_S6_PS5_21rocsparse_index_base_b
		.amdhsa_group_segment_fixed_size 2048
		.amdhsa_private_segment_fixed_size 0
		.amdhsa_kernarg_size 88
		.amdhsa_user_sgpr_count 4
		.amdhsa_user_sgpr_dispatch_ptr 1
		.amdhsa_user_sgpr_queue_ptr 0
		.amdhsa_user_sgpr_kernarg_segment_ptr 1
		.amdhsa_user_sgpr_dispatch_id 0
		.amdhsa_user_sgpr_kernarg_preload_length 0
		.amdhsa_user_sgpr_kernarg_preload_offset 0
		.amdhsa_user_sgpr_private_segment_size 0
		.amdhsa_uses_dynamic_stack 0
		.amdhsa_enable_private_segment 0
		.amdhsa_system_sgpr_workgroup_id_x 1
		.amdhsa_system_sgpr_workgroup_id_y 0
		.amdhsa_system_sgpr_workgroup_id_z 0
		.amdhsa_system_sgpr_workgroup_info 0
		.amdhsa_system_vgpr_workitem_id 2
		.amdhsa_next_free_vgpr 76
		.amdhsa_next_free_sgpr 20
		.amdhsa_accum_offset 76
		.amdhsa_reserve_vcc 1
		.amdhsa_float_round_mode_32 0
		.amdhsa_float_round_mode_16_64 0
		.amdhsa_float_denorm_mode_32 3
		.amdhsa_float_denorm_mode_16_64 3
		.amdhsa_dx10_clamp 1
		.amdhsa_ieee_mode 1
		.amdhsa_fp16_overflow 0
		.amdhsa_tg_split 0
		.amdhsa_exception_fp_ieee_invalid_op 0
		.amdhsa_exception_fp_denorm_src 0
		.amdhsa_exception_fp_ieee_div_zero 0
		.amdhsa_exception_fp_ieee_overflow 0
		.amdhsa_exception_fp_ieee_underflow 0
		.amdhsa_exception_fp_ieee_inexact 0
		.amdhsa_exception_int_div_zero 0
	.end_amdhsa_kernel
	.section	.text._ZN9rocsparseL19gebsrmvn_2xn_kernelILj128ELj4ELj4E21rocsparse_complex_numIdEEEvi20rocsparse_direction_NS_24const_host_device_scalarIT2_EEPKiS8_PKS5_SA_S6_PS5_21rocsparse_index_base_b,"axG",@progbits,_ZN9rocsparseL19gebsrmvn_2xn_kernelILj128ELj4ELj4E21rocsparse_complex_numIdEEEvi20rocsparse_direction_NS_24const_host_device_scalarIT2_EEPKiS8_PKS5_SA_S6_PS5_21rocsparse_index_base_b,comdat
.Lfunc_end238:
	.size	_ZN9rocsparseL19gebsrmvn_2xn_kernelILj128ELj4ELj4E21rocsparse_complex_numIdEEEvi20rocsparse_direction_NS_24const_host_device_scalarIT2_EEPKiS8_PKS5_SA_S6_PS5_21rocsparse_index_base_b, .Lfunc_end238-_ZN9rocsparseL19gebsrmvn_2xn_kernelILj128ELj4ELj4E21rocsparse_complex_numIdEEEvi20rocsparse_direction_NS_24const_host_device_scalarIT2_EEPKiS8_PKS5_SA_S6_PS5_21rocsparse_index_base_b
                                        ; -- End function
	.section	.AMDGPU.csdata,"",@progbits
; Kernel info:
; codeLenInByte = 1724
; NumSgprs: 26
; NumVgprs: 76
; NumAgprs: 0
; TotalNumVgprs: 76
; ScratchSize: 0
; MemoryBound: 1
; FloatMode: 240
; IeeeMode: 1
; LDSByteSize: 2048 bytes/workgroup (compile time only)
; SGPRBlocks: 3
; VGPRBlocks: 9
; NumSGPRsForWavesPerEU: 26
; NumVGPRsForWavesPerEU: 76
; AccumOffset: 76
; Occupancy: 6
; WaveLimiterHint : 1
; COMPUTE_PGM_RSRC2:SCRATCH_EN: 0
; COMPUTE_PGM_RSRC2:USER_SGPR: 4
; COMPUTE_PGM_RSRC2:TRAP_HANDLER: 0
; COMPUTE_PGM_RSRC2:TGID_X_EN: 1
; COMPUTE_PGM_RSRC2:TGID_Y_EN: 0
; COMPUTE_PGM_RSRC2:TGID_Z_EN: 0
; COMPUTE_PGM_RSRC2:TIDIG_COMP_CNT: 2
; COMPUTE_PGM_RSRC3_GFX90A:ACCUM_OFFSET: 18
; COMPUTE_PGM_RSRC3_GFX90A:TG_SPLIT: 0
	.section	.text._ZN9rocsparseL19gebsrmvn_2xn_kernelILj128ELj4ELj8E21rocsparse_complex_numIdEEEvi20rocsparse_direction_NS_24const_host_device_scalarIT2_EEPKiS8_PKS5_SA_S6_PS5_21rocsparse_index_base_b,"axG",@progbits,_ZN9rocsparseL19gebsrmvn_2xn_kernelILj128ELj4ELj8E21rocsparse_complex_numIdEEEvi20rocsparse_direction_NS_24const_host_device_scalarIT2_EEPKiS8_PKS5_SA_S6_PS5_21rocsparse_index_base_b,comdat
	.globl	_ZN9rocsparseL19gebsrmvn_2xn_kernelILj128ELj4ELj8E21rocsparse_complex_numIdEEEvi20rocsparse_direction_NS_24const_host_device_scalarIT2_EEPKiS8_PKS5_SA_S6_PS5_21rocsparse_index_base_b ; -- Begin function _ZN9rocsparseL19gebsrmvn_2xn_kernelILj128ELj4ELj8E21rocsparse_complex_numIdEEEvi20rocsparse_direction_NS_24const_host_device_scalarIT2_EEPKiS8_PKS5_SA_S6_PS5_21rocsparse_index_base_b
	.p2align	8
	.type	_ZN9rocsparseL19gebsrmvn_2xn_kernelILj128ELj4ELj8E21rocsparse_complex_numIdEEEvi20rocsparse_direction_NS_24const_host_device_scalarIT2_EEPKiS8_PKS5_SA_S6_PS5_21rocsparse_index_base_b,@function
_ZN9rocsparseL19gebsrmvn_2xn_kernelILj128ELj4ELj8E21rocsparse_complex_numIdEEEvi20rocsparse_direction_NS_24const_host_device_scalarIT2_EEPKiS8_PKS5_SA_S6_PS5_21rocsparse_index_base_b: ; @_ZN9rocsparseL19gebsrmvn_2xn_kernelILj128ELj4ELj8E21rocsparse_complex_numIdEEEvi20rocsparse_direction_NS_24const_host_device_scalarIT2_EEPKiS8_PKS5_SA_S6_PS5_21rocsparse_index_base_b
; %bb.0:
	s_load_dwordx2 s[16:17], s[2:3], 0x50
	s_load_dwordx4 s[12:15], s[2:3], 0x8
	s_load_dwordx4 s[8:11], s[2:3], 0x38
	s_load_dwordx2 s[18:19], s[0:1], 0x4
	s_mov_b64 s[6:7], src_shared_base
	s_waitcnt lgkmcnt(0)
	s_bitcmp1_b32 s17, 0
	s_cselect_b64 s[0:1], -1, 0
	s_and_b64 vcc, s[0:1], exec
	s_cselect_b32 s5, s7, s13
	s_lshr_b32 s6, s18, 16
	v_bfe_u32 v1, v0, 10, 10
	v_and_b32_e32 v10, 0x3ff, v0
	s_mul_i32 s6, s6, s19
	v_mul_u32_u24_e32 v1, s19, v1
	v_mad_u32_u24 v1, s6, v10, v1
	v_bfe_u32 v0, v0, 20, 10
	v_add_lshl_u32 v4, v1, v0, 3
	v_mov_b32_e32 v5, s12
	v_add_u32_e32 v6, 0x400, v4
	v_mov_b64_e32 v[0:1], s[12:13]
	v_mov_b64_e32 v[2:3], s[8:9]
	ds_write2st64_b64 v4, v[2:3], v[0:1] offset1:2
	v_cndmask_b32_e64 v0, v5, v6, s[0:1]
	v_mov_b32_e32 v1, s5
	flat_load_dwordx2 v[0:1], v[0:1]
	s_xor_b64 s[18:19], s[0:1], -1
	v_mov_b64_e32 v[2:3], s[14:15]
	s_cbranch_vccnz .LBB239_2
; %bb.1:
	v_mov_b64_e32 v[2:3], s[12:13]
	flat_load_dwordx2 v[2:3], v[2:3] offset:8
.LBB239_2:
	s_and_b64 s[12:13], s[0:1], exec
	s_cselect_b32 s5, s7, s9
	v_mov_b32_e32 v5, s8
	v_cndmask_b32_e64 v4, v5, v4, s[0:1]
	v_mov_b32_e32 v5, s5
	flat_load_dwordx2 v[4:5], v[4:5]
	s_andn2_b64 vcc, exec, s[18:19]
	v_mov_b64_e32 v[6:7], s[10:11]
	s_cbranch_vccnz .LBB239_4
; %bb.3:
	v_mov_b64_e32 v[6:7], s[8:9]
	flat_load_dwordx2 v[6:7], v[6:7] offset:8
.LBB239_4:
	s_waitcnt vmcnt(0) lgkmcnt(0)
	v_cmp_eq_f64_e32 vcc, 0, v[0:1]
	v_cmp_eq_f64_e64 s[0:1], 0, v[2:3]
	s_and_b64 s[8:9], vcc, s[0:1]
	s_mov_b64 s[0:1], -1
	s_and_saveexec_b64 s[6:7], s[8:9]
; %bb.5:
	v_cmp_neq_f64_e32 vcc, 1.0, v[4:5]
	v_cmp_neq_f64_e64 s[0:1], 0, v[6:7]
	s_or_b64 s[0:1], vcc, s[0:1]
	s_orn2_b64 s[0:1], s[0:1], exec
; %bb.6:
	s_or_b64 exec, exec, s[6:7]
	s_and_saveexec_b64 s[6:7], s[0:1]
	s_cbranch_execz .LBB239_25
; %bb.7:
	s_load_dwordx2 s[0:1], s[2:3], 0x0
	v_lshrrev_b32_e32 v8, 3, v10
	v_lshl_or_b32 v8, s4, 4, v8
	s_waitcnt lgkmcnt(0)
	v_cmp_gt_i32_e32 vcc, s0, v8
	s_and_b64 exec, exec, vcc
	s_cbranch_execz .LBB239_25
; %bb.8:
	s_load_dwordx8 s[4:11], s[2:3], 0x18
	v_ashrrev_i32_e32 v9, 31, v8
	s_cmp_lg_u32 s1, 0
	s_waitcnt lgkmcnt(0)
	v_lshl_add_u64 v[12:13], v[8:9], 2, s[4:5]
	global_load_dwordx2 v[12:13], v[12:13], off
	v_and_b32_e32 v9, 7, v10
	s_waitcnt vmcnt(0)
	v_subrev_u32_e32 v10, s16, v12
	v_subrev_u32_e32 v24, s16, v13
	v_add_u32_e32 v14, v10, v9
	v_cmp_lt_i32_e64 s[0:1], v14, v24
	s_cbranch_scc0 .LBB239_14
; %bb.9:
	v_mov_b64_e32 v[10:11], 0
	s_mov_b64 s[4:5], 0
	v_mov_b64_e32 v[18:19], v[10:11]
	v_mov_b64_e32 v[16:17], v[10:11]
	;; [unrolled: 1-line block ×3, first 2 shown]
	s_and_saveexec_b64 s[12:13], s[0:1]
	s_cbranch_execz .LBB239_13
; %bb.10:
	v_mov_b64_e32 v[10:11], 0
	v_lshlrev_b32_e32 v20, 3, v14
	s_mov_b64 s[14:15], 0
	v_mov_b32_e32 v21, 0
	v_mov_b32_e32 v22, v14
	v_mov_b64_e32 v[18:19], v[10:11]
	v_mov_b64_e32 v[16:17], v[10:11]
	;; [unrolled: 1-line block ×3, first 2 shown]
.LBB239_11:                             ; =>This Inner Loop Header: Depth=1
	v_ashrrev_i32_e32 v23, 31, v22
	v_lshl_add_u64 v[26:27], v[22:23], 2, s[6:7]
	global_load_dword v15, v[26:27], off
	v_mov_b32_e32 v61, v21
	v_lshl_add_u64 v[58:59], v[20:21], 4, s[8:9]
	global_load_dwordx4 v[26:29], v[58:59], off offset:48
	global_load_dwordx4 v[30:33], v[58:59], off offset:32
	;; [unrolled: 1-line block ×3, first 2 shown]
	global_load_dwordx4 v[38:41], v[58:59], off
	global_load_dwordx4 v[42:45], v[58:59], off offset:96
	global_load_dwordx4 v[46:49], v[58:59], off offset:80
	;; [unrolled: 1-line block ×4, first 2 shown]
	v_add_u32_e32 v22, 8, v22
	v_cmp_ge_i32_e32 vcc, v22, v24
	v_add_u32_e32 v20, 64, v20
	s_or_b64 s[14:15], vcc, s[14:15]
	s_waitcnt vmcnt(8)
	v_subrev_u32_e32 v15, s16, v15
	v_lshlrev_b32_e32 v60, 2, v15
	v_lshl_add_u64 v[74:75], v[60:61], 4, s[10:11]
	global_load_dwordx4 v[58:61], v[74:75], off
	global_load_dwordx4 v[62:65], v[74:75], off offset:16
	global_load_dwordx4 v[66:69], v[74:75], off offset:32
	;; [unrolled: 1-line block ×3, first 2 shown]
	s_waitcnt vmcnt(3)
	v_fmac_f64_e32 v[18:19], v[38:39], v[58:59]
	v_fmac_f64_e32 v[10:11], v[40:41], v[58:59]
	v_fmac_f64_e32 v[16:17], v[34:35], v[58:59]
	v_fmac_f64_e32 v[12:13], v[36:37], v[58:59]
	v_fma_f64 v[18:19], -v[40:41], v[60:61], v[18:19]
	v_fmac_f64_e32 v[10:11], v[38:39], v[60:61]
	v_fma_f64 v[16:17], -v[36:37], v[60:61], v[16:17]
	v_fmac_f64_e32 v[12:13], v[34:35], v[60:61]
	s_waitcnt vmcnt(2)
	v_fmac_f64_e32 v[18:19], v[30:31], v[62:63]
	v_fmac_f64_e32 v[10:11], v[32:33], v[62:63]
	v_fmac_f64_e32 v[16:17], v[26:27], v[62:63]
	v_fmac_f64_e32 v[12:13], v[28:29], v[62:63]
	v_fma_f64 v[18:19], -v[32:33], v[64:65], v[18:19]
	v_fmac_f64_e32 v[10:11], v[30:31], v[64:65]
	v_fma_f64 v[16:17], -v[28:29], v[64:65], v[16:17]
	v_fmac_f64_e32 v[12:13], v[26:27], v[64:65]
	s_waitcnt vmcnt(1)
	v_fmac_f64_e32 v[18:19], v[50:51], v[66:67]
	v_fmac_f64_e32 v[10:11], v[52:53], v[66:67]
	v_fmac_f64_e32 v[16:17], v[46:47], v[66:67]
	v_fmac_f64_e32 v[12:13], v[48:49], v[66:67]
	v_fma_f64 v[18:19], -v[52:53], v[68:69], v[18:19]
	v_fmac_f64_e32 v[10:11], v[50:51], v[68:69]
	v_fma_f64 v[16:17], -v[48:49], v[68:69], v[16:17]
	v_fmac_f64_e32 v[12:13], v[46:47], v[68:69]
	s_waitcnt vmcnt(0)
	v_fmac_f64_e32 v[18:19], v[42:43], v[70:71]
	v_fmac_f64_e32 v[10:11], v[44:45], v[70:71]
	v_fmac_f64_e32 v[16:17], v[54:55], v[70:71]
	v_fmac_f64_e32 v[12:13], v[56:57], v[70:71]
	v_fma_f64 v[18:19], -v[44:45], v[72:73], v[18:19]
	v_fmac_f64_e32 v[10:11], v[42:43], v[72:73]
	v_fma_f64 v[16:17], -v[56:57], v[72:73], v[16:17]
	v_fmac_f64_e32 v[12:13], v[54:55], v[72:73]
	s_andn2_b64 exec, exec, s[14:15]
	s_cbranch_execnz .LBB239_11
; %bb.12:
	s_or_b64 exec, exec, s[14:15]
.LBB239_13:
	s_or_b64 exec, exec, s[12:13]
	s_andn2_b64 vcc, exec, s[4:5]
	s_cbranch_vccz .LBB239_15
	s_branch .LBB239_20
.LBB239_14:
                                        ; implicit-def: $vgpr10_vgpr11
                                        ; implicit-def: $vgpr18_vgpr19
                                        ; implicit-def: $vgpr16_vgpr17
                                        ; implicit-def: $vgpr12_vgpr13
.LBB239_15:
	v_mov_b64_e32 v[10:11], 0
	v_mov_b64_e32 v[18:19], v[10:11]
	;; [unrolled: 1-line block ×4, first 2 shown]
	s_and_saveexec_b64 s[4:5], s[0:1]
	s_cbranch_execz .LBB239_19
; %bb.16:
	v_mov_b64_e32 v[10:11], 0
	v_lshlrev_b32_e32 v20, 3, v14
	s_mov_b64 s[0:1], 0
	v_mov_b32_e32 v21, 0
	v_mov_b64_e32 v[18:19], v[10:11]
	v_mov_b64_e32 v[16:17], v[10:11]
	v_mov_b64_e32 v[12:13], v[10:11]
.LBB239_17:                             ; =>This Inner Loop Header: Depth=1
	v_ashrrev_i32_e32 v15, 31, v14
	v_lshl_add_u64 v[22:23], v[14:15], 2, s[6:7]
	global_load_dword v15, v[22:23], off
	v_lshl_add_u64 v[22:23], v[20:21], 4, s[8:9]
	global_load_dwordx4 v[26:29], v[22:23], off offset:48
	global_load_dwordx4 v[30:33], v[22:23], off offset:32
	;; [unrolled: 1-line block ×3, first 2 shown]
	global_load_dwordx4 v[38:41], v[22:23], off
	global_load_dwordx4 v[42:45], v[22:23], off offset:112
	global_load_dwordx4 v[46:49], v[22:23], off offset:96
	;; [unrolled: 1-line block ×4, first 2 shown]
	v_mov_b32_e32 v59, v21
	v_add_u32_e32 v14, 8, v14
	v_cmp_ge_i32_e32 vcc, v14, v24
	v_add_u32_e32 v20, 64, v20
	s_or_b64 s[0:1], vcc, s[0:1]
	s_waitcnt vmcnt(8)
	v_subrev_u32_e32 v15, s16, v15
	v_lshlrev_b32_e32 v58, 2, v15
	v_lshl_add_u64 v[22:23], v[58:59], 4, s[10:11]
	global_load_dwordx4 v[58:61], v[22:23], off
	global_load_dwordx4 v[62:65], v[22:23], off offset:16
	global_load_dwordx4 v[66:69], v[22:23], off offset:32
	;; [unrolled: 1-line block ×3, first 2 shown]
	s_waitcnt vmcnt(3)
	v_fmac_f64_e32 v[18:19], v[38:39], v[58:59]
	v_fmac_f64_e32 v[10:11], v[40:41], v[58:59]
	v_fmac_f64_e32 v[16:17], v[54:55], v[58:59]
	v_fmac_f64_e32 v[12:13], v[56:57], v[58:59]
	v_fma_f64 v[18:19], -v[40:41], v[60:61], v[18:19]
	v_fmac_f64_e32 v[10:11], v[38:39], v[60:61]
	v_fma_f64 v[16:17], -v[56:57], v[60:61], v[16:17]
	v_fmac_f64_e32 v[12:13], v[54:55], v[60:61]
	s_waitcnt vmcnt(2)
	v_fmac_f64_e32 v[18:19], v[34:35], v[62:63]
	v_fmac_f64_e32 v[10:11], v[36:37], v[62:63]
	v_fmac_f64_e32 v[16:17], v[50:51], v[62:63]
	v_fmac_f64_e32 v[12:13], v[52:53], v[62:63]
	v_fma_f64 v[18:19], -v[36:37], v[64:65], v[18:19]
	v_fmac_f64_e32 v[10:11], v[34:35], v[64:65]
	v_fma_f64 v[16:17], -v[52:53], v[64:65], v[16:17]
	v_fmac_f64_e32 v[12:13], v[50:51], v[64:65]
	;; [unrolled: 9-line block ×4, first 2 shown]
	s_andn2_b64 exec, exec, s[0:1]
	s_cbranch_execnz .LBB239_17
; %bb.18:
	s_or_b64 exec, exec, s[0:1]
.LBB239_19:
	s_or_b64 exec, exec, s[4:5]
.LBB239_20:
	v_mov_b32_dpp v22, v16 row_shr:1 row_mask:0xf bank_mask:0xf
	v_mov_b32_dpp v23, v17 row_shr:1 row_mask:0xf bank_mask:0xf
	v_add_f64 v[16:17], v[16:17], v[22:23]
	v_mov_b32_dpp v14, v18 row_shr:1 row_mask:0xf bank_mask:0xf
	v_mov_b32_dpp v15, v19 row_shr:1 row_mask:0xf bank_mask:0xf
	;; [unrolled: 1-line block ×6, first 2 shown]
	v_add_f64 v[22:23], v[16:17], v[22:23]
	v_mov_b32_dpp v16, v12 row_shr:1 row_mask:0xf bank_mask:0xf
	v_mov_b32_dpp v17, v13 row_shr:1 row_mask:0xf bank_mask:0xf
	v_add_f64 v[14:15], v[18:19], v[14:15]
	v_add_f64 v[10:11], v[10:11], v[20:21]
	;; [unrolled: 1-line block ×3, first 2 shown]
	v_mov_b32_dpp v18, v14 row_shr:2 row_mask:0xf bank_mask:0xf
	v_mov_b32_dpp v19, v15 row_shr:2 row_mask:0xf bank_mask:0xf
	;; [unrolled: 1-line block ×6, first 2 shown]
	v_add_f64 v[14:15], v[14:15], v[18:19]
	v_add_f64 v[10:11], v[10:11], v[20:21]
	;; [unrolled: 1-line block ×3, first 2 shown]
	v_mov_b32_dpp v18, v14 row_shr:4 row_mask:0xf bank_mask:0xe
	v_mov_b32_dpp v19, v15 row_shr:4 row_mask:0xf bank_mask:0xe
	;; [unrolled: 1-line block ×8, first 2 shown]
	v_cmp_eq_u32_e32 vcc, 7, v9
	s_and_b64 exec, exec, vcc
	s_cbranch_execz .LBB239_25
; %bb.21:
	s_load_dwordx2 s[2:3], s[2:3], 0x48
	v_cmp_eq_f64_e32 vcc, 0, v[4:5]
	v_cmp_eq_f64_e64 s[0:1], 0, v[6:7]
	v_add_f64 v[14:15], v[14:15], v[18:19]
	v_add_f64 v[16:17], v[10:11], v[20:21]
	;; [unrolled: 1-line block ×4, first 2 shown]
	s_and_b64 s[0:1], vcc, s[0:1]
	s_and_saveexec_b64 s[4:5], s[0:1]
	s_xor_b64 s[0:1], exec, s[4:5]
	s_cbranch_execz .LBB239_23
; %bb.22:
	v_lshlrev_b32_e32 v8, 1, v8
	v_mul_f64 v[4:5], v[16:17], -v[2:3]
	v_mul_f64 v[6:7], v[0:1], v[16:17]
	v_ashrrev_i32_e32 v9, 31, v8
	v_fmac_f64_e32 v[4:5], v[0:1], v[14:15]
	v_fmac_f64_e32 v[6:7], v[2:3], v[14:15]
	s_waitcnt lgkmcnt(0)
	v_lshl_add_u64 v[8:9], v[8:9], 4, s[2:3]
	global_store_dwordx4 v[8:9], v[4:7], off
                                        ; implicit-def: $vgpr14_vgpr15
                                        ; implicit-def: $vgpr16_vgpr17
	s_nop 1
	v_mul_f64 v[4:5], v[12:13], -v[2:3]
	v_mul_f64 v[6:7], v[0:1], v[12:13]
	v_fmac_f64_e32 v[4:5], v[0:1], v[10:11]
	v_fmac_f64_e32 v[6:7], v[2:3], v[10:11]
	global_store_dwordx4 v[8:9], v[4:7], off offset:16
                                        ; implicit-def: $vgpr0_vgpr1
                                        ; implicit-def: $vgpr2_vgpr3
                                        ; implicit-def: $vgpr4_vgpr5
                                        ; implicit-def: $vgpr6_vgpr7
                                        ; implicit-def: $vgpr8
                                        ; implicit-def: $vgpr10_vgpr11
                                        ; implicit-def: $vgpr12_vgpr13
.LBB239_23:
	s_andn2_saveexec_b64 s[0:1], s[0:1]
	s_cbranch_execz .LBB239_25
; %bb.24:
	v_lshlrev_b32_e32 v8, 1, v8
	v_ashrrev_i32_e32 v9, 31, v8
	s_waitcnt lgkmcnt(0)
	v_lshl_add_u64 v[26:27], v[8:9], 4, s[2:3]
	global_load_dwordx4 v[18:21], v[26:27], off
	global_load_dwordx4 v[22:25], v[26:27], off offset:16
	v_mul_f64 v[28:29], v[16:17], -v[2:3]
	v_mul_f64 v[16:17], v[0:1], v[16:17]
	v_mul_f64 v[30:31], v[12:13], -v[2:3]
	v_mul_f64 v[8:9], v[0:1], v[12:13]
	v_fmac_f64_e32 v[28:29], v[0:1], v[14:15]
	v_fmac_f64_e32 v[16:17], v[2:3], v[14:15]
	;; [unrolled: 1-line block ×4, first 2 shown]
	s_waitcnt vmcnt(1)
	v_fmac_f64_e32 v[28:29], v[4:5], v[18:19]
	v_fmac_f64_e32 v[16:17], v[6:7], v[18:19]
	s_waitcnt vmcnt(0)
	v_fmac_f64_e32 v[30:31], v[4:5], v[22:23]
	v_fmac_f64_e32 v[8:9], v[6:7], v[22:23]
	v_fma_f64 v[14:15], -v[6:7], v[20:21], v[28:29]
	v_fmac_f64_e32 v[16:17], v[4:5], v[20:21]
	v_fma_f64 v[6:7], -v[6:7], v[24:25], v[30:31]
	v_fmac_f64_e32 v[8:9], v[4:5], v[24:25]
	global_store_dwordx4 v[26:27], v[14:17], off
	global_store_dwordx4 v[26:27], v[6:9], off offset:16
.LBB239_25:
	s_endpgm
	.section	.rodata,"a",@progbits
	.p2align	6, 0x0
	.amdhsa_kernel _ZN9rocsparseL19gebsrmvn_2xn_kernelILj128ELj4ELj8E21rocsparse_complex_numIdEEEvi20rocsparse_direction_NS_24const_host_device_scalarIT2_EEPKiS8_PKS5_SA_S6_PS5_21rocsparse_index_base_b
		.amdhsa_group_segment_fixed_size 2048
		.amdhsa_private_segment_fixed_size 0
		.amdhsa_kernarg_size 88
		.amdhsa_user_sgpr_count 4
		.amdhsa_user_sgpr_dispatch_ptr 1
		.amdhsa_user_sgpr_queue_ptr 0
		.amdhsa_user_sgpr_kernarg_segment_ptr 1
		.amdhsa_user_sgpr_dispatch_id 0
		.amdhsa_user_sgpr_kernarg_preload_length 0
		.amdhsa_user_sgpr_kernarg_preload_offset 0
		.amdhsa_user_sgpr_private_segment_size 0
		.amdhsa_uses_dynamic_stack 0
		.amdhsa_enable_private_segment 0
		.amdhsa_system_sgpr_workgroup_id_x 1
		.amdhsa_system_sgpr_workgroup_id_y 0
		.amdhsa_system_sgpr_workgroup_id_z 0
		.amdhsa_system_sgpr_workgroup_info 0
		.amdhsa_system_vgpr_workitem_id 2
		.amdhsa_next_free_vgpr 76
		.amdhsa_next_free_sgpr 20
		.amdhsa_accum_offset 76
		.amdhsa_reserve_vcc 1
		.amdhsa_float_round_mode_32 0
		.amdhsa_float_round_mode_16_64 0
		.amdhsa_float_denorm_mode_32 3
		.amdhsa_float_denorm_mode_16_64 3
		.amdhsa_dx10_clamp 1
		.amdhsa_ieee_mode 1
		.amdhsa_fp16_overflow 0
		.amdhsa_tg_split 0
		.amdhsa_exception_fp_ieee_invalid_op 0
		.amdhsa_exception_fp_denorm_src 0
		.amdhsa_exception_fp_ieee_div_zero 0
		.amdhsa_exception_fp_ieee_overflow 0
		.amdhsa_exception_fp_ieee_underflow 0
		.amdhsa_exception_fp_ieee_inexact 0
		.amdhsa_exception_int_div_zero 0
	.end_amdhsa_kernel
	.section	.text._ZN9rocsparseL19gebsrmvn_2xn_kernelILj128ELj4ELj8E21rocsparse_complex_numIdEEEvi20rocsparse_direction_NS_24const_host_device_scalarIT2_EEPKiS8_PKS5_SA_S6_PS5_21rocsparse_index_base_b,"axG",@progbits,_ZN9rocsparseL19gebsrmvn_2xn_kernelILj128ELj4ELj8E21rocsparse_complex_numIdEEEvi20rocsparse_direction_NS_24const_host_device_scalarIT2_EEPKiS8_PKS5_SA_S6_PS5_21rocsparse_index_base_b,comdat
.Lfunc_end239:
	.size	_ZN9rocsparseL19gebsrmvn_2xn_kernelILj128ELj4ELj8E21rocsparse_complex_numIdEEEvi20rocsparse_direction_NS_24const_host_device_scalarIT2_EEPKiS8_PKS5_SA_S6_PS5_21rocsparse_index_base_b, .Lfunc_end239-_ZN9rocsparseL19gebsrmvn_2xn_kernelILj128ELj4ELj8E21rocsparse_complex_numIdEEEvi20rocsparse_direction_NS_24const_host_device_scalarIT2_EEPKiS8_PKS5_SA_S6_PS5_21rocsparse_index_base_b
                                        ; -- End function
	.section	.AMDGPU.csdata,"",@progbits
; Kernel info:
; codeLenInByte = 1820
; NumSgprs: 26
; NumVgprs: 76
; NumAgprs: 0
; TotalNumVgprs: 76
; ScratchSize: 0
; MemoryBound: 1
; FloatMode: 240
; IeeeMode: 1
; LDSByteSize: 2048 bytes/workgroup (compile time only)
; SGPRBlocks: 3
; VGPRBlocks: 9
; NumSGPRsForWavesPerEU: 26
; NumVGPRsForWavesPerEU: 76
; AccumOffset: 76
; Occupancy: 6
; WaveLimiterHint : 1
; COMPUTE_PGM_RSRC2:SCRATCH_EN: 0
; COMPUTE_PGM_RSRC2:USER_SGPR: 4
; COMPUTE_PGM_RSRC2:TRAP_HANDLER: 0
; COMPUTE_PGM_RSRC2:TGID_X_EN: 1
; COMPUTE_PGM_RSRC2:TGID_Y_EN: 0
; COMPUTE_PGM_RSRC2:TGID_Z_EN: 0
; COMPUTE_PGM_RSRC2:TIDIG_COMP_CNT: 2
; COMPUTE_PGM_RSRC3_GFX90A:ACCUM_OFFSET: 18
; COMPUTE_PGM_RSRC3_GFX90A:TG_SPLIT: 0
	.section	.text._ZN9rocsparseL19gebsrmvn_2xn_kernelILj128ELj4ELj16E21rocsparse_complex_numIdEEEvi20rocsparse_direction_NS_24const_host_device_scalarIT2_EEPKiS8_PKS5_SA_S6_PS5_21rocsparse_index_base_b,"axG",@progbits,_ZN9rocsparseL19gebsrmvn_2xn_kernelILj128ELj4ELj16E21rocsparse_complex_numIdEEEvi20rocsparse_direction_NS_24const_host_device_scalarIT2_EEPKiS8_PKS5_SA_S6_PS5_21rocsparse_index_base_b,comdat
	.globl	_ZN9rocsparseL19gebsrmvn_2xn_kernelILj128ELj4ELj16E21rocsparse_complex_numIdEEEvi20rocsparse_direction_NS_24const_host_device_scalarIT2_EEPKiS8_PKS5_SA_S6_PS5_21rocsparse_index_base_b ; -- Begin function _ZN9rocsparseL19gebsrmvn_2xn_kernelILj128ELj4ELj16E21rocsparse_complex_numIdEEEvi20rocsparse_direction_NS_24const_host_device_scalarIT2_EEPKiS8_PKS5_SA_S6_PS5_21rocsparse_index_base_b
	.p2align	8
	.type	_ZN9rocsparseL19gebsrmvn_2xn_kernelILj128ELj4ELj16E21rocsparse_complex_numIdEEEvi20rocsparse_direction_NS_24const_host_device_scalarIT2_EEPKiS8_PKS5_SA_S6_PS5_21rocsparse_index_base_b,@function
_ZN9rocsparseL19gebsrmvn_2xn_kernelILj128ELj4ELj16E21rocsparse_complex_numIdEEEvi20rocsparse_direction_NS_24const_host_device_scalarIT2_EEPKiS8_PKS5_SA_S6_PS5_21rocsparse_index_base_b: ; @_ZN9rocsparseL19gebsrmvn_2xn_kernelILj128ELj4ELj16E21rocsparse_complex_numIdEEEvi20rocsparse_direction_NS_24const_host_device_scalarIT2_EEPKiS8_PKS5_SA_S6_PS5_21rocsparse_index_base_b
; %bb.0:
	s_load_dwordx2 s[16:17], s[2:3], 0x50
	s_load_dwordx4 s[12:15], s[2:3], 0x8
	s_load_dwordx4 s[8:11], s[2:3], 0x38
	s_load_dwordx2 s[18:19], s[0:1], 0x4
	s_mov_b64 s[6:7], src_shared_base
	s_waitcnt lgkmcnt(0)
	s_bitcmp1_b32 s17, 0
	s_cselect_b64 s[0:1], -1, 0
	s_and_b64 vcc, s[0:1], exec
	s_cselect_b32 s5, s7, s13
	s_lshr_b32 s6, s18, 16
	v_bfe_u32 v1, v0, 10, 10
	v_and_b32_e32 v10, 0x3ff, v0
	s_mul_i32 s6, s6, s19
	v_mul_u32_u24_e32 v1, s19, v1
	v_mad_u32_u24 v1, s6, v10, v1
	v_bfe_u32 v0, v0, 20, 10
	v_add_lshl_u32 v4, v1, v0, 3
	v_mov_b32_e32 v5, s12
	v_add_u32_e32 v6, 0x400, v4
	v_mov_b64_e32 v[0:1], s[12:13]
	v_mov_b64_e32 v[2:3], s[8:9]
	ds_write2st64_b64 v4, v[2:3], v[0:1] offset1:2
	v_cndmask_b32_e64 v0, v5, v6, s[0:1]
	v_mov_b32_e32 v1, s5
	flat_load_dwordx2 v[0:1], v[0:1]
	s_xor_b64 s[18:19], s[0:1], -1
	v_mov_b64_e32 v[2:3], s[14:15]
	s_cbranch_vccnz .LBB240_2
; %bb.1:
	v_mov_b64_e32 v[2:3], s[12:13]
	flat_load_dwordx2 v[2:3], v[2:3] offset:8
.LBB240_2:
	s_and_b64 s[12:13], s[0:1], exec
	s_cselect_b32 s5, s7, s9
	v_mov_b32_e32 v5, s8
	v_cndmask_b32_e64 v4, v5, v4, s[0:1]
	v_mov_b32_e32 v5, s5
	flat_load_dwordx2 v[4:5], v[4:5]
	s_andn2_b64 vcc, exec, s[18:19]
	v_mov_b64_e32 v[6:7], s[10:11]
	s_cbranch_vccnz .LBB240_4
; %bb.3:
	v_mov_b64_e32 v[6:7], s[8:9]
	flat_load_dwordx2 v[6:7], v[6:7] offset:8
.LBB240_4:
	s_waitcnt vmcnt(0) lgkmcnt(0)
	v_cmp_eq_f64_e32 vcc, 0, v[0:1]
	v_cmp_eq_f64_e64 s[0:1], 0, v[2:3]
	s_and_b64 s[8:9], vcc, s[0:1]
	s_mov_b64 s[0:1], -1
	s_and_saveexec_b64 s[6:7], s[8:9]
; %bb.5:
	v_cmp_neq_f64_e32 vcc, 1.0, v[4:5]
	v_cmp_neq_f64_e64 s[0:1], 0, v[6:7]
	s_or_b64 s[0:1], vcc, s[0:1]
	s_orn2_b64 s[0:1], s[0:1], exec
; %bb.6:
	s_or_b64 exec, exec, s[6:7]
	s_and_saveexec_b64 s[6:7], s[0:1]
	s_cbranch_execz .LBB240_25
; %bb.7:
	s_load_dwordx2 s[0:1], s[2:3], 0x0
	v_lshrrev_b32_e32 v8, 4, v10
	v_lshl_or_b32 v8, s4, 3, v8
	s_waitcnt lgkmcnt(0)
	v_cmp_gt_i32_e32 vcc, s0, v8
	s_and_b64 exec, exec, vcc
	s_cbranch_execz .LBB240_25
; %bb.8:
	s_load_dwordx8 s[4:11], s[2:3], 0x18
	v_ashrrev_i32_e32 v9, 31, v8
	s_cmp_lg_u32 s1, 0
	s_waitcnt lgkmcnt(0)
	v_lshl_add_u64 v[12:13], v[8:9], 2, s[4:5]
	global_load_dwordx2 v[12:13], v[12:13], off
	v_and_b32_e32 v9, 15, v10
	s_waitcnt vmcnt(0)
	v_subrev_u32_e32 v10, s16, v12
	v_subrev_u32_e32 v24, s16, v13
	v_add_u32_e32 v14, v10, v9
	v_cmp_lt_i32_e64 s[0:1], v14, v24
	s_cbranch_scc0 .LBB240_14
; %bb.9:
	v_mov_b64_e32 v[12:13], 0
	s_mov_b64 s[4:5], 0
	v_mov_b64_e32 v[18:19], v[12:13]
	v_mov_b64_e32 v[16:17], v[12:13]
	;; [unrolled: 1-line block ×3, first 2 shown]
	s_and_saveexec_b64 s[12:13], s[0:1]
	s_cbranch_execz .LBB240_13
; %bb.10:
	v_mov_b64_e32 v[12:13], 0
	v_lshlrev_b32_e32 v20, 3, v14
	s_mov_b64 s[14:15], 0
	v_mov_b32_e32 v21, 0
	v_mov_b32_e32 v22, v14
	v_mov_b64_e32 v[18:19], v[12:13]
	v_mov_b64_e32 v[16:17], v[12:13]
	;; [unrolled: 1-line block ×3, first 2 shown]
.LBB240_11:                             ; =>This Inner Loop Header: Depth=1
	v_ashrrev_i32_e32 v23, 31, v22
	v_lshl_add_u64 v[26:27], v[22:23], 2, s[6:7]
	global_load_dword v15, v[26:27], off
	v_mov_b32_e32 v61, v21
	v_lshl_add_u64 v[58:59], v[20:21], 4, s[8:9]
	global_load_dwordx4 v[26:29], v[58:59], off offset:48
	global_load_dwordx4 v[30:33], v[58:59], off offset:32
	;; [unrolled: 1-line block ×3, first 2 shown]
	global_load_dwordx4 v[38:41], v[58:59], off
	global_load_dwordx4 v[42:45], v[58:59], off offset:96
	global_load_dwordx4 v[46:49], v[58:59], off offset:80
	global_load_dwordx4 v[50:53], v[58:59], off offset:64
	global_load_dwordx4 v[54:57], v[58:59], off offset:112
	v_add_u32_e32 v22, 16, v22
	v_cmp_ge_i32_e32 vcc, v22, v24
	v_add_u32_e32 v20, 0x80, v20
	s_or_b64 s[14:15], vcc, s[14:15]
	s_waitcnt vmcnt(8)
	v_subrev_u32_e32 v15, s16, v15
	v_lshlrev_b32_e32 v60, 2, v15
	v_lshl_add_u64 v[74:75], v[60:61], 4, s[10:11]
	global_load_dwordx4 v[58:61], v[74:75], off
	global_load_dwordx4 v[62:65], v[74:75], off offset:16
	global_load_dwordx4 v[66:69], v[74:75], off offset:32
	;; [unrolled: 1-line block ×3, first 2 shown]
	s_waitcnt vmcnt(3)
	v_fmac_f64_e32 v[18:19], v[38:39], v[58:59]
	v_fmac_f64_e32 v[12:13], v[40:41], v[58:59]
	v_fmac_f64_e32 v[16:17], v[34:35], v[58:59]
	v_fmac_f64_e32 v[10:11], v[36:37], v[58:59]
	v_fma_f64 v[18:19], -v[40:41], v[60:61], v[18:19]
	v_fmac_f64_e32 v[12:13], v[38:39], v[60:61]
	v_fma_f64 v[16:17], -v[36:37], v[60:61], v[16:17]
	v_fmac_f64_e32 v[10:11], v[34:35], v[60:61]
	s_waitcnt vmcnt(2)
	v_fmac_f64_e32 v[18:19], v[30:31], v[62:63]
	v_fmac_f64_e32 v[12:13], v[32:33], v[62:63]
	v_fmac_f64_e32 v[16:17], v[26:27], v[62:63]
	v_fmac_f64_e32 v[10:11], v[28:29], v[62:63]
	v_fma_f64 v[18:19], -v[32:33], v[64:65], v[18:19]
	v_fmac_f64_e32 v[12:13], v[30:31], v[64:65]
	v_fma_f64 v[16:17], -v[28:29], v[64:65], v[16:17]
	v_fmac_f64_e32 v[10:11], v[26:27], v[64:65]
	;; [unrolled: 9-line block ×4, first 2 shown]
	s_andn2_b64 exec, exec, s[14:15]
	s_cbranch_execnz .LBB240_11
; %bb.12:
	s_or_b64 exec, exec, s[14:15]
.LBB240_13:
	s_or_b64 exec, exec, s[12:13]
	s_andn2_b64 vcc, exec, s[4:5]
	s_cbranch_vccz .LBB240_15
	s_branch .LBB240_20
.LBB240_14:
                                        ; implicit-def: $vgpr12_vgpr13
                                        ; implicit-def: $vgpr18_vgpr19
                                        ; implicit-def: $vgpr16_vgpr17
                                        ; implicit-def: $vgpr10_vgpr11
.LBB240_15:
	v_mov_b64_e32 v[12:13], 0
	v_mov_b64_e32 v[18:19], v[12:13]
	;; [unrolled: 1-line block ×4, first 2 shown]
	s_and_saveexec_b64 s[4:5], s[0:1]
	s_cbranch_execz .LBB240_19
; %bb.16:
	v_mov_b64_e32 v[12:13], 0
	v_lshlrev_b32_e32 v20, 3, v14
	s_mov_b64 s[0:1], 0
	v_mov_b32_e32 v21, 0
	v_mov_b64_e32 v[18:19], v[12:13]
	v_mov_b64_e32 v[16:17], v[12:13]
	v_mov_b64_e32 v[10:11], v[12:13]
.LBB240_17:                             ; =>This Inner Loop Header: Depth=1
	v_ashrrev_i32_e32 v15, 31, v14
	v_lshl_add_u64 v[22:23], v[14:15], 2, s[6:7]
	global_load_dword v15, v[22:23], off
	v_lshl_add_u64 v[22:23], v[20:21], 4, s[8:9]
	global_load_dwordx4 v[26:29], v[22:23], off offset:48
	global_load_dwordx4 v[30:33], v[22:23], off offset:32
	;; [unrolled: 1-line block ×3, first 2 shown]
	global_load_dwordx4 v[38:41], v[22:23], off
	global_load_dwordx4 v[42:45], v[22:23], off offset:112
	global_load_dwordx4 v[46:49], v[22:23], off offset:96
	;; [unrolled: 1-line block ×4, first 2 shown]
	v_mov_b32_e32 v59, v21
	v_add_u32_e32 v14, 16, v14
	v_cmp_ge_i32_e32 vcc, v14, v24
	v_add_u32_e32 v20, 0x80, v20
	s_or_b64 s[0:1], vcc, s[0:1]
	s_waitcnt vmcnt(8)
	v_subrev_u32_e32 v15, s16, v15
	v_lshlrev_b32_e32 v58, 2, v15
	v_lshl_add_u64 v[22:23], v[58:59], 4, s[10:11]
	global_load_dwordx4 v[58:61], v[22:23], off
	global_load_dwordx4 v[62:65], v[22:23], off offset:16
	global_load_dwordx4 v[66:69], v[22:23], off offset:32
	;; [unrolled: 1-line block ×3, first 2 shown]
	s_waitcnt vmcnt(3)
	v_fmac_f64_e32 v[18:19], v[38:39], v[58:59]
	v_fmac_f64_e32 v[12:13], v[40:41], v[58:59]
	v_fmac_f64_e32 v[16:17], v[54:55], v[58:59]
	v_fmac_f64_e32 v[10:11], v[56:57], v[58:59]
	v_fma_f64 v[18:19], -v[40:41], v[60:61], v[18:19]
	v_fmac_f64_e32 v[12:13], v[38:39], v[60:61]
	v_fma_f64 v[16:17], -v[56:57], v[60:61], v[16:17]
	v_fmac_f64_e32 v[10:11], v[54:55], v[60:61]
	s_waitcnt vmcnt(2)
	v_fmac_f64_e32 v[18:19], v[34:35], v[62:63]
	v_fmac_f64_e32 v[12:13], v[36:37], v[62:63]
	v_fmac_f64_e32 v[16:17], v[50:51], v[62:63]
	v_fmac_f64_e32 v[10:11], v[52:53], v[62:63]
	v_fma_f64 v[18:19], -v[36:37], v[64:65], v[18:19]
	v_fmac_f64_e32 v[12:13], v[34:35], v[64:65]
	v_fma_f64 v[16:17], -v[52:53], v[64:65], v[16:17]
	v_fmac_f64_e32 v[10:11], v[50:51], v[64:65]
	;; [unrolled: 9-line block ×4, first 2 shown]
	s_andn2_b64 exec, exec, s[0:1]
	s_cbranch_execnz .LBB240_17
; %bb.18:
	s_or_b64 exec, exec, s[0:1]
.LBB240_19:
	s_or_b64 exec, exec, s[4:5]
.LBB240_20:
	v_mov_b32_dpp v22, v16 row_shr:1 row_mask:0xf bank_mask:0xf
	v_mov_b32_dpp v23, v17 row_shr:1 row_mask:0xf bank_mask:0xf
	v_add_f64 v[16:17], v[16:17], v[22:23]
	v_mov_b32_dpp v14, v18 row_shr:1 row_mask:0xf bank_mask:0xf
	v_mov_b32_dpp v15, v19 row_shr:1 row_mask:0xf bank_mask:0xf
	v_mov_b32_dpp v22, v16 row_shr:2 row_mask:0xf bank_mask:0xf
	v_mov_b32_dpp v23, v17 row_shr:2 row_mask:0xf bank_mask:0xf
	v_add_f64 v[16:17], v[16:17], v[22:23]
	v_mov_b32_dpp v20, v12 row_shr:1 row_mask:0xf bank_mask:0xf
	v_mov_b32_dpp v21, v13 row_shr:1 row_mask:0xf bank_mask:0xf
	;; [unrolled: 5-line block ×3, first 2 shown]
	v_add_f64 v[14:15], v[18:19], v[14:15]
	v_add_f64 v[12:13], v[12:13], v[20:21]
	v_add_f64 v[10:11], v[10:11], v[16:17]
	v_mov_b32_dpp v18, v14 row_shr:2 row_mask:0xf bank_mask:0xf
	v_mov_b32_dpp v19, v15 row_shr:2 row_mask:0xf bank_mask:0xf
	v_mov_b32_dpp v20, v12 row_shr:2 row_mask:0xf bank_mask:0xf
	v_mov_b32_dpp v21, v13 row_shr:2 row_mask:0xf bank_mask:0xf
	v_mov_b32_dpp v16, v10 row_shr:2 row_mask:0xf bank_mask:0xf
	v_mov_b32_dpp v17, v11 row_shr:2 row_mask:0xf bank_mask:0xf
	v_add_f64 v[14:15], v[14:15], v[18:19]
	v_add_f64 v[12:13], v[12:13], v[20:21]
	v_add_f64 v[10:11], v[10:11], v[16:17]
	v_mov_b32_dpp v18, v14 row_shr:4 row_mask:0xf bank_mask:0xe
	v_mov_b32_dpp v19, v15 row_shr:4 row_mask:0xf bank_mask:0xe
	v_mov_b32_dpp v20, v12 row_shr:4 row_mask:0xf bank_mask:0xe
	v_mov_b32_dpp v21, v13 row_shr:4 row_mask:0xf bank_mask:0xe
	v_mov_b32_dpp v16, v10 row_shr:4 row_mask:0xf bank_mask:0xe
	v_mov_b32_dpp v17, v11 row_shr:4 row_mask:0xf bank_mask:0xe
	;; [unrolled: 9-line block ×3, first 2 shown]
	v_mov_b32_dpp v28, v26 row_shr:8 row_mask:0xf bank_mask:0xc
	v_mov_b32_dpp v29, v27 row_shr:8 row_mask:0xf bank_mask:0xc
	v_cmp_eq_u32_e32 vcc, 15, v9
	s_and_b64 exec, exec, vcc
	s_cbranch_execz .LBB240_25
; %bb.21:
	s_load_dwordx2 s[2:3], s[2:3], 0x48
	v_cmp_eq_f64_e32 vcc, 0, v[4:5]
	v_cmp_eq_f64_e64 s[0:1], 0, v[6:7]
	v_add_f64 v[14:15], v[14:15], v[18:19]
	v_add_f64 v[16:17], v[12:13], v[20:21]
	;; [unrolled: 1-line block ×4, first 2 shown]
	s_and_b64 s[0:1], vcc, s[0:1]
	s_and_saveexec_b64 s[4:5], s[0:1]
	s_xor_b64 s[0:1], exec, s[4:5]
	s_cbranch_execz .LBB240_23
; %bb.22:
	v_lshlrev_b32_e32 v8, 1, v8
	v_mul_f64 v[4:5], v[16:17], -v[2:3]
	v_mul_f64 v[6:7], v[0:1], v[16:17]
	v_ashrrev_i32_e32 v9, 31, v8
	v_fmac_f64_e32 v[4:5], v[0:1], v[14:15]
	v_fmac_f64_e32 v[6:7], v[2:3], v[14:15]
	s_waitcnt lgkmcnt(0)
	v_lshl_add_u64 v[8:9], v[8:9], 4, s[2:3]
	global_store_dwordx4 v[8:9], v[4:7], off
                                        ; implicit-def: $vgpr14_vgpr15
                                        ; implicit-def: $vgpr16_vgpr17
	s_nop 1
	v_mul_f64 v[4:5], v[12:13], -v[2:3]
	v_mul_f64 v[6:7], v[0:1], v[12:13]
	v_fmac_f64_e32 v[4:5], v[0:1], v[10:11]
	v_fmac_f64_e32 v[6:7], v[2:3], v[10:11]
	global_store_dwordx4 v[8:9], v[4:7], off offset:16
                                        ; implicit-def: $vgpr0_vgpr1
                                        ; implicit-def: $vgpr2_vgpr3
                                        ; implicit-def: $vgpr4_vgpr5
                                        ; implicit-def: $vgpr6_vgpr7
                                        ; implicit-def: $vgpr8
                                        ; implicit-def: $vgpr10_vgpr11
                                        ; implicit-def: $vgpr12_vgpr13
.LBB240_23:
	s_andn2_saveexec_b64 s[0:1], s[0:1]
	s_cbranch_execz .LBB240_25
; %bb.24:
	v_lshlrev_b32_e32 v8, 1, v8
	v_ashrrev_i32_e32 v9, 31, v8
	s_waitcnt lgkmcnt(0)
	v_lshl_add_u64 v[26:27], v[8:9], 4, s[2:3]
	global_load_dwordx4 v[18:21], v[26:27], off
	global_load_dwordx4 v[22:25], v[26:27], off offset:16
	v_mul_f64 v[28:29], v[16:17], -v[2:3]
	v_mul_f64 v[16:17], v[0:1], v[16:17]
	v_mul_f64 v[30:31], v[12:13], -v[2:3]
	v_mul_f64 v[8:9], v[0:1], v[12:13]
	v_fmac_f64_e32 v[28:29], v[0:1], v[14:15]
	v_fmac_f64_e32 v[16:17], v[2:3], v[14:15]
	v_fmac_f64_e32 v[30:31], v[0:1], v[10:11]
	v_fmac_f64_e32 v[8:9], v[2:3], v[10:11]
	s_waitcnt vmcnt(1)
	v_fmac_f64_e32 v[28:29], v[4:5], v[18:19]
	v_fmac_f64_e32 v[16:17], v[6:7], v[18:19]
	s_waitcnt vmcnt(0)
	v_fmac_f64_e32 v[30:31], v[4:5], v[22:23]
	v_fmac_f64_e32 v[8:9], v[6:7], v[22:23]
	v_fma_f64 v[14:15], -v[6:7], v[20:21], v[28:29]
	v_fmac_f64_e32 v[16:17], v[4:5], v[20:21]
	v_fma_f64 v[6:7], -v[6:7], v[24:25], v[30:31]
	v_fmac_f64_e32 v[8:9], v[4:5], v[24:25]
	global_store_dwordx4 v[26:27], v[14:17], off
	global_store_dwordx4 v[26:27], v[6:9], off offset:16
.LBB240_25:
	s_endpgm
	.section	.rodata,"a",@progbits
	.p2align	6, 0x0
	.amdhsa_kernel _ZN9rocsparseL19gebsrmvn_2xn_kernelILj128ELj4ELj16E21rocsparse_complex_numIdEEEvi20rocsparse_direction_NS_24const_host_device_scalarIT2_EEPKiS8_PKS5_SA_S6_PS5_21rocsparse_index_base_b
		.amdhsa_group_segment_fixed_size 2048
		.amdhsa_private_segment_fixed_size 0
		.amdhsa_kernarg_size 88
		.amdhsa_user_sgpr_count 4
		.amdhsa_user_sgpr_dispatch_ptr 1
		.amdhsa_user_sgpr_queue_ptr 0
		.amdhsa_user_sgpr_kernarg_segment_ptr 1
		.amdhsa_user_sgpr_dispatch_id 0
		.amdhsa_user_sgpr_kernarg_preload_length 0
		.amdhsa_user_sgpr_kernarg_preload_offset 0
		.amdhsa_user_sgpr_private_segment_size 0
		.amdhsa_uses_dynamic_stack 0
		.amdhsa_enable_private_segment 0
		.amdhsa_system_sgpr_workgroup_id_x 1
		.amdhsa_system_sgpr_workgroup_id_y 0
		.amdhsa_system_sgpr_workgroup_id_z 0
		.amdhsa_system_sgpr_workgroup_info 0
		.amdhsa_system_vgpr_workitem_id 2
		.amdhsa_next_free_vgpr 76
		.amdhsa_next_free_sgpr 20
		.amdhsa_accum_offset 76
		.amdhsa_reserve_vcc 1
		.amdhsa_float_round_mode_32 0
		.amdhsa_float_round_mode_16_64 0
		.amdhsa_float_denorm_mode_32 3
		.amdhsa_float_denorm_mode_16_64 3
		.amdhsa_dx10_clamp 1
		.amdhsa_ieee_mode 1
		.amdhsa_fp16_overflow 0
		.amdhsa_tg_split 0
		.amdhsa_exception_fp_ieee_invalid_op 0
		.amdhsa_exception_fp_denorm_src 0
		.amdhsa_exception_fp_ieee_div_zero 0
		.amdhsa_exception_fp_ieee_overflow 0
		.amdhsa_exception_fp_ieee_underflow 0
		.amdhsa_exception_fp_ieee_inexact 0
		.amdhsa_exception_int_div_zero 0
	.end_amdhsa_kernel
	.section	.text._ZN9rocsparseL19gebsrmvn_2xn_kernelILj128ELj4ELj16E21rocsparse_complex_numIdEEEvi20rocsparse_direction_NS_24const_host_device_scalarIT2_EEPKiS8_PKS5_SA_S6_PS5_21rocsparse_index_base_b,"axG",@progbits,_ZN9rocsparseL19gebsrmvn_2xn_kernelILj128ELj4ELj16E21rocsparse_complex_numIdEEEvi20rocsparse_direction_NS_24const_host_device_scalarIT2_EEPKiS8_PKS5_SA_S6_PS5_21rocsparse_index_base_b,comdat
.Lfunc_end240:
	.size	_ZN9rocsparseL19gebsrmvn_2xn_kernelILj128ELj4ELj16E21rocsparse_complex_numIdEEEvi20rocsparse_direction_NS_24const_host_device_scalarIT2_EEPKiS8_PKS5_SA_S6_PS5_21rocsparse_index_base_b, .Lfunc_end240-_ZN9rocsparseL19gebsrmvn_2xn_kernelILj128ELj4ELj16E21rocsparse_complex_numIdEEEvi20rocsparse_direction_NS_24const_host_device_scalarIT2_EEPKiS8_PKS5_SA_S6_PS5_21rocsparse_index_base_b
                                        ; -- End function
	.section	.AMDGPU.csdata,"",@progbits
; Kernel info:
; codeLenInByte = 1924
; NumSgprs: 26
; NumVgprs: 76
; NumAgprs: 0
; TotalNumVgprs: 76
; ScratchSize: 0
; MemoryBound: 1
; FloatMode: 240
; IeeeMode: 1
; LDSByteSize: 2048 bytes/workgroup (compile time only)
; SGPRBlocks: 3
; VGPRBlocks: 9
; NumSGPRsForWavesPerEU: 26
; NumVGPRsForWavesPerEU: 76
; AccumOffset: 76
; Occupancy: 6
; WaveLimiterHint : 1
; COMPUTE_PGM_RSRC2:SCRATCH_EN: 0
; COMPUTE_PGM_RSRC2:USER_SGPR: 4
; COMPUTE_PGM_RSRC2:TRAP_HANDLER: 0
; COMPUTE_PGM_RSRC2:TGID_X_EN: 1
; COMPUTE_PGM_RSRC2:TGID_Y_EN: 0
; COMPUTE_PGM_RSRC2:TGID_Z_EN: 0
; COMPUTE_PGM_RSRC2:TIDIG_COMP_CNT: 2
; COMPUTE_PGM_RSRC3_GFX90A:ACCUM_OFFSET: 18
; COMPUTE_PGM_RSRC3_GFX90A:TG_SPLIT: 0
	.section	.text._ZN9rocsparseL19gebsrmvn_2xn_kernelILj128ELj4ELj32E21rocsparse_complex_numIdEEEvi20rocsparse_direction_NS_24const_host_device_scalarIT2_EEPKiS8_PKS5_SA_S6_PS5_21rocsparse_index_base_b,"axG",@progbits,_ZN9rocsparseL19gebsrmvn_2xn_kernelILj128ELj4ELj32E21rocsparse_complex_numIdEEEvi20rocsparse_direction_NS_24const_host_device_scalarIT2_EEPKiS8_PKS5_SA_S6_PS5_21rocsparse_index_base_b,comdat
	.globl	_ZN9rocsparseL19gebsrmvn_2xn_kernelILj128ELj4ELj32E21rocsparse_complex_numIdEEEvi20rocsparse_direction_NS_24const_host_device_scalarIT2_EEPKiS8_PKS5_SA_S6_PS5_21rocsparse_index_base_b ; -- Begin function _ZN9rocsparseL19gebsrmvn_2xn_kernelILj128ELj4ELj32E21rocsparse_complex_numIdEEEvi20rocsparse_direction_NS_24const_host_device_scalarIT2_EEPKiS8_PKS5_SA_S6_PS5_21rocsparse_index_base_b
	.p2align	8
	.type	_ZN9rocsparseL19gebsrmvn_2xn_kernelILj128ELj4ELj32E21rocsparse_complex_numIdEEEvi20rocsparse_direction_NS_24const_host_device_scalarIT2_EEPKiS8_PKS5_SA_S6_PS5_21rocsparse_index_base_b,@function
_ZN9rocsparseL19gebsrmvn_2xn_kernelILj128ELj4ELj32E21rocsparse_complex_numIdEEEvi20rocsparse_direction_NS_24const_host_device_scalarIT2_EEPKiS8_PKS5_SA_S6_PS5_21rocsparse_index_base_b: ; @_ZN9rocsparseL19gebsrmvn_2xn_kernelILj128ELj4ELj32E21rocsparse_complex_numIdEEEvi20rocsparse_direction_NS_24const_host_device_scalarIT2_EEPKiS8_PKS5_SA_S6_PS5_21rocsparse_index_base_b
; %bb.0:
	s_load_dwordx2 s[16:17], s[2:3], 0x50
	s_load_dwordx4 s[12:15], s[2:3], 0x8
	s_load_dwordx4 s[8:11], s[2:3], 0x38
	s_load_dwordx2 s[18:19], s[0:1], 0x4
	s_mov_b64 s[6:7], src_shared_base
	s_waitcnt lgkmcnt(0)
	s_bitcmp1_b32 s17, 0
	s_cselect_b64 s[0:1], -1, 0
	s_and_b64 vcc, s[0:1], exec
	s_cselect_b32 s5, s7, s13
	s_lshr_b32 s6, s18, 16
	v_bfe_u32 v1, v0, 10, 10
	v_and_b32_e32 v10, 0x3ff, v0
	s_mul_i32 s6, s6, s19
	v_mul_u32_u24_e32 v1, s19, v1
	v_mad_u32_u24 v1, s6, v10, v1
	v_bfe_u32 v0, v0, 20, 10
	v_add_lshl_u32 v4, v1, v0, 3
	v_mov_b32_e32 v5, s12
	v_add_u32_e32 v6, 0x400, v4
	v_mov_b64_e32 v[0:1], s[12:13]
	v_mov_b64_e32 v[2:3], s[8:9]
	ds_write2st64_b64 v4, v[2:3], v[0:1] offset1:2
	v_cndmask_b32_e64 v0, v5, v6, s[0:1]
	v_mov_b32_e32 v1, s5
	flat_load_dwordx2 v[0:1], v[0:1]
	s_xor_b64 s[18:19], s[0:1], -1
	v_mov_b64_e32 v[2:3], s[14:15]
	s_cbranch_vccnz .LBB241_2
; %bb.1:
	v_mov_b64_e32 v[2:3], s[12:13]
	flat_load_dwordx2 v[2:3], v[2:3] offset:8
.LBB241_2:
	s_and_b64 s[12:13], s[0:1], exec
	s_cselect_b32 s5, s7, s9
	v_mov_b32_e32 v5, s8
	v_cndmask_b32_e64 v4, v5, v4, s[0:1]
	v_mov_b32_e32 v5, s5
	flat_load_dwordx2 v[4:5], v[4:5]
	s_andn2_b64 vcc, exec, s[18:19]
	v_mov_b64_e32 v[6:7], s[10:11]
	s_cbranch_vccnz .LBB241_4
; %bb.3:
	v_mov_b64_e32 v[6:7], s[8:9]
	flat_load_dwordx2 v[6:7], v[6:7] offset:8
.LBB241_4:
	s_waitcnt vmcnt(0) lgkmcnt(0)
	v_cmp_eq_f64_e32 vcc, 0, v[0:1]
	v_cmp_eq_f64_e64 s[0:1], 0, v[2:3]
	s_and_b64 s[8:9], vcc, s[0:1]
	s_mov_b64 s[0:1], -1
	s_and_saveexec_b64 s[6:7], s[8:9]
; %bb.5:
	v_cmp_neq_f64_e32 vcc, 1.0, v[4:5]
	v_cmp_neq_f64_e64 s[0:1], 0, v[6:7]
	s_or_b64 s[0:1], vcc, s[0:1]
	s_orn2_b64 s[0:1], s[0:1], exec
; %bb.6:
	s_or_b64 exec, exec, s[6:7]
	s_and_saveexec_b64 s[6:7], s[0:1]
	s_cbranch_execz .LBB241_25
; %bb.7:
	s_load_dwordx2 s[0:1], s[2:3], 0x0
	v_lshrrev_b32_e32 v8, 5, v10
	v_lshl_or_b32 v8, s4, 2, v8
	s_waitcnt lgkmcnt(0)
	v_cmp_gt_i32_e32 vcc, s0, v8
	s_and_b64 exec, exec, vcc
	s_cbranch_execz .LBB241_25
; %bb.8:
	s_load_dwordx8 s[4:11], s[2:3], 0x18
	v_ashrrev_i32_e32 v9, 31, v8
	s_cmp_lg_u32 s1, 0
	s_waitcnt lgkmcnt(0)
	v_lshl_add_u64 v[12:13], v[8:9], 2, s[4:5]
	global_load_dwordx2 v[12:13], v[12:13], off
	v_and_b32_e32 v9, 31, v10
	s_waitcnt vmcnt(0)
	v_subrev_u32_e32 v10, s16, v12
	v_subrev_u32_e32 v24, s16, v13
	v_add_u32_e32 v14, v10, v9
	v_cmp_lt_i32_e64 s[0:1], v14, v24
	s_cbranch_scc0 .LBB241_14
; %bb.9:
	v_mov_b64_e32 v[12:13], 0
	s_mov_b64 s[4:5], 0
	v_mov_b64_e32 v[18:19], v[12:13]
	v_mov_b64_e32 v[16:17], v[12:13]
	;; [unrolled: 1-line block ×3, first 2 shown]
	s_and_saveexec_b64 s[12:13], s[0:1]
	s_cbranch_execz .LBB241_13
; %bb.10:
	v_mov_b64_e32 v[12:13], 0
	v_lshlrev_b32_e32 v20, 3, v14
	s_mov_b64 s[14:15], 0
	v_mov_b32_e32 v21, 0
	v_mov_b32_e32 v22, v14
	v_mov_b64_e32 v[18:19], v[12:13]
	v_mov_b64_e32 v[16:17], v[12:13]
	;; [unrolled: 1-line block ×3, first 2 shown]
.LBB241_11:                             ; =>This Inner Loop Header: Depth=1
	v_ashrrev_i32_e32 v23, 31, v22
	v_lshl_add_u64 v[26:27], v[22:23], 2, s[6:7]
	global_load_dword v15, v[26:27], off
	v_mov_b32_e32 v61, v21
	v_lshl_add_u64 v[58:59], v[20:21], 4, s[8:9]
	global_load_dwordx4 v[26:29], v[58:59], off offset:48
	global_load_dwordx4 v[30:33], v[58:59], off offset:32
	;; [unrolled: 1-line block ×3, first 2 shown]
	global_load_dwordx4 v[38:41], v[58:59], off
	global_load_dwordx4 v[42:45], v[58:59], off offset:96
	global_load_dwordx4 v[46:49], v[58:59], off offset:80
	;; [unrolled: 1-line block ×4, first 2 shown]
	v_add_u32_e32 v22, 32, v22
	v_cmp_ge_i32_e32 vcc, v22, v24
	v_add_u32_e32 v20, 0x100, v20
	s_or_b64 s[14:15], vcc, s[14:15]
	s_waitcnt vmcnt(8)
	v_subrev_u32_e32 v15, s16, v15
	v_lshlrev_b32_e32 v60, 2, v15
	v_lshl_add_u64 v[74:75], v[60:61], 4, s[10:11]
	global_load_dwordx4 v[58:61], v[74:75], off
	global_load_dwordx4 v[62:65], v[74:75], off offset:16
	global_load_dwordx4 v[66:69], v[74:75], off offset:32
	;; [unrolled: 1-line block ×3, first 2 shown]
	s_waitcnt vmcnt(3)
	v_fmac_f64_e32 v[18:19], v[38:39], v[58:59]
	v_fmac_f64_e32 v[12:13], v[40:41], v[58:59]
	v_fmac_f64_e32 v[16:17], v[34:35], v[58:59]
	v_fmac_f64_e32 v[10:11], v[36:37], v[58:59]
	v_fma_f64 v[18:19], -v[40:41], v[60:61], v[18:19]
	v_fmac_f64_e32 v[12:13], v[38:39], v[60:61]
	v_fma_f64 v[16:17], -v[36:37], v[60:61], v[16:17]
	v_fmac_f64_e32 v[10:11], v[34:35], v[60:61]
	s_waitcnt vmcnt(2)
	v_fmac_f64_e32 v[18:19], v[30:31], v[62:63]
	v_fmac_f64_e32 v[12:13], v[32:33], v[62:63]
	v_fmac_f64_e32 v[16:17], v[26:27], v[62:63]
	v_fmac_f64_e32 v[10:11], v[28:29], v[62:63]
	v_fma_f64 v[18:19], -v[32:33], v[64:65], v[18:19]
	v_fmac_f64_e32 v[12:13], v[30:31], v[64:65]
	v_fma_f64 v[16:17], -v[28:29], v[64:65], v[16:17]
	v_fmac_f64_e32 v[10:11], v[26:27], v[64:65]
	;; [unrolled: 9-line block ×4, first 2 shown]
	s_andn2_b64 exec, exec, s[14:15]
	s_cbranch_execnz .LBB241_11
; %bb.12:
	s_or_b64 exec, exec, s[14:15]
.LBB241_13:
	s_or_b64 exec, exec, s[12:13]
	s_andn2_b64 vcc, exec, s[4:5]
	s_cbranch_vccz .LBB241_15
	s_branch .LBB241_20
.LBB241_14:
                                        ; implicit-def: $vgpr12_vgpr13
                                        ; implicit-def: $vgpr18_vgpr19
                                        ; implicit-def: $vgpr16_vgpr17
                                        ; implicit-def: $vgpr10_vgpr11
.LBB241_15:
	v_mov_b64_e32 v[12:13], 0
	v_mov_b64_e32 v[18:19], v[12:13]
	;; [unrolled: 1-line block ×4, first 2 shown]
	s_and_saveexec_b64 s[4:5], s[0:1]
	s_cbranch_execz .LBB241_19
; %bb.16:
	v_mov_b64_e32 v[12:13], 0
	v_lshlrev_b32_e32 v20, 3, v14
	s_mov_b64 s[0:1], 0
	v_mov_b32_e32 v21, 0
	v_mov_b64_e32 v[18:19], v[12:13]
	v_mov_b64_e32 v[16:17], v[12:13]
	;; [unrolled: 1-line block ×3, first 2 shown]
.LBB241_17:                             ; =>This Inner Loop Header: Depth=1
	v_ashrrev_i32_e32 v15, 31, v14
	v_lshl_add_u64 v[22:23], v[14:15], 2, s[6:7]
	global_load_dword v15, v[22:23], off
	v_lshl_add_u64 v[22:23], v[20:21], 4, s[8:9]
	global_load_dwordx4 v[26:29], v[22:23], off offset:48
	global_load_dwordx4 v[30:33], v[22:23], off offset:32
	;; [unrolled: 1-line block ×3, first 2 shown]
	global_load_dwordx4 v[38:41], v[22:23], off
	global_load_dwordx4 v[42:45], v[22:23], off offset:112
	global_load_dwordx4 v[46:49], v[22:23], off offset:96
	;; [unrolled: 1-line block ×4, first 2 shown]
	v_mov_b32_e32 v59, v21
	v_add_u32_e32 v14, 32, v14
	v_cmp_ge_i32_e32 vcc, v14, v24
	v_add_u32_e32 v20, 0x100, v20
	s_or_b64 s[0:1], vcc, s[0:1]
	s_waitcnt vmcnt(8)
	v_subrev_u32_e32 v15, s16, v15
	v_lshlrev_b32_e32 v58, 2, v15
	v_lshl_add_u64 v[22:23], v[58:59], 4, s[10:11]
	global_load_dwordx4 v[58:61], v[22:23], off
	global_load_dwordx4 v[62:65], v[22:23], off offset:16
	global_load_dwordx4 v[66:69], v[22:23], off offset:32
	;; [unrolled: 1-line block ×3, first 2 shown]
	s_waitcnt vmcnt(3)
	v_fmac_f64_e32 v[18:19], v[38:39], v[58:59]
	v_fmac_f64_e32 v[12:13], v[40:41], v[58:59]
	v_fmac_f64_e32 v[16:17], v[54:55], v[58:59]
	v_fmac_f64_e32 v[10:11], v[56:57], v[58:59]
	v_fma_f64 v[18:19], -v[40:41], v[60:61], v[18:19]
	v_fmac_f64_e32 v[12:13], v[38:39], v[60:61]
	v_fma_f64 v[16:17], -v[56:57], v[60:61], v[16:17]
	v_fmac_f64_e32 v[10:11], v[54:55], v[60:61]
	s_waitcnt vmcnt(2)
	v_fmac_f64_e32 v[18:19], v[34:35], v[62:63]
	v_fmac_f64_e32 v[12:13], v[36:37], v[62:63]
	v_fmac_f64_e32 v[16:17], v[50:51], v[62:63]
	v_fmac_f64_e32 v[10:11], v[52:53], v[62:63]
	v_fma_f64 v[18:19], -v[36:37], v[64:65], v[18:19]
	v_fmac_f64_e32 v[12:13], v[34:35], v[64:65]
	v_fma_f64 v[16:17], -v[52:53], v[64:65], v[16:17]
	v_fmac_f64_e32 v[10:11], v[50:51], v[64:65]
	;; [unrolled: 9-line block ×4, first 2 shown]
	s_andn2_b64 exec, exec, s[0:1]
	s_cbranch_execnz .LBB241_17
; %bb.18:
	s_or_b64 exec, exec, s[0:1]
.LBB241_19:
	s_or_b64 exec, exec, s[4:5]
.LBB241_20:
	v_mov_b32_dpp v22, v16 row_shr:1 row_mask:0xf bank_mask:0xf
	v_mov_b32_dpp v23, v17 row_shr:1 row_mask:0xf bank_mask:0xf
	v_add_f64 v[16:17], v[16:17], v[22:23]
	v_mov_b32_dpp v14, v18 row_shr:1 row_mask:0xf bank_mask:0xf
	v_mov_b32_dpp v15, v19 row_shr:1 row_mask:0xf bank_mask:0xf
	;; [unrolled: 1-line block ×4, first 2 shown]
	v_add_f64 v[16:17], v[16:17], v[22:23]
	v_mov_b32_dpp v20, v12 row_shr:1 row_mask:0xf bank_mask:0xf
	v_mov_b32_dpp v21, v13 row_shr:1 row_mask:0xf bank_mask:0xf
	;; [unrolled: 1-line block ×4, first 2 shown]
	v_add_f64 v[16:17], v[16:17], v[22:23]
	v_add_f64 v[14:15], v[18:19], v[14:15]
	;; [unrolled: 1-line block ×3, first 2 shown]
	v_mov_b32_dpp v22, v16 row_shr:8 row_mask:0xf bank_mask:0xc
	v_mov_b32_dpp v23, v17 row_shr:8 row_mask:0xf bank_mask:0xc
	v_add_f64 v[22:23], v[16:17], v[22:23]
	v_mov_b32_dpp v16, v10 row_shr:1 row_mask:0xf bank_mask:0xf
	v_mov_b32_dpp v17, v11 row_shr:1 row_mask:0xf bank_mask:0xf
	v_add_f64 v[10:11], v[10:11], v[16:17]
	v_mov_b32_dpp v18, v14 row_shr:2 row_mask:0xf bank_mask:0xf
	v_mov_b32_dpp v19, v15 row_shr:2 row_mask:0xf bank_mask:0xf
	v_mov_b32_dpp v20, v12 row_shr:2 row_mask:0xf bank_mask:0xf
	v_mov_b32_dpp v21, v13 row_shr:2 row_mask:0xf bank_mask:0xf
	v_mov_b32_dpp v16, v10 row_shr:2 row_mask:0xf bank_mask:0xf
	v_mov_b32_dpp v17, v11 row_shr:2 row_mask:0xf bank_mask:0xf
	v_add_f64 v[14:15], v[14:15], v[18:19]
	v_add_f64 v[12:13], v[12:13], v[20:21]
	v_add_f64 v[10:11], v[10:11], v[16:17]
	v_mov_b32_dpp v18, v14 row_shr:4 row_mask:0xf bank_mask:0xe
	v_mov_b32_dpp v19, v15 row_shr:4 row_mask:0xf bank_mask:0xe
	v_mov_b32_dpp v20, v12 row_shr:4 row_mask:0xf bank_mask:0xe
	v_mov_b32_dpp v21, v13 row_shr:4 row_mask:0xf bank_mask:0xe
	v_mov_b32_dpp v16, v10 row_shr:4 row_mask:0xf bank_mask:0xe
	v_mov_b32_dpp v17, v11 row_shr:4 row_mask:0xf bank_mask:0xe
	v_add_f64 v[14:15], v[14:15], v[18:19]
	v_add_f64 v[12:13], v[12:13], v[20:21]
	;; [unrolled: 9-line block ×3, first 2 shown]
	v_add_f64 v[26:27], v[10:11], v[16:17]
	v_mov_b32_dpp v18, v14 row_bcast:15 row_mask:0xa bank_mask:0xf
	v_mov_b32_dpp v19, v15 row_bcast:15 row_mask:0xa bank_mask:0xf
	;; [unrolled: 1-line block ×8, first 2 shown]
	v_cmp_eq_u32_e32 vcc, 31, v9
	s_and_b64 exec, exec, vcc
	s_cbranch_execz .LBB241_25
; %bb.21:
	s_load_dwordx2 s[2:3], s[2:3], 0x48
	v_cmp_eq_f64_e32 vcc, 0, v[4:5]
	v_cmp_eq_f64_e64 s[0:1], 0, v[6:7]
	v_add_f64 v[14:15], v[14:15], v[18:19]
	v_add_f64 v[16:17], v[12:13], v[20:21]
	;; [unrolled: 1-line block ×4, first 2 shown]
	s_and_b64 s[0:1], vcc, s[0:1]
	s_and_saveexec_b64 s[4:5], s[0:1]
	s_xor_b64 s[0:1], exec, s[4:5]
	s_cbranch_execz .LBB241_23
; %bb.22:
	v_lshlrev_b32_e32 v8, 1, v8
	v_mul_f64 v[4:5], v[16:17], -v[2:3]
	v_mul_f64 v[6:7], v[0:1], v[16:17]
	v_ashrrev_i32_e32 v9, 31, v8
	v_fmac_f64_e32 v[4:5], v[0:1], v[14:15]
	v_fmac_f64_e32 v[6:7], v[2:3], v[14:15]
	s_waitcnt lgkmcnt(0)
	v_lshl_add_u64 v[8:9], v[8:9], 4, s[2:3]
	global_store_dwordx4 v[8:9], v[4:7], off
                                        ; implicit-def: $vgpr14_vgpr15
                                        ; implicit-def: $vgpr16_vgpr17
	s_nop 1
	v_mul_f64 v[4:5], v[12:13], -v[2:3]
	v_mul_f64 v[6:7], v[0:1], v[12:13]
	v_fmac_f64_e32 v[4:5], v[0:1], v[10:11]
	v_fmac_f64_e32 v[6:7], v[2:3], v[10:11]
	global_store_dwordx4 v[8:9], v[4:7], off offset:16
                                        ; implicit-def: $vgpr0_vgpr1
                                        ; implicit-def: $vgpr2_vgpr3
                                        ; implicit-def: $vgpr4_vgpr5
                                        ; implicit-def: $vgpr6_vgpr7
                                        ; implicit-def: $vgpr8
                                        ; implicit-def: $vgpr10_vgpr11
                                        ; implicit-def: $vgpr12_vgpr13
.LBB241_23:
	s_andn2_saveexec_b64 s[0:1], s[0:1]
	s_cbranch_execz .LBB241_25
; %bb.24:
	v_lshlrev_b32_e32 v8, 1, v8
	v_ashrrev_i32_e32 v9, 31, v8
	s_waitcnt lgkmcnt(0)
	v_lshl_add_u64 v[26:27], v[8:9], 4, s[2:3]
	global_load_dwordx4 v[18:21], v[26:27], off
	global_load_dwordx4 v[22:25], v[26:27], off offset:16
	v_mul_f64 v[28:29], v[16:17], -v[2:3]
	v_mul_f64 v[16:17], v[0:1], v[16:17]
	v_mul_f64 v[30:31], v[12:13], -v[2:3]
	v_mul_f64 v[8:9], v[0:1], v[12:13]
	v_fmac_f64_e32 v[28:29], v[0:1], v[14:15]
	v_fmac_f64_e32 v[16:17], v[2:3], v[14:15]
	;; [unrolled: 1-line block ×4, first 2 shown]
	s_waitcnt vmcnt(1)
	v_fmac_f64_e32 v[28:29], v[4:5], v[18:19]
	v_fmac_f64_e32 v[16:17], v[6:7], v[18:19]
	s_waitcnt vmcnt(0)
	v_fmac_f64_e32 v[30:31], v[4:5], v[22:23]
	v_fmac_f64_e32 v[8:9], v[6:7], v[22:23]
	v_fma_f64 v[14:15], -v[6:7], v[20:21], v[28:29]
	v_fmac_f64_e32 v[16:17], v[4:5], v[20:21]
	v_fma_f64 v[6:7], -v[6:7], v[24:25], v[30:31]
	v_fmac_f64_e32 v[8:9], v[4:5], v[24:25]
	global_store_dwordx4 v[26:27], v[14:17], off
	global_store_dwordx4 v[26:27], v[6:9], off offset:16
.LBB241_25:
	s_endpgm
	.section	.rodata,"a",@progbits
	.p2align	6, 0x0
	.amdhsa_kernel _ZN9rocsparseL19gebsrmvn_2xn_kernelILj128ELj4ELj32E21rocsparse_complex_numIdEEEvi20rocsparse_direction_NS_24const_host_device_scalarIT2_EEPKiS8_PKS5_SA_S6_PS5_21rocsparse_index_base_b
		.amdhsa_group_segment_fixed_size 2048
		.amdhsa_private_segment_fixed_size 0
		.amdhsa_kernarg_size 88
		.amdhsa_user_sgpr_count 4
		.amdhsa_user_sgpr_dispatch_ptr 1
		.amdhsa_user_sgpr_queue_ptr 0
		.amdhsa_user_sgpr_kernarg_segment_ptr 1
		.amdhsa_user_sgpr_dispatch_id 0
		.amdhsa_user_sgpr_kernarg_preload_length 0
		.amdhsa_user_sgpr_kernarg_preload_offset 0
		.amdhsa_user_sgpr_private_segment_size 0
		.amdhsa_uses_dynamic_stack 0
		.amdhsa_enable_private_segment 0
		.amdhsa_system_sgpr_workgroup_id_x 1
		.amdhsa_system_sgpr_workgroup_id_y 0
		.amdhsa_system_sgpr_workgroup_id_z 0
		.amdhsa_system_sgpr_workgroup_info 0
		.amdhsa_system_vgpr_workitem_id 2
		.amdhsa_next_free_vgpr 76
		.amdhsa_next_free_sgpr 20
		.amdhsa_accum_offset 76
		.amdhsa_reserve_vcc 1
		.amdhsa_float_round_mode_32 0
		.amdhsa_float_round_mode_16_64 0
		.amdhsa_float_denorm_mode_32 3
		.amdhsa_float_denorm_mode_16_64 3
		.amdhsa_dx10_clamp 1
		.amdhsa_ieee_mode 1
		.amdhsa_fp16_overflow 0
		.amdhsa_tg_split 0
		.amdhsa_exception_fp_ieee_invalid_op 0
		.amdhsa_exception_fp_denorm_src 0
		.amdhsa_exception_fp_ieee_div_zero 0
		.amdhsa_exception_fp_ieee_overflow 0
		.amdhsa_exception_fp_ieee_underflow 0
		.amdhsa_exception_fp_ieee_inexact 0
		.amdhsa_exception_int_div_zero 0
	.end_amdhsa_kernel
	.section	.text._ZN9rocsparseL19gebsrmvn_2xn_kernelILj128ELj4ELj32E21rocsparse_complex_numIdEEEvi20rocsparse_direction_NS_24const_host_device_scalarIT2_EEPKiS8_PKS5_SA_S6_PS5_21rocsparse_index_base_b,"axG",@progbits,_ZN9rocsparseL19gebsrmvn_2xn_kernelILj128ELj4ELj32E21rocsparse_complex_numIdEEEvi20rocsparse_direction_NS_24const_host_device_scalarIT2_EEPKiS8_PKS5_SA_S6_PS5_21rocsparse_index_base_b,comdat
.Lfunc_end241:
	.size	_ZN9rocsparseL19gebsrmvn_2xn_kernelILj128ELj4ELj32E21rocsparse_complex_numIdEEEvi20rocsparse_direction_NS_24const_host_device_scalarIT2_EEPKiS8_PKS5_SA_S6_PS5_21rocsparse_index_base_b, .Lfunc_end241-_ZN9rocsparseL19gebsrmvn_2xn_kernelILj128ELj4ELj32E21rocsparse_complex_numIdEEEvi20rocsparse_direction_NS_24const_host_device_scalarIT2_EEPKiS8_PKS5_SA_S6_PS5_21rocsparse_index_base_b
                                        ; -- End function
	.section	.AMDGPU.csdata,"",@progbits
; Kernel info:
; codeLenInByte = 2020
; NumSgprs: 26
; NumVgprs: 76
; NumAgprs: 0
; TotalNumVgprs: 76
; ScratchSize: 0
; MemoryBound: 1
; FloatMode: 240
; IeeeMode: 1
; LDSByteSize: 2048 bytes/workgroup (compile time only)
; SGPRBlocks: 3
; VGPRBlocks: 9
; NumSGPRsForWavesPerEU: 26
; NumVGPRsForWavesPerEU: 76
; AccumOffset: 76
; Occupancy: 6
; WaveLimiterHint : 1
; COMPUTE_PGM_RSRC2:SCRATCH_EN: 0
; COMPUTE_PGM_RSRC2:USER_SGPR: 4
; COMPUTE_PGM_RSRC2:TRAP_HANDLER: 0
; COMPUTE_PGM_RSRC2:TGID_X_EN: 1
; COMPUTE_PGM_RSRC2:TGID_Y_EN: 0
; COMPUTE_PGM_RSRC2:TGID_Z_EN: 0
; COMPUTE_PGM_RSRC2:TIDIG_COMP_CNT: 2
; COMPUTE_PGM_RSRC3_GFX90A:ACCUM_OFFSET: 18
; COMPUTE_PGM_RSRC3_GFX90A:TG_SPLIT: 0
	.section	.text._ZN9rocsparseL19gebsrmvn_2xn_kernelILj128ELj4ELj64E21rocsparse_complex_numIdEEEvi20rocsparse_direction_NS_24const_host_device_scalarIT2_EEPKiS8_PKS5_SA_S6_PS5_21rocsparse_index_base_b,"axG",@progbits,_ZN9rocsparseL19gebsrmvn_2xn_kernelILj128ELj4ELj64E21rocsparse_complex_numIdEEEvi20rocsparse_direction_NS_24const_host_device_scalarIT2_EEPKiS8_PKS5_SA_S6_PS5_21rocsparse_index_base_b,comdat
	.globl	_ZN9rocsparseL19gebsrmvn_2xn_kernelILj128ELj4ELj64E21rocsparse_complex_numIdEEEvi20rocsparse_direction_NS_24const_host_device_scalarIT2_EEPKiS8_PKS5_SA_S6_PS5_21rocsparse_index_base_b ; -- Begin function _ZN9rocsparseL19gebsrmvn_2xn_kernelILj128ELj4ELj64E21rocsparse_complex_numIdEEEvi20rocsparse_direction_NS_24const_host_device_scalarIT2_EEPKiS8_PKS5_SA_S6_PS5_21rocsparse_index_base_b
	.p2align	8
	.type	_ZN9rocsparseL19gebsrmvn_2xn_kernelILj128ELj4ELj64E21rocsparse_complex_numIdEEEvi20rocsparse_direction_NS_24const_host_device_scalarIT2_EEPKiS8_PKS5_SA_S6_PS5_21rocsparse_index_base_b,@function
_ZN9rocsparseL19gebsrmvn_2xn_kernelILj128ELj4ELj64E21rocsparse_complex_numIdEEEvi20rocsparse_direction_NS_24const_host_device_scalarIT2_EEPKiS8_PKS5_SA_S6_PS5_21rocsparse_index_base_b: ; @_ZN9rocsparseL19gebsrmvn_2xn_kernelILj128ELj4ELj64E21rocsparse_complex_numIdEEEvi20rocsparse_direction_NS_24const_host_device_scalarIT2_EEPKiS8_PKS5_SA_S6_PS5_21rocsparse_index_base_b
; %bb.0:
	s_load_dwordx2 s[16:17], s[2:3], 0x50
	s_load_dwordx4 s[12:15], s[2:3], 0x8
	s_load_dwordx4 s[8:11], s[2:3], 0x38
	s_load_dwordx2 s[18:19], s[0:1], 0x4
	s_mov_b64 s[6:7], src_shared_base
	s_waitcnt lgkmcnt(0)
	s_bitcmp1_b32 s17, 0
	s_cselect_b64 s[0:1], -1, 0
	s_and_b64 vcc, s[0:1], exec
	s_cselect_b32 s5, s7, s13
	s_lshr_b32 s6, s18, 16
	v_bfe_u32 v1, v0, 10, 10
	v_and_b32_e32 v10, 0x3ff, v0
	s_mul_i32 s6, s6, s19
	v_mul_u32_u24_e32 v1, s19, v1
	v_mad_u32_u24 v1, s6, v10, v1
	v_bfe_u32 v0, v0, 20, 10
	v_add_lshl_u32 v4, v1, v0, 3
	v_mov_b32_e32 v5, s12
	v_add_u32_e32 v6, 0x400, v4
	v_mov_b64_e32 v[0:1], s[12:13]
	v_mov_b64_e32 v[2:3], s[8:9]
	ds_write2st64_b64 v4, v[2:3], v[0:1] offset1:2
	v_cndmask_b32_e64 v0, v5, v6, s[0:1]
	v_mov_b32_e32 v1, s5
	flat_load_dwordx2 v[0:1], v[0:1]
	s_xor_b64 s[18:19], s[0:1], -1
	v_mov_b64_e32 v[2:3], s[14:15]
	s_cbranch_vccnz .LBB242_2
; %bb.1:
	v_mov_b64_e32 v[2:3], s[12:13]
	flat_load_dwordx2 v[2:3], v[2:3] offset:8
.LBB242_2:
	s_and_b64 s[12:13], s[0:1], exec
	s_cselect_b32 s5, s7, s9
	v_mov_b32_e32 v5, s8
	v_cndmask_b32_e64 v4, v5, v4, s[0:1]
	v_mov_b32_e32 v5, s5
	flat_load_dwordx2 v[4:5], v[4:5]
	s_andn2_b64 vcc, exec, s[18:19]
	v_mov_b64_e32 v[6:7], s[10:11]
	s_cbranch_vccnz .LBB242_4
; %bb.3:
	v_mov_b64_e32 v[6:7], s[8:9]
	flat_load_dwordx2 v[6:7], v[6:7] offset:8
.LBB242_4:
	s_waitcnt vmcnt(0) lgkmcnt(0)
	v_cmp_eq_f64_e32 vcc, 0, v[0:1]
	v_cmp_eq_f64_e64 s[0:1], 0, v[2:3]
	s_and_b64 s[8:9], vcc, s[0:1]
	s_mov_b64 s[0:1], -1
	s_and_saveexec_b64 s[6:7], s[8:9]
; %bb.5:
	v_cmp_neq_f64_e32 vcc, 1.0, v[4:5]
	v_cmp_neq_f64_e64 s[0:1], 0, v[6:7]
	s_or_b64 s[0:1], vcc, s[0:1]
	s_orn2_b64 s[0:1], s[0:1], exec
; %bb.6:
	s_or_b64 exec, exec, s[6:7]
	s_and_saveexec_b64 s[6:7], s[0:1]
	s_cbranch_execz .LBB242_25
; %bb.7:
	s_load_dwordx2 s[0:1], s[2:3], 0x0
	v_lshrrev_b32_e32 v8, 6, v10
	v_lshl_or_b32 v8, s4, 1, v8
	s_waitcnt lgkmcnt(0)
	v_cmp_gt_i32_e32 vcc, s0, v8
	s_and_b64 exec, exec, vcc
	s_cbranch_execz .LBB242_25
; %bb.8:
	s_load_dwordx8 s[4:11], s[2:3], 0x18
	v_ashrrev_i32_e32 v9, 31, v8
	s_cmp_lg_u32 s1, 0
	s_waitcnt lgkmcnt(0)
	v_lshl_add_u64 v[12:13], v[8:9], 2, s[4:5]
	global_load_dwordx2 v[12:13], v[12:13], off
	v_and_b32_e32 v9, 63, v10
	s_waitcnt vmcnt(0)
	v_subrev_u32_e32 v10, s16, v12
	v_subrev_u32_e32 v24, s16, v13
	v_add_u32_e32 v14, v10, v9
	v_cmp_lt_i32_e64 s[0:1], v14, v24
	s_cbranch_scc0 .LBB242_14
; %bb.9:
	v_mov_b64_e32 v[12:13], 0
	s_mov_b64 s[4:5], 0
	v_mov_b64_e32 v[18:19], v[12:13]
	v_mov_b64_e32 v[16:17], v[12:13]
	;; [unrolled: 1-line block ×3, first 2 shown]
	s_and_saveexec_b64 s[12:13], s[0:1]
	s_cbranch_execz .LBB242_13
; %bb.10:
	v_mov_b64_e32 v[12:13], 0
	v_lshlrev_b32_e32 v20, 3, v14
	s_mov_b64 s[14:15], 0
	v_mov_b32_e32 v21, 0
	v_mov_b32_e32 v22, v14
	v_mov_b64_e32 v[18:19], v[12:13]
	v_mov_b64_e32 v[16:17], v[12:13]
	;; [unrolled: 1-line block ×3, first 2 shown]
.LBB242_11:                             ; =>This Inner Loop Header: Depth=1
	v_ashrrev_i32_e32 v23, 31, v22
	v_lshl_add_u64 v[26:27], v[22:23], 2, s[6:7]
	global_load_dword v15, v[26:27], off
	v_mov_b32_e32 v61, v21
	v_lshl_add_u64 v[58:59], v[20:21], 4, s[8:9]
	global_load_dwordx4 v[26:29], v[58:59], off offset:48
	global_load_dwordx4 v[30:33], v[58:59], off offset:32
	;; [unrolled: 1-line block ×3, first 2 shown]
	global_load_dwordx4 v[38:41], v[58:59], off
	global_load_dwordx4 v[42:45], v[58:59], off offset:96
	global_load_dwordx4 v[46:49], v[58:59], off offset:80
	;; [unrolled: 1-line block ×4, first 2 shown]
	v_add_u32_e32 v22, 64, v22
	v_cmp_ge_i32_e32 vcc, v22, v24
	v_add_u32_e32 v20, 0x200, v20
	s_or_b64 s[14:15], vcc, s[14:15]
	s_waitcnt vmcnt(8)
	v_subrev_u32_e32 v15, s16, v15
	v_lshlrev_b32_e32 v60, 2, v15
	v_lshl_add_u64 v[74:75], v[60:61], 4, s[10:11]
	global_load_dwordx4 v[58:61], v[74:75], off
	global_load_dwordx4 v[62:65], v[74:75], off offset:16
	global_load_dwordx4 v[66:69], v[74:75], off offset:32
	;; [unrolled: 1-line block ×3, first 2 shown]
	s_waitcnt vmcnt(3)
	v_fmac_f64_e32 v[18:19], v[38:39], v[58:59]
	v_fmac_f64_e32 v[12:13], v[40:41], v[58:59]
	v_fmac_f64_e32 v[16:17], v[34:35], v[58:59]
	v_fmac_f64_e32 v[10:11], v[36:37], v[58:59]
	v_fma_f64 v[18:19], -v[40:41], v[60:61], v[18:19]
	v_fmac_f64_e32 v[12:13], v[38:39], v[60:61]
	v_fma_f64 v[16:17], -v[36:37], v[60:61], v[16:17]
	v_fmac_f64_e32 v[10:11], v[34:35], v[60:61]
	s_waitcnt vmcnt(2)
	v_fmac_f64_e32 v[18:19], v[30:31], v[62:63]
	v_fmac_f64_e32 v[12:13], v[32:33], v[62:63]
	v_fmac_f64_e32 v[16:17], v[26:27], v[62:63]
	v_fmac_f64_e32 v[10:11], v[28:29], v[62:63]
	v_fma_f64 v[18:19], -v[32:33], v[64:65], v[18:19]
	v_fmac_f64_e32 v[12:13], v[30:31], v[64:65]
	v_fma_f64 v[16:17], -v[28:29], v[64:65], v[16:17]
	v_fmac_f64_e32 v[10:11], v[26:27], v[64:65]
	s_waitcnt vmcnt(1)
	v_fmac_f64_e32 v[18:19], v[50:51], v[66:67]
	v_fmac_f64_e32 v[12:13], v[52:53], v[66:67]
	v_fmac_f64_e32 v[16:17], v[46:47], v[66:67]
	v_fmac_f64_e32 v[10:11], v[48:49], v[66:67]
	v_fma_f64 v[18:19], -v[52:53], v[68:69], v[18:19]
	v_fmac_f64_e32 v[12:13], v[50:51], v[68:69]
	v_fma_f64 v[16:17], -v[48:49], v[68:69], v[16:17]
	v_fmac_f64_e32 v[10:11], v[46:47], v[68:69]
	s_waitcnt vmcnt(0)
	v_fmac_f64_e32 v[18:19], v[42:43], v[70:71]
	v_fmac_f64_e32 v[12:13], v[44:45], v[70:71]
	v_fmac_f64_e32 v[16:17], v[54:55], v[70:71]
	v_fmac_f64_e32 v[10:11], v[56:57], v[70:71]
	v_fma_f64 v[18:19], -v[44:45], v[72:73], v[18:19]
	v_fmac_f64_e32 v[12:13], v[42:43], v[72:73]
	v_fma_f64 v[16:17], -v[56:57], v[72:73], v[16:17]
	v_fmac_f64_e32 v[10:11], v[54:55], v[72:73]
	s_andn2_b64 exec, exec, s[14:15]
	s_cbranch_execnz .LBB242_11
; %bb.12:
	s_or_b64 exec, exec, s[14:15]
.LBB242_13:
	s_or_b64 exec, exec, s[12:13]
	s_andn2_b64 vcc, exec, s[4:5]
	s_cbranch_vccz .LBB242_15
	s_branch .LBB242_20
.LBB242_14:
                                        ; implicit-def: $vgpr12_vgpr13
                                        ; implicit-def: $vgpr18_vgpr19
                                        ; implicit-def: $vgpr16_vgpr17
                                        ; implicit-def: $vgpr10_vgpr11
.LBB242_15:
	v_mov_b64_e32 v[12:13], 0
	v_mov_b64_e32 v[18:19], v[12:13]
	;; [unrolled: 1-line block ×4, first 2 shown]
	s_and_saveexec_b64 s[4:5], s[0:1]
	s_cbranch_execz .LBB242_19
; %bb.16:
	v_mov_b64_e32 v[12:13], 0
	v_lshlrev_b32_e32 v20, 3, v14
	s_mov_b64 s[0:1], 0
	v_mov_b32_e32 v21, 0
	v_mov_b64_e32 v[18:19], v[12:13]
	v_mov_b64_e32 v[16:17], v[12:13]
	;; [unrolled: 1-line block ×3, first 2 shown]
.LBB242_17:                             ; =>This Inner Loop Header: Depth=1
	v_ashrrev_i32_e32 v15, 31, v14
	v_lshl_add_u64 v[22:23], v[14:15], 2, s[6:7]
	global_load_dword v15, v[22:23], off
	v_lshl_add_u64 v[22:23], v[20:21], 4, s[8:9]
	global_load_dwordx4 v[26:29], v[22:23], off offset:48
	global_load_dwordx4 v[30:33], v[22:23], off offset:32
	;; [unrolled: 1-line block ×3, first 2 shown]
	global_load_dwordx4 v[38:41], v[22:23], off
	global_load_dwordx4 v[42:45], v[22:23], off offset:112
	global_load_dwordx4 v[46:49], v[22:23], off offset:96
	global_load_dwordx4 v[50:53], v[22:23], off offset:80
	global_load_dwordx4 v[54:57], v[22:23], off offset:64
	v_mov_b32_e32 v59, v21
	v_add_u32_e32 v14, 64, v14
	v_cmp_ge_i32_e32 vcc, v14, v24
	v_add_u32_e32 v20, 0x200, v20
	s_or_b64 s[0:1], vcc, s[0:1]
	s_waitcnt vmcnt(8)
	v_subrev_u32_e32 v15, s16, v15
	v_lshlrev_b32_e32 v58, 2, v15
	v_lshl_add_u64 v[22:23], v[58:59], 4, s[10:11]
	global_load_dwordx4 v[58:61], v[22:23], off
	global_load_dwordx4 v[62:65], v[22:23], off offset:16
	global_load_dwordx4 v[66:69], v[22:23], off offset:32
	;; [unrolled: 1-line block ×3, first 2 shown]
	s_waitcnt vmcnt(3)
	v_fmac_f64_e32 v[18:19], v[38:39], v[58:59]
	v_fmac_f64_e32 v[12:13], v[40:41], v[58:59]
	v_fmac_f64_e32 v[16:17], v[54:55], v[58:59]
	v_fmac_f64_e32 v[10:11], v[56:57], v[58:59]
	v_fma_f64 v[18:19], -v[40:41], v[60:61], v[18:19]
	v_fmac_f64_e32 v[12:13], v[38:39], v[60:61]
	v_fma_f64 v[16:17], -v[56:57], v[60:61], v[16:17]
	v_fmac_f64_e32 v[10:11], v[54:55], v[60:61]
	s_waitcnt vmcnt(2)
	v_fmac_f64_e32 v[18:19], v[34:35], v[62:63]
	v_fmac_f64_e32 v[12:13], v[36:37], v[62:63]
	v_fmac_f64_e32 v[16:17], v[50:51], v[62:63]
	v_fmac_f64_e32 v[10:11], v[52:53], v[62:63]
	v_fma_f64 v[18:19], -v[36:37], v[64:65], v[18:19]
	v_fmac_f64_e32 v[12:13], v[34:35], v[64:65]
	v_fma_f64 v[16:17], -v[52:53], v[64:65], v[16:17]
	v_fmac_f64_e32 v[10:11], v[50:51], v[64:65]
	;; [unrolled: 9-line block ×4, first 2 shown]
	s_andn2_b64 exec, exec, s[0:1]
	s_cbranch_execnz .LBB242_17
; %bb.18:
	s_or_b64 exec, exec, s[0:1]
.LBB242_19:
	s_or_b64 exec, exec, s[4:5]
.LBB242_20:
	v_mov_b32_dpp v22, v16 row_shr:1 row_mask:0xf bank_mask:0xf
	v_mov_b32_dpp v23, v17 row_shr:1 row_mask:0xf bank_mask:0xf
	v_add_f64 v[16:17], v[16:17], v[22:23]
	v_mov_b32_dpp v14, v18 row_shr:1 row_mask:0xf bank_mask:0xf
	v_mov_b32_dpp v15, v19 row_shr:1 row_mask:0xf bank_mask:0xf
	;; [unrolled: 1-line block ×4, first 2 shown]
	v_add_f64 v[16:17], v[16:17], v[22:23]
	v_mov_b32_dpp v20, v12 row_shr:1 row_mask:0xf bank_mask:0xf
	v_mov_b32_dpp v21, v13 row_shr:1 row_mask:0xf bank_mask:0xf
	;; [unrolled: 1-line block ×4, first 2 shown]
	v_add_f64 v[16:17], v[16:17], v[22:23]
	v_add_f64 v[14:15], v[18:19], v[14:15]
	;; [unrolled: 1-line block ×3, first 2 shown]
	v_mov_b32_dpp v22, v16 row_shr:8 row_mask:0xf bank_mask:0xc
	v_mov_b32_dpp v23, v17 row_shr:8 row_mask:0xf bank_mask:0xc
	v_add_f64 v[16:17], v[16:17], v[22:23]
	v_mov_b32_dpp v18, v14 row_shr:2 row_mask:0xf bank_mask:0xf
	v_mov_b32_dpp v19, v15 row_shr:2 row_mask:0xf bank_mask:0xf
	v_mov_b32_dpp v22, v16 row_bcast:15 row_mask:0xa bank_mask:0xf
	v_mov_b32_dpp v23, v17 row_bcast:15 row_mask:0xa bank_mask:0xf
	v_add_f64 v[22:23], v[16:17], v[22:23]
	v_mov_b32_dpp v16, v10 row_shr:1 row_mask:0xf bank_mask:0xf
	v_mov_b32_dpp v17, v11 row_shr:1 row_mask:0xf bank_mask:0xf
	v_add_f64 v[10:11], v[10:11], v[16:17]
	v_mov_b32_dpp v20, v12 row_shr:2 row_mask:0xf bank_mask:0xf
	v_mov_b32_dpp v21, v13 row_shr:2 row_mask:0xf bank_mask:0xf
	;; [unrolled: 1-line block ×4, first 2 shown]
	v_add_f64 v[14:15], v[14:15], v[18:19]
	v_add_f64 v[12:13], v[12:13], v[20:21]
	;; [unrolled: 1-line block ×3, first 2 shown]
	v_mov_b32_dpp v18, v14 row_shr:4 row_mask:0xf bank_mask:0xe
	v_mov_b32_dpp v19, v15 row_shr:4 row_mask:0xf bank_mask:0xe
	v_mov_b32_dpp v20, v12 row_shr:4 row_mask:0xf bank_mask:0xe
	v_mov_b32_dpp v21, v13 row_shr:4 row_mask:0xf bank_mask:0xe
	v_mov_b32_dpp v16, v10 row_shr:4 row_mask:0xf bank_mask:0xe
	v_mov_b32_dpp v17, v11 row_shr:4 row_mask:0xf bank_mask:0xe
	v_add_f64 v[14:15], v[14:15], v[18:19]
	v_add_f64 v[12:13], v[12:13], v[20:21]
	;; [unrolled: 1-line block ×3, first 2 shown]
	v_mov_b32_dpp v18, v14 row_shr:8 row_mask:0xf bank_mask:0xc
	v_mov_b32_dpp v19, v15 row_shr:8 row_mask:0xf bank_mask:0xc
	;; [unrolled: 1-line block ×6, first 2 shown]
	v_add_f64 v[14:15], v[14:15], v[18:19]
	v_add_f64 v[12:13], v[12:13], v[20:21]
	;; [unrolled: 1-line block ×3, first 2 shown]
	v_mov_b32_dpp v18, v14 row_bcast:15 row_mask:0xa bank_mask:0xf
	v_mov_b32_dpp v19, v15 row_bcast:15 row_mask:0xa bank_mask:0xf
	;; [unrolled: 1-line block ×6, first 2 shown]
	v_add_f64 v[14:15], v[14:15], v[18:19]
	v_add_f64 v[12:13], v[12:13], v[20:21]
	v_add_f64 v[26:27], v[10:11], v[16:17]
	v_mov_b32_dpp v18, v14 row_bcast:31 row_mask:0xc bank_mask:0xf
	v_mov_b32_dpp v19, v15 row_bcast:31 row_mask:0xc bank_mask:0xf
	;; [unrolled: 1-line block ×8, first 2 shown]
	v_cmp_eq_u32_e32 vcc, 63, v9
	s_and_b64 exec, exec, vcc
	s_cbranch_execz .LBB242_25
; %bb.21:
	s_load_dwordx2 s[2:3], s[2:3], 0x48
	v_cmp_eq_f64_e32 vcc, 0, v[4:5]
	v_cmp_eq_f64_e64 s[0:1], 0, v[6:7]
	v_add_f64 v[14:15], v[14:15], v[18:19]
	v_add_f64 v[16:17], v[12:13], v[20:21]
	;; [unrolled: 1-line block ×4, first 2 shown]
	s_and_b64 s[0:1], vcc, s[0:1]
	s_and_saveexec_b64 s[4:5], s[0:1]
	s_xor_b64 s[0:1], exec, s[4:5]
	s_cbranch_execz .LBB242_23
; %bb.22:
	v_lshlrev_b32_e32 v8, 1, v8
	v_mul_f64 v[4:5], v[16:17], -v[2:3]
	v_mul_f64 v[6:7], v[0:1], v[16:17]
	v_ashrrev_i32_e32 v9, 31, v8
	v_fmac_f64_e32 v[4:5], v[0:1], v[14:15]
	v_fmac_f64_e32 v[6:7], v[2:3], v[14:15]
	s_waitcnt lgkmcnt(0)
	v_lshl_add_u64 v[8:9], v[8:9], 4, s[2:3]
	global_store_dwordx4 v[8:9], v[4:7], off
                                        ; implicit-def: $vgpr14_vgpr15
                                        ; implicit-def: $vgpr16_vgpr17
	s_nop 1
	v_mul_f64 v[4:5], v[12:13], -v[2:3]
	v_mul_f64 v[6:7], v[0:1], v[12:13]
	v_fmac_f64_e32 v[4:5], v[0:1], v[10:11]
	v_fmac_f64_e32 v[6:7], v[2:3], v[10:11]
	global_store_dwordx4 v[8:9], v[4:7], off offset:16
                                        ; implicit-def: $vgpr0_vgpr1
                                        ; implicit-def: $vgpr2_vgpr3
                                        ; implicit-def: $vgpr4_vgpr5
                                        ; implicit-def: $vgpr6_vgpr7
                                        ; implicit-def: $vgpr8
                                        ; implicit-def: $vgpr10_vgpr11
                                        ; implicit-def: $vgpr12_vgpr13
.LBB242_23:
	s_andn2_saveexec_b64 s[0:1], s[0:1]
	s_cbranch_execz .LBB242_25
; %bb.24:
	v_lshlrev_b32_e32 v8, 1, v8
	v_ashrrev_i32_e32 v9, 31, v8
	s_waitcnt lgkmcnt(0)
	v_lshl_add_u64 v[26:27], v[8:9], 4, s[2:3]
	global_load_dwordx4 v[18:21], v[26:27], off
	global_load_dwordx4 v[22:25], v[26:27], off offset:16
	v_mul_f64 v[28:29], v[16:17], -v[2:3]
	v_mul_f64 v[16:17], v[0:1], v[16:17]
	v_mul_f64 v[30:31], v[12:13], -v[2:3]
	v_mul_f64 v[8:9], v[0:1], v[12:13]
	v_fmac_f64_e32 v[28:29], v[0:1], v[14:15]
	v_fmac_f64_e32 v[16:17], v[2:3], v[14:15]
	;; [unrolled: 1-line block ×4, first 2 shown]
	s_waitcnt vmcnt(1)
	v_fmac_f64_e32 v[28:29], v[4:5], v[18:19]
	v_fmac_f64_e32 v[16:17], v[6:7], v[18:19]
	s_waitcnt vmcnt(0)
	v_fmac_f64_e32 v[30:31], v[4:5], v[22:23]
	v_fmac_f64_e32 v[8:9], v[6:7], v[22:23]
	v_fma_f64 v[14:15], -v[6:7], v[20:21], v[28:29]
	v_fmac_f64_e32 v[16:17], v[4:5], v[20:21]
	v_fma_f64 v[6:7], -v[6:7], v[24:25], v[30:31]
	v_fmac_f64_e32 v[8:9], v[4:5], v[24:25]
	global_store_dwordx4 v[26:27], v[14:17], off
	global_store_dwordx4 v[26:27], v[6:9], off offset:16
.LBB242_25:
	s_endpgm
	.section	.rodata,"a",@progbits
	.p2align	6, 0x0
	.amdhsa_kernel _ZN9rocsparseL19gebsrmvn_2xn_kernelILj128ELj4ELj64E21rocsparse_complex_numIdEEEvi20rocsparse_direction_NS_24const_host_device_scalarIT2_EEPKiS8_PKS5_SA_S6_PS5_21rocsparse_index_base_b
		.amdhsa_group_segment_fixed_size 2048
		.amdhsa_private_segment_fixed_size 0
		.amdhsa_kernarg_size 88
		.amdhsa_user_sgpr_count 4
		.amdhsa_user_sgpr_dispatch_ptr 1
		.amdhsa_user_sgpr_queue_ptr 0
		.amdhsa_user_sgpr_kernarg_segment_ptr 1
		.amdhsa_user_sgpr_dispatch_id 0
		.amdhsa_user_sgpr_kernarg_preload_length 0
		.amdhsa_user_sgpr_kernarg_preload_offset 0
		.amdhsa_user_sgpr_private_segment_size 0
		.amdhsa_uses_dynamic_stack 0
		.amdhsa_enable_private_segment 0
		.amdhsa_system_sgpr_workgroup_id_x 1
		.amdhsa_system_sgpr_workgroup_id_y 0
		.amdhsa_system_sgpr_workgroup_id_z 0
		.amdhsa_system_sgpr_workgroup_info 0
		.amdhsa_system_vgpr_workitem_id 2
		.amdhsa_next_free_vgpr 76
		.amdhsa_next_free_sgpr 20
		.amdhsa_accum_offset 76
		.amdhsa_reserve_vcc 1
		.amdhsa_float_round_mode_32 0
		.amdhsa_float_round_mode_16_64 0
		.amdhsa_float_denorm_mode_32 3
		.amdhsa_float_denorm_mode_16_64 3
		.amdhsa_dx10_clamp 1
		.amdhsa_ieee_mode 1
		.amdhsa_fp16_overflow 0
		.amdhsa_tg_split 0
		.amdhsa_exception_fp_ieee_invalid_op 0
		.amdhsa_exception_fp_denorm_src 0
		.amdhsa_exception_fp_ieee_div_zero 0
		.amdhsa_exception_fp_ieee_overflow 0
		.amdhsa_exception_fp_ieee_underflow 0
		.amdhsa_exception_fp_ieee_inexact 0
		.amdhsa_exception_int_div_zero 0
	.end_amdhsa_kernel
	.section	.text._ZN9rocsparseL19gebsrmvn_2xn_kernelILj128ELj4ELj64E21rocsparse_complex_numIdEEEvi20rocsparse_direction_NS_24const_host_device_scalarIT2_EEPKiS8_PKS5_SA_S6_PS5_21rocsparse_index_base_b,"axG",@progbits,_ZN9rocsparseL19gebsrmvn_2xn_kernelILj128ELj4ELj64E21rocsparse_complex_numIdEEEvi20rocsparse_direction_NS_24const_host_device_scalarIT2_EEPKiS8_PKS5_SA_S6_PS5_21rocsparse_index_base_b,comdat
.Lfunc_end242:
	.size	_ZN9rocsparseL19gebsrmvn_2xn_kernelILj128ELj4ELj64E21rocsparse_complex_numIdEEEvi20rocsparse_direction_NS_24const_host_device_scalarIT2_EEPKiS8_PKS5_SA_S6_PS5_21rocsparse_index_base_b, .Lfunc_end242-_ZN9rocsparseL19gebsrmvn_2xn_kernelILj128ELj4ELj64E21rocsparse_complex_numIdEEEvi20rocsparse_direction_NS_24const_host_device_scalarIT2_EEPKiS8_PKS5_SA_S6_PS5_21rocsparse_index_base_b
                                        ; -- End function
	.section	.AMDGPU.csdata,"",@progbits
; Kernel info:
; codeLenInByte = 2116
; NumSgprs: 26
; NumVgprs: 76
; NumAgprs: 0
; TotalNumVgprs: 76
; ScratchSize: 0
; MemoryBound: 1
; FloatMode: 240
; IeeeMode: 1
; LDSByteSize: 2048 bytes/workgroup (compile time only)
; SGPRBlocks: 3
; VGPRBlocks: 9
; NumSGPRsForWavesPerEU: 26
; NumVGPRsForWavesPerEU: 76
; AccumOffset: 76
; Occupancy: 6
; WaveLimiterHint : 1
; COMPUTE_PGM_RSRC2:SCRATCH_EN: 0
; COMPUTE_PGM_RSRC2:USER_SGPR: 4
; COMPUTE_PGM_RSRC2:TRAP_HANDLER: 0
; COMPUTE_PGM_RSRC2:TGID_X_EN: 1
; COMPUTE_PGM_RSRC2:TGID_Y_EN: 0
; COMPUTE_PGM_RSRC2:TGID_Z_EN: 0
; COMPUTE_PGM_RSRC2:TIDIG_COMP_CNT: 2
; COMPUTE_PGM_RSRC3_GFX90A:ACCUM_OFFSET: 18
; COMPUTE_PGM_RSRC3_GFX90A:TG_SPLIT: 0
	.section	.text._ZN9rocsparseL19gebsrmvn_2xn_kernelILj128ELj5ELj4E21rocsparse_complex_numIdEEEvi20rocsparse_direction_NS_24const_host_device_scalarIT2_EEPKiS8_PKS5_SA_S6_PS5_21rocsparse_index_base_b,"axG",@progbits,_ZN9rocsparseL19gebsrmvn_2xn_kernelILj128ELj5ELj4E21rocsparse_complex_numIdEEEvi20rocsparse_direction_NS_24const_host_device_scalarIT2_EEPKiS8_PKS5_SA_S6_PS5_21rocsparse_index_base_b,comdat
	.globl	_ZN9rocsparseL19gebsrmvn_2xn_kernelILj128ELj5ELj4E21rocsparse_complex_numIdEEEvi20rocsparse_direction_NS_24const_host_device_scalarIT2_EEPKiS8_PKS5_SA_S6_PS5_21rocsparse_index_base_b ; -- Begin function _ZN9rocsparseL19gebsrmvn_2xn_kernelILj128ELj5ELj4E21rocsparse_complex_numIdEEEvi20rocsparse_direction_NS_24const_host_device_scalarIT2_EEPKiS8_PKS5_SA_S6_PS5_21rocsparse_index_base_b
	.p2align	8
	.type	_ZN9rocsparseL19gebsrmvn_2xn_kernelILj128ELj5ELj4E21rocsparse_complex_numIdEEEvi20rocsparse_direction_NS_24const_host_device_scalarIT2_EEPKiS8_PKS5_SA_S6_PS5_21rocsparse_index_base_b,@function
_ZN9rocsparseL19gebsrmvn_2xn_kernelILj128ELj5ELj4E21rocsparse_complex_numIdEEEvi20rocsparse_direction_NS_24const_host_device_scalarIT2_EEPKiS8_PKS5_SA_S6_PS5_21rocsparse_index_base_b: ; @_ZN9rocsparseL19gebsrmvn_2xn_kernelILj128ELj5ELj4E21rocsparse_complex_numIdEEEvi20rocsparse_direction_NS_24const_host_device_scalarIT2_EEPKiS8_PKS5_SA_S6_PS5_21rocsparse_index_base_b
; %bb.0:
	s_load_dwordx2 s[16:17], s[2:3], 0x50
	s_load_dwordx4 s[12:15], s[2:3], 0x8
	s_load_dwordx4 s[8:11], s[2:3], 0x38
	s_load_dwordx2 s[18:19], s[0:1], 0x4
	s_mov_b64 s[6:7], src_shared_base
	s_waitcnt lgkmcnt(0)
	s_bitcmp1_b32 s17, 0
	s_cselect_b64 s[0:1], -1, 0
	s_and_b64 vcc, s[0:1], exec
	s_cselect_b32 s5, s7, s13
	s_lshr_b32 s6, s18, 16
	v_bfe_u32 v1, v0, 10, 10
	v_and_b32_e32 v10, 0x3ff, v0
	s_mul_i32 s6, s6, s19
	v_mul_u32_u24_e32 v1, s19, v1
	v_mad_u32_u24 v1, s6, v10, v1
	v_bfe_u32 v0, v0, 20, 10
	v_add_lshl_u32 v4, v1, v0, 3
	v_mov_b32_e32 v5, s12
	v_add_u32_e32 v6, 0x400, v4
	v_mov_b64_e32 v[0:1], s[12:13]
	v_mov_b64_e32 v[2:3], s[8:9]
	ds_write2st64_b64 v4, v[2:3], v[0:1] offset1:2
	v_cndmask_b32_e64 v0, v5, v6, s[0:1]
	v_mov_b32_e32 v1, s5
	flat_load_dwordx2 v[0:1], v[0:1]
	s_xor_b64 s[18:19], s[0:1], -1
	v_mov_b64_e32 v[2:3], s[14:15]
	s_cbranch_vccnz .LBB243_2
; %bb.1:
	v_mov_b64_e32 v[2:3], s[12:13]
	flat_load_dwordx2 v[2:3], v[2:3] offset:8
.LBB243_2:
	s_and_b64 s[12:13], s[0:1], exec
	s_cselect_b32 s5, s7, s9
	v_mov_b32_e32 v5, s8
	v_cndmask_b32_e64 v4, v5, v4, s[0:1]
	v_mov_b32_e32 v5, s5
	flat_load_dwordx2 v[4:5], v[4:5]
	s_andn2_b64 vcc, exec, s[18:19]
	v_mov_b64_e32 v[6:7], s[10:11]
	s_cbranch_vccnz .LBB243_4
; %bb.3:
	v_mov_b64_e32 v[6:7], s[8:9]
	flat_load_dwordx2 v[6:7], v[6:7] offset:8
.LBB243_4:
	s_waitcnt vmcnt(0) lgkmcnt(0)
	v_cmp_eq_f64_e32 vcc, 0, v[0:1]
	v_cmp_eq_f64_e64 s[0:1], 0, v[2:3]
	s_and_b64 s[8:9], vcc, s[0:1]
	s_mov_b64 s[0:1], -1
	s_and_saveexec_b64 s[6:7], s[8:9]
; %bb.5:
	v_cmp_neq_f64_e32 vcc, 1.0, v[4:5]
	v_cmp_neq_f64_e64 s[0:1], 0, v[6:7]
	s_or_b64 s[0:1], vcc, s[0:1]
	s_orn2_b64 s[0:1], s[0:1], exec
; %bb.6:
	s_or_b64 exec, exec, s[6:7]
	s_and_saveexec_b64 s[6:7], s[0:1]
	s_cbranch_execz .LBB243_25
; %bb.7:
	s_load_dwordx2 s[0:1], s[2:3], 0x0
	v_lshrrev_b32_e32 v8, 2, v10
	v_lshl_or_b32 v8, s4, 5, v8
	s_waitcnt lgkmcnt(0)
	v_cmp_gt_i32_e32 vcc, s0, v8
	s_and_b64 exec, exec, vcc
	s_cbranch_execz .LBB243_25
; %bb.8:
	s_load_dwordx8 s[4:11], s[2:3], 0x18
	v_ashrrev_i32_e32 v9, 31, v8
	s_cmp_lg_u32 s1, 0
	s_waitcnt lgkmcnt(0)
	v_lshl_add_u64 v[12:13], v[8:9], 2, s[4:5]
	global_load_dwordx2 v[12:13], v[12:13], off
	v_and_b32_e32 v9, 3, v10
	s_waitcnt vmcnt(0)
	v_subrev_u32_e32 v10, s16, v12
	v_subrev_u32_e32 v26, s16, v13
	v_add_u32_e32 v14, v10, v9
	v_cmp_lt_i32_e64 s[0:1], v14, v26
	s_cbranch_scc0 .LBB243_14
; %bb.9:
	v_mov_b64_e32 v[10:11], 0
	s_mov_b64 s[4:5], 0
	v_mov_b64_e32 v[18:19], v[10:11]
	v_mov_b64_e32 v[16:17], v[10:11]
	;; [unrolled: 1-line block ×3, first 2 shown]
	s_and_saveexec_b64 s[12:13], s[0:1]
	s_cbranch_execz .LBB243_13
; %bb.10:
	v_mad_u64_u32 v[20:21], s[14:15], v14, 10, 8
	v_mov_b64_e32 v[10:11], 0
	s_mov_b64 s[14:15], 0
	v_mov_b32_e32 v23, 0
	v_mov_b32_e32 v24, v14
	v_mov_b64_e32 v[18:19], v[10:11]
	v_mov_b64_e32 v[16:17], v[10:11]
	;; [unrolled: 1-line block ×3, first 2 shown]
.LBB243_11:                             ; =>This Inner Loop Header: Depth=1
	v_ashrrev_i32_e32 v25, 31, v24
	v_lshl_add_u64 v[28:29], v[24:25], 2, s[6:7]
	global_load_dword v15, v[28:29], off
	v_add_u32_e32 v22, -8, v20
	v_mov_b32_e32 v21, v23
	v_mov_b32_e32 v81, v23
	v_lshl_add_u64 v[36:37], v[22:23], 4, s[8:9]
	v_add_u32_e32 v22, -6, v20
	v_lshl_add_u64 v[52:53], v[20:21], 4, s[8:9]
	global_load_dwordx4 v[28:31], v[36:37], off offset:16
	global_load_dwordx4 v[32:35], v[36:37], off
	v_lshl_add_u64 v[54:55], v[22:23], 4, s[8:9]
	global_load_dwordx4 v[36:39], v[52:53], off offset:16
	global_load_dwordx4 v[40:43], v[52:53], off
	global_load_dwordx4 v[44:47], v[54:55], off offset:16
	global_load_dwordx4 v[48:51], v[54:55], off
	v_add_u32_e32 v24, 4, v24
	v_cmp_ge_i32_e32 vcc, v24, v26
	s_or_b64 s[14:15], vcc, s[14:15]
	s_waitcnt vmcnt(6)
	v_subrev_u32_e32 v15, s16, v15
	v_lshl_add_u32 v80, v15, 2, v15
	v_lshl_add_u64 v[52:53], v[80:81], 4, s[10:11]
	v_add_u32_e32 v22, 1, v80
	global_load_dwordx4 v[52:55], v[52:53], off
	v_lshl_add_u64 v[56:57], v[22:23], 4, s[10:11]
	global_load_dwordx4 v[56:59], v[56:57], off
	v_add_u32_e32 v22, -4, v20
	v_lshl_add_u64 v[68:69], v[22:23], 4, s[8:9]
	v_add_u32_e32 v22, 2, v80
	global_load_dwordx4 v[60:63], v[68:69], off offset:16
	global_load_dwordx4 v[64:67], v[68:69], off
	v_lshl_add_u64 v[68:69], v[22:23], 4, s[10:11]
	v_add_u32_e32 v22, -2, v20
	global_load_dwordx4 v[68:71], v[68:69], off
	v_lshl_add_u64 v[82:83], v[22:23], 4, s[8:9]
	v_add_u32_e32 v22, 3, v80
	global_load_dwordx4 v[72:75], v[82:83], off offset:16
	global_load_dwordx4 v[76:79], v[82:83], off
	v_lshl_add_u64 v[82:83], v[22:23], 4, s[10:11]
	v_add_u32_e32 v22, 4, v80
	global_load_dwordx4 v[80:83], v[82:83], off
	v_lshl_add_u64 v[84:85], v[22:23], 4, s[10:11]
	global_load_dwordx4 v[84:87], v[84:85], off
	v_add_u32_e32 v20, 40, v20
	s_waitcnt vmcnt(8)
	v_fmac_f64_e32 v[18:19], v[32:33], v[52:53]
	v_fmac_f64_e32 v[10:11], v[34:35], v[52:53]
	v_fmac_f64_e32 v[16:17], v[28:29], v[52:53]
	v_fmac_f64_e32 v[12:13], v[30:31], v[52:53]
	v_fma_f64 v[18:19], -v[34:35], v[54:55], v[18:19]
	v_fmac_f64_e32 v[10:11], v[32:33], v[54:55]
	v_fma_f64 v[16:17], -v[30:31], v[54:55], v[16:17]
	v_fmac_f64_e32 v[12:13], v[28:29], v[54:55]
	s_waitcnt vmcnt(7)
	v_fmac_f64_e32 v[18:19], v[48:49], v[56:57]
	v_fmac_f64_e32 v[10:11], v[50:51], v[56:57]
	v_fmac_f64_e32 v[16:17], v[44:45], v[56:57]
	v_fmac_f64_e32 v[12:13], v[46:47], v[56:57]
	v_fma_f64 v[18:19], -v[50:51], v[58:59], v[18:19]
	v_fmac_f64_e32 v[10:11], v[48:49], v[58:59]
	v_fma_f64 v[16:17], -v[46:47], v[58:59], v[16:17]
	v_fmac_f64_e32 v[12:13], v[44:45], v[58:59]
	;; [unrolled: 9-line block ×5, first 2 shown]
	s_andn2_b64 exec, exec, s[14:15]
	s_cbranch_execnz .LBB243_11
; %bb.12:
	s_or_b64 exec, exec, s[14:15]
.LBB243_13:
	s_or_b64 exec, exec, s[12:13]
	s_andn2_b64 vcc, exec, s[4:5]
	s_cbranch_vccz .LBB243_15
	s_branch .LBB243_20
.LBB243_14:
                                        ; implicit-def: $vgpr10_vgpr11
                                        ; implicit-def: $vgpr18_vgpr19
                                        ; implicit-def: $vgpr16_vgpr17
                                        ; implicit-def: $vgpr12_vgpr13
.LBB243_15:
	v_mov_b64_e32 v[10:11], 0
	v_mov_b64_e32 v[18:19], v[10:11]
	;; [unrolled: 1-line block ×4, first 2 shown]
	s_and_saveexec_b64 s[4:5], s[0:1]
	s_cbranch_execz .LBB243_19
; %bb.16:
	v_mad_u64_u32 v[20:21], s[0:1], v14, 10, 9
	v_mov_b64_e32 v[10:11], 0
	s_mov_b64 s[0:1], 0
	v_mov_b32_e32 v23, 0
	v_mov_b64_e32 v[18:19], v[10:11]
	v_mov_b64_e32 v[16:17], v[10:11]
	v_mov_b64_e32 v[12:13], v[10:11]
.LBB243_17:                             ; =>This Inner Loop Header: Depth=1
	v_ashrrev_i32_e32 v15, 31, v14
	v_add_u32_e32 v22, -9, v20
	v_add_u32_e32 v28, -4, v20
	v_mov_b32_e32 v29, v23
	v_mov_b32_e32 v21, v23
	v_lshl_add_u64 v[44:45], v[14:15], 2, s[6:7]
	v_lshl_add_u64 v[46:47], v[22:23], 4, s[8:9]
	;; [unrolled: 1-line block ×4, first 2 shown]
	global_load_dword v15, v[44:45], off
	global_load_dwordx4 v[28:31], v[46:47], off offset:16
	global_load_dwordx4 v[32:35], v[46:47], off
	global_load_dwordx4 v[36:39], v[48:49], off
	;; [unrolled: 1-line block ×3, first 2 shown]
	v_mov_b32_e32 v25, v23
	v_add_u32_e32 v14, 4, v14
	v_cmp_ge_i32_e32 vcc, v14, v26
	s_or_b64 s[0:1], vcc, s[0:1]
	s_waitcnt vmcnt(4)
	v_subrev_u32_e32 v15, s16, v15
	v_lshl_add_u32 v24, v15, 2, v15
	v_lshl_add_u64 v[44:45], v[24:25], 4, s[10:11]
	global_load_dwordx4 v[44:47], v[44:45], off
	v_add_u32_e32 v22, 1, v24
	v_lshl_add_u64 v[48:49], v[22:23], 4, s[10:11]
	global_load_dwordx4 v[48:51], v[48:49], off
	v_add_u32_e32 v22, -3, v20
	v_lshl_add_u64 v[60:61], v[22:23], 4, s[8:9]
	v_add_u32_e32 v22, -7, v20
	v_lshl_add_u64 v[62:63], v[22:23], 4, s[8:9]
	v_add_u32_e32 v22, 2, v24
	global_load_dwordx4 v[52:55], v[60:61], off
	global_load_dwordx4 v[56:59], v[62:63], off
	v_lshl_add_u64 v[60:61], v[22:23], 4, s[10:11]
	v_add_u32_e32 v22, -2, v20
	v_lshl_add_u64 v[72:73], v[22:23], 4, s[8:9]
	v_add_u32_e32 v22, -6, v20
	v_lshl_add_u64 v[74:75], v[22:23], 4, s[8:9]
	v_add_u32_e32 v22, 3, v24
	global_load_dwordx4 v[60:63], v[60:61], off
	s_nop 0
	global_load_dwordx4 v[64:67], v[72:73], off
	global_load_dwordx4 v[68:71], v[74:75], off
	v_lshl_add_u64 v[72:73], v[22:23], 4, s[10:11]
	v_add_u32_e32 v22, -1, v20
	v_lshl_add_u64 v[80:81], v[22:23], 4, s[8:9]
	v_add_u32_e32 v22, -5, v20
	v_lshl_add_u64 v[82:83], v[22:23], 4, s[8:9]
	v_add_u32_e32 v22, 4, v24
	global_load_dwordx4 v[72:75], v[72:73], off
	v_lshl_add_u64 v[24:25], v[22:23], 4, s[10:11]
	v_add_u32_e32 v20, 40, v20
	s_waitcnt vmcnt(7)
	v_fmac_f64_e32 v[18:19], v[32:33], v[44:45]
	v_fmac_f64_e32 v[10:11], v[34:35], v[44:45]
	v_fma_f64 v[18:19], -v[34:35], v[46:47], v[18:19]
	v_fmac_f64_e32 v[10:11], v[32:33], v[46:47]
	global_load_dwordx4 v[32:35], v[80:81], off
	global_load_dwordx4 v[76:79], v[82:83], off
	v_fmac_f64_e32 v[16:17], v[36:37], v[44:45]
	v_fmac_f64_e32 v[12:13], v[38:39], v[44:45]
	v_fma_f64 v[16:17], -v[38:39], v[46:47], v[16:17]
	v_fmac_f64_e32 v[12:13], v[36:37], v[46:47]
	global_load_dwordx4 v[36:39], v[24:25], off
	s_waitcnt vmcnt(9)
	v_fmac_f64_e32 v[18:19], v[28:29], v[48:49]
	v_fmac_f64_e32 v[10:11], v[30:31], v[48:49]
	s_waitcnt vmcnt(8)
	v_fmac_f64_e32 v[16:17], v[52:53], v[48:49]
	v_fmac_f64_e32 v[12:13], v[54:55], v[48:49]
	v_fma_f64 v[18:19], -v[30:31], v[50:51], v[18:19]
	v_fmac_f64_e32 v[10:11], v[28:29], v[50:51]
	v_fma_f64 v[16:17], -v[54:55], v[50:51], v[16:17]
	v_fmac_f64_e32 v[12:13], v[52:53], v[50:51]
	s_waitcnt vmcnt(6)
	v_fmac_f64_e32 v[18:19], v[56:57], v[60:61]
	v_fmac_f64_e32 v[10:11], v[58:59], v[60:61]
	s_waitcnt vmcnt(5)
	v_fmac_f64_e32 v[16:17], v[64:65], v[60:61]
	v_fmac_f64_e32 v[12:13], v[66:67], v[60:61]
	v_fma_f64 v[18:19], -v[58:59], v[62:63], v[18:19]
	v_fmac_f64_e32 v[10:11], v[56:57], v[62:63]
	v_fma_f64 v[16:17], -v[66:67], v[62:63], v[16:17]
	v_fmac_f64_e32 v[12:13], v[64:65], v[62:63]
	s_waitcnt vmcnt(3)
	v_fmac_f64_e32 v[18:19], v[68:69], v[72:73]
	v_fmac_f64_e32 v[10:11], v[70:71], v[72:73]
	v_fma_f64 v[18:19], -v[70:71], v[74:75], v[18:19]
	v_fmac_f64_e32 v[10:11], v[68:69], v[74:75]
	s_waitcnt vmcnt(2)
	v_fmac_f64_e32 v[16:17], v[32:33], v[72:73]
	;; [unrolled: 5-line block ×3, first 2 shown]
	v_fmac_f64_e32 v[10:11], v[78:79], v[36:37]
	v_fmac_f64_e32 v[16:17], v[40:41], v[36:37]
	;; [unrolled: 1-line block ×3, first 2 shown]
	v_fma_f64 v[18:19], -v[78:79], v[38:39], v[18:19]
	v_fmac_f64_e32 v[10:11], v[76:77], v[38:39]
	v_fma_f64 v[16:17], -v[42:43], v[38:39], v[16:17]
	v_fmac_f64_e32 v[12:13], v[40:41], v[38:39]
	s_andn2_b64 exec, exec, s[0:1]
	s_cbranch_execnz .LBB243_17
; %bb.18:
	s_or_b64 exec, exec, s[0:1]
.LBB243_19:
	s_or_b64 exec, exec, s[4:5]
.LBB243_20:
	v_mov_b32_dpp v22, v16 row_shr:1 row_mask:0xf bank_mask:0xf
	v_mov_b32_dpp v23, v17 row_shr:1 row_mask:0xf bank_mask:0xf
	;; [unrolled: 1-line block ×6, first 2 shown]
	v_add_f64 v[22:23], v[16:17], v[22:23]
	v_mov_b32_dpp v16, v12 row_shr:1 row_mask:0xf bank_mask:0xf
	v_mov_b32_dpp v17, v13 row_shr:1 row_mask:0xf bank_mask:0xf
	v_add_f64 v[14:15], v[18:19], v[14:15]
	v_add_f64 v[10:11], v[10:11], v[20:21]
	;; [unrolled: 1-line block ×3, first 2 shown]
	v_mov_b32_dpp v18, v14 row_shr:2 row_mask:0xf bank_mask:0xf
	v_mov_b32_dpp v19, v15 row_shr:2 row_mask:0xf bank_mask:0xf
	;; [unrolled: 1-line block ×8, first 2 shown]
	v_cmp_eq_u32_e32 vcc, 3, v9
	s_and_b64 exec, exec, vcc
	s_cbranch_execz .LBB243_25
; %bb.21:
	s_load_dwordx2 s[2:3], s[2:3], 0x48
	v_cmp_eq_f64_e32 vcc, 0, v[4:5]
	v_cmp_eq_f64_e64 s[0:1], 0, v[6:7]
	v_add_f64 v[14:15], v[14:15], v[18:19]
	v_add_f64 v[16:17], v[10:11], v[20:21]
	;; [unrolled: 1-line block ×4, first 2 shown]
	s_and_b64 s[0:1], vcc, s[0:1]
	s_and_saveexec_b64 s[4:5], s[0:1]
	s_xor_b64 s[0:1], exec, s[4:5]
	s_cbranch_execz .LBB243_23
; %bb.22:
	v_lshlrev_b32_e32 v8, 1, v8
	v_mul_f64 v[4:5], v[16:17], -v[2:3]
	v_mul_f64 v[6:7], v[0:1], v[16:17]
	v_ashrrev_i32_e32 v9, 31, v8
	v_fmac_f64_e32 v[4:5], v[0:1], v[14:15]
	v_fmac_f64_e32 v[6:7], v[2:3], v[14:15]
	s_waitcnt lgkmcnt(0)
	v_lshl_add_u64 v[8:9], v[8:9], 4, s[2:3]
	global_store_dwordx4 v[8:9], v[4:7], off
                                        ; implicit-def: $vgpr14_vgpr15
                                        ; implicit-def: $vgpr16_vgpr17
	s_nop 1
	v_mul_f64 v[4:5], v[12:13], -v[2:3]
	v_mul_f64 v[6:7], v[0:1], v[12:13]
	v_fmac_f64_e32 v[4:5], v[0:1], v[10:11]
	v_fmac_f64_e32 v[6:7], v[2:3], v[10:11]
	global_store_dwordx4 v[8:9], v[4:7], off offset:16
                                        ; implicit-def: $vgpr0_vgpr1
                                        ; implicit-def: $vgpr2_vgpr3
                                        ; implicit-def: $vgpr4_vgpr5
                                        ; implicit-def: $vgpr6_vgpr7
                                        ; implicit-def: $vgpr8
                                        ; implicit-def: $vgpr10_vgpr11
                                        ; implicit-def: $vgpr12_vgpr13
.LBB243_23:
	s_andn2_saveexec_b64 s[0:1], s[0:1]
	s_cbranch_execz .LBB243_25
; %bb.24:
	v_lshlrev_b32_e32 v8, 1, v8
	v_ashrrev_i32_e32 v9, 31, v8
	s_waitcnt lgkmcnt(0)
	v_lshl_add_u64 v[26:27], v[8:9], 4, s[2:3]
	global_load_dwordx4 v[18:21], v[26:27], off
	global_load_dwordx4 v[22:25], v[26:27], off offset:16
	v_mul_f64 v[28:29], v[16:17], -v[2:3]
	v_mul_f64 v[16:17], v[0:1], v[16:17]
	v_mul_f64 v[30:31], v[12:13], -v[2:3]
	v_mul_f64 v[8:9], v[0:1], v[12:13]
	v_fmac_f64_e32 v[28:29], v[0:1], v[14:15]
	v_fmac_f64_e32 v[16:17], v[2:3], v[14:15]
	;; [unrolled: 1-line block ×4, first 2 shown]
	s_waitcnt vmcnt(1)
	v_fmac_f64_e32 v[28:29], v[4:5], v[18:19]
	v_fmac_f64_e32 v[16:17], v[6:7], v[18:19]
	s_waitcnt vmcnt(0)
	v_fmac_f64_e32 v[30:31], v[4:5], v[22:23]
	v_fmac_f64_e32 v[8:9], v[6:7], v[22:23]
	v_fma_f64 v[14:15], -v[6:7], v[20:21], v[28:29]
	v_fmac_f64_e32 v[16:17], v[4:5], v[20:21]
	v_fma_f64 v[6:7], -v[6:7], v[24:25], v[30:31]
	v_fmac_f64_e32 v[8:9], v[4:5], v[24:25]
	global_store_dwordx4 v[26:27], v[14:17], off
	global_store_dwordx4 v[26:27], v[6:9], off offset:16
.LBB243_25:
	s_endpgm
	.section	.rodata,"a",@progbits
	.p2align	6, 0x0
	.amdhsa_kernel _ZN9rocsparseL19gebsrmvn_2xn_kernelILj128ELj5ELj4E21rocsparse_complex_numIdEEEvi20rocsparse_direction_NS_24const_host_device_scalarIT2_EEPKiS8_PKS5_SA_S6_PS5_21rocsparse_index_base_b
		.amdhsa_group_segment_fixed_size 2048
		.amdhsa_private_segment_fixed_size 0
		.amdhsa_kernarg_size 88
		.amdhsa_user_sgpr_count 4
		.amdhsa_user_sgpr_dispatch_ptr 1
		.amdhsa_user_sgpr_queue_ptr 0
		.amdhsa_user_sgpr_kernarg_segment_ptr 1
		.amdhsa_user_sgpr_dispatch_id 0
		.amdhsa_user_sgpr_kernarg_preload_length 0
		.amdhsa_user_sgpr_kernarg_preload_offset 0
		.amdhsa_user_sgpr_private_segment_size 0
		.amdhsa_uses_dynamic_stack 0
		.amdhsa_enable_private_segment 0
		.amdhsa_system_sgpr_workgroup_id_x 1
		.amdhsa_system_sgpr_workgroup_id_y 0
		.amdhsa_system_sgpr_workgroup_id_z 0
		.amdhsa_system_sgpr_workgroup_info 0
		.amdhsa_system_vgpr_workitem_id 2
		.amdhsa_next_free_vgpr 88
		.amdhsa_next_free_sgpr 20
		.amdhsa_accum_offset 88
		.amdhsa_reserve_vcc 1
		.amdhsa_float_round_mode_32 0
		.amdhsa_float_round_mode_16_64 0
		.amdhsa_float_denorm_mode_32 3
		.amdhsa_float_denorm_mode_16_64 3
		.amdhsa_dx10_clamp 1
		.amdhsa_ieee_mode 1
		.amdhsa_fp16_overflow 0
		.amdhsa_tg_split 0
		.amdhsa_exception_fp_ieee_invalid_op 0
		.amdhsa_exception_fp_denorm_src 0
		.amdhsa_exception_fp_ieee_div_zero 0
		.amdhsa_exception_fp_ieee_overflow 0
		.amdhsa_exception_fp_ieee_underflow 0
		.amdhsa_exception_fp_ieee_inexact 0
		.amdhsa_exception_int_div_zero 0
	.end_amdhsa_kernel
	.section	.text._ZN9rocsparseL19gebsrmvn_2xn_kernelILj128ELj5ELj4E21rocsparse_complex_numIdEEEvi20rocsparse_direction_NS_24const_host_device_scalarIT2_EEPKiS8_PKS5_SA_S6_PS5_21rocsparse_index_base_b,"axG",@progbits,_ZN9rocsparseL19gebsrmvn_2xn_kernelILj128ELj5ELj4E21rocsparse_complex_numIdEEEvi20rocsparse_direction_NS_24const_host_device_scalarIT2_EEPKiS8_PKS5_SA_S6_PS5_21rocsparse_index_base_b,comdat
.Lfunc_end243:
	.size	_ZN9rocsparseL19gebsrmvn_2xn_kernelILj128ELj5ELj4E21rocsparse_complex_numIdEEEvi20rocsparse_direction_NS_24const_host_device_scalarIT2_EEPKiS8_PKS5_SA_S6_PS5_21rocsparse_index_base_b, .Lfunc_end243-_ZN9rocsparseL19gebsrmvn_2xn_kernelILj128ELj5ELj4E21rocsparse_complex_numIdEEEvi20rocsparse_direction_NS_24const_host_device_scalarIT2_EEPKiS8_PKS5_SA_S6_PS5_21rocsparse_index_base_b
                                        ; -- End function
	.section	.AMDGPU.csdata,"",@progbits
; Kernel info:
; codeLenInByte = 2144
; NumSgprs: 26
; NumVgprs: 88
; NumAgprs: 0
; TotalNumVgprs: 88
; ScratchSize: 0
; MemoryBound: 0
; FloatMode: 240
; IeeeMode: 1
; LDSByteSize: 2048 bytes/workgroup (compile time only)
; SGPRBlocks: 3
; VGPRBlocks: 10
; NumSGPRsForWavesPerEU: 26
; NumVGPRsForWavesPerEU: 88
; AccumOffset: 88
; Occupancy: 5
; WaveLimiterHint : 1
; COMPUTE_PGM_RSRC2:SCRATCH_EN: 0
; COMPUTE_PGM_RSRC2:USER_SGPR: 4
; COMPUTE_PGM_RSRC2:TRAP_HANDLER: 0
; COMPUTE_PGM_RSRC2:TGID_X_EN: 1
; COMPUTE_PGM_RSRC2:TGID_Y_EN: 0
; COMPUTE_PGM_RSRC2:TGID_Z_EN: 0
; COMPUTE_PGM_RSRC2:TIDIG_COMP_CNT: 2
; COMPUTE_PGM_RSRC3_GFX90A:ACCUM_OFFSET: 21
; COMPUTE_PGM_RSRC3_GFX90A:TG_SPLIT: 0
	.section	.text._ZN9rocsparseL19gebsrmvn_2xn_kernelILj128ELj5ELj8E21rocsparse_complex_numIdEEEvi20rocsparse_direction_NS_24const_host_device_scalarIT2_EEPKiS8_PKS5_SA_S6_PS5_21rocsparse_index_base_b,"axG",@progbits,_ZN9rocsparseL19gebsrmvn_2xn_kernelILj128ELj5ELj8E21rocsparse_complex_numIdEEEvi20rocsparse_direction_NS_24const_host_device_scalarIT2_EEPKiS8_PKS5_SA_S6_PS5_21rocsparse_index_base_b,comdat
	.globl	_ZN9rocsparseL19gebsrmvn_2xn_kernelILj128ELj5ELj8E21rocsparse_complex_numIdEEEvi20rocsparse_direction_NS_24const_host_device_scalarIT2_EEPKiS8_PKS5_SA_S6_PS5_21rocsparse_index_base_b ; -- Begin function _ZN9rocsparseL19gebsrmvn_2xn_kernelILj128ELj5ELj8E21rocsparse_complex_numIdEEEvi20rocsparse_direction_NS_24const_host_device_scalarIT2_EEPKiS8_PKS5_SA_S6_PS5_21rocsparse_index_base_b
	.p2align	8
	.type	_ZN9rocsparseL19gebsrmvn_2xn_kernelILj128ELj5ELj8E21rocsparse_complex_numIdEEEvi20rocsparse_direction_NS_24const_host_device_scalarIT2_EEPKiS8_PKS5_SA_S6_PS5_21rocsparse_index_base_b,@function
_ZN9rocsparseL19gebsrmvn_2xn_kernelILj128ELj5ELj8E21rocsparse_complex_numIdEEEvi20rocsparse_direction_NS_24const_host_device_scalarIT2_EEPKiS8_PKS5_SA_S6_PS5_21rocsparse_index_base_b: ; @_ZN9rocsparseL19gebsrmvn_2xn_kernelILj128ELj5ELj8E21rocsparse_complex_numIdEEEvi20rocsparse_direction_NS_24const_host_device_scalarIT2_EEPKiS8_PKS5_SA_S6_PS5_21rocsparse_index_base_b
; %bb.0:
	s_load_dwordx2 s[16:17], s[2:3], 0x50
	s_load_dwordx4 s[12:15], s[2:3], 0x8
	s_load_dwordx4 s[8:11], s[2:3], 0x38
	s_load_dwordx2 s[18:19], s[0:1], 0x4
	s_mov_b64 s[6:7], src_shared_base
	s_waitcnt lgkmcnt(0)
	s_bitcmp1_b32 s17, 0
	s_cselect_b64 s[0:1], -1, 0
	s_and_b64 vcc, s[0:1], exec
	s_cselect_b32 s5, s7, s13
	s_lshr_b32 s6, s18, 16
	v_bfe_u32 v1, v0, 10, 10
	v_and_b32_e32 v10, 0x3ff, v0
	s_mul_i32 s6, s6, s19
	v_mul_u32_u24_e32 v1, s19, v1
	v_mad_u32_u24 v1, s6, v10, v1
	v_bfe_u32 v0, v0, 20, 10
	v_add_lshl_u32 v4, v1, v0, 3
	v_mov_b32_e32 v5, s12
	v_add_u32_e32 v6, 0x400, v4
	v_mov_b64_e32 v[0:1], s[12:13]
	v_mov_b64_e32 v[2:3], s[8:9]
	ds_write2st64_b64 v4, v[2:3], v[0:1] offset1:2
	v_cndmask_b32_e64 v0, v5, v6, s[0:1]
	v_mov_b32_e32 v1, s5
	flat_load_dwordx2 v[0:1], v[0:1]
	s_xor_b64 s[18:19], s[0:1], -1
	v_mov_b64_e32 v[2:3], s[14:15]
	s_cbranch_vccnz .LBB244_2
; %bb.1:
	v_mov_b64_e32 v[2:3], s[12:13]
	flat_load_dwordx2 v[2:3], v[2:3] offset:8
.LBB244_2:
	s_and_b64 s[12:13], s[0:1], exec
	s_cselect_b32 s5, s7, s9
	v_mov_b32_e32 v5, s8
	v_cndmask_b32_e64 v4, v5, v4, s[0:1]
	v_mov_b32_e32 v5, s5
	flat_load_dwordx2 v[4:5], v[4:5]
	s_andn2_b64 vcc, exec, s[18:19]
	v_mov_b64_e32 v[6:7], s[10:11]
	s_cbranch_vccnz .LBB244_4
; %bb.3:
	v_mov_b64_e32 v[6:7], s[8:9]
	flat_load_dwordx2 v[6:7], v[6:7] offset:8
.LBB244_4:
	s_waitcnt vmcnt(0) lgkmcnt(0)
	v_cmp_eq_f64_e32 vcc, 0, v[0:1]
	v_cmp_eq_f64_e64 s[0:1], 0, v[2:3]
	s_and_b64 s[8:9], vcc, s[0:1]
	s_mov_b64 s[0:1], -1
	s_and_saveexec_b64 s[6:7], s[8:9]
; %bb.5:
	v_cmp_neq_f64_e32 vcc, 1.0, v[4:5]
	v_cmp_neq_f64_e64 s[0:1], 0, v[6:7]
	s_or_b64 s[0:1], vcc, s[0:1]
	s_orn2_b64 s[0:1], s[0:1], exec
; %bb.6:
	s_or_b64 exec, exec, s[6:7]
	s_and_saveexec_b64 s[6:7], s[0:1]
	s_cbranch_execz .LBB244_25
; %bb.7:
	s_load_dwordx2 s[0:1], s[2:3], 0x0
	v_lshrrev_b32_e32 v8, 3, v10
	v_lshl_or_b32 v8, s4, 4, v8
	s_waitcnt lgkmcnt(0)
	v_cmp_gt_i32_e32 vcc, s0, v8
	s_and_b64 exec, exec, vcc
	s_cbranch_execz .LBB244_25
; %bb.8:
	s_load_dwordx8 s[4:11], s[2:3], 0x18
	v_ashrrev_i32_e32 v9, 31, v8
	s_cmp_lg_u32 s1, 0
	s_waitcnt lgkmcnt(0)
	v_lshl_add_u64 v[12:13], v[8:9], 2, s[4:5]
	global_load_dwordx2 v[12:13], v[12:13], off
	v_and_b32_e32 v9, 7, v10
	s_waitcnt vmcnt(0)
	v_subrev_u32_e32 v10, s16, v12
	v_subrev_u32_e32 v26, s16, v13
	v_add_u32_e32 v14, v10, v9
	v_cmp_lt_i32_e64 s[0:1], v14, v26
	s_cbranch_scc0 .LBB244_14
; %bb.9:
	v_mov_b64_e32 v[10:11], 0
	s_mov_b64 s[4:5], 0
	v_mov_b64_e32 v[18:19], v[10:11]
	v_mov_b64_e32 v[16:17], v[10:11]
	;; [unrolled: 1-line block ×3, first 2 shown]
	s_and_saveexec_b64 s[12:13], s[0:1]
	s_cbranch_execz .LBB244_13
; %bb.10:
	v_mad_u64_u32 v[20:21], s[14:15], v14, 10, 8
	v_mov_b64_e32 v[10:11], 0
	s_mov_b64 s[14:15], 0
	v_mov_b32_e32 v23, 0
	v_mov_b32_e32 v24, v14
	v_mov_b64_e32 v[18:19], v[10:11]
	v_mov_b64_e32 v[16:17], v[10:11]
	;; [unrolled: 1-line block ×3, first 2 shown]
.LBB244_11:                             ; =>This Inner Loop Header: Depth=1
	v_ashrrev_i32_e32 v25, 31, v24
	v_lshl_add_u64 v[28:29], v[24:25], 2, s[6:7]
	global_load_dword v15, v[28:29], off
	v_add_u32_e32 v22, -8, v20
	v_mov_b32_e32 v21, v23
	v_mov_b32_e32 v81, v23
	v_lshl_add_u64 v[36:37], v[22:23], 4, s[8:9]
	v_add_u32_e32 v22, -6, v20
	v_lshl_add_u64 v[52:53], v[20:21], 4, s[8:9]
	global_load_dwordx4 v[28:31], v[36:37], off offset:16
	global_load_dwordx4 v[32:35], v[36:37], off
	v_lshl_add_u64 v[54:55], v[22:23], 4, s[8:9]
	global_load_dwordx4 v[36:39], v[52:53], off offset:16
	global_load_dwordx4 v[40:43], v[52:53], off
	global_load_dwordx4 v[44:47], v[54:55], off offset:16
	global_load_dwordx4 v[48:51], v[54:55], off
	v_add_u32_e32 v24, 8, v24
	v_cmp_ge_i32_e32 vcc, v24, v26
	s_or_b64 s[14:15], vcc, s[14:15]
	s_waitcnt vmcnt(6)
	v_subrev_u32_e32 v15, s16, v15
	v_lshl_add_u32 v80, v15, 2, v15
	v_lshl_add_u64 v[52:53], v[80:81], 4, s[10:11]
	v_add_u32_e32 v22, 1, v80
	global_load_dwordx4 v[52:55], v[52:53], off
	v_lshl_add_u64 v[56:57], v[22:23], 4, s[10:11]
	global_load_dwordx4 v[56:59], v[56:57], off
	v_add_u32_e32 v22, -4, v20
	v_lshl_add_u64 v[68:69], v[22:23], 4, s[8:9]
	v_add_u32_e32 v22, 2, v80
	global_load_dwordx4 v[60:63], v[68:69], off offset:16
	global_load_dwordx4 v[64:67], v[68:69], off
	v_lshl_add_u64 v[68:69], v[22:23], 4, s[10:11]
	v_add_u32_e32 v22, -2, v20
	global_load_dwordx4 v[68:71], v[68:69], off
	v_lshl_add_u64 v[82:83], v[22:23], 4, s[8:9]
	v_add_u32_e32 v22, 3, v80
	global_load_dwordx4 v[72:75], v[82:83], off offset:16
	global_load_dwordx4 v[76:79], v[82:83], off
	v_lshl_add_u64 v[82:83], v[22:23], 4, s[10:11]
	v_add_u32_e32 v22, 4, v80
	global_load_dwordx4 v[80:83], v[82:83], off
	v_lshl_add_u64 v[84:85], v[22:23], 4, s[10:11]
	global_load_dwordx4 v[84:87], v[84:85], off
	v_add_u32_e32 v20, 0x50, v20
	s_waitcnt vmcnt(8)
	v_fmac_f64_e32 v[18:19], v[32:33], v[52:53]
	v_fmac_f64_e32 v[10:11], v[34:35], v[52:53]
	v_fmac_f64_e32 v[16:17], v[28:29], v[52:53]
	v_fmac_f64_e32 v[12:13], v[30:31], v[52:53]
	v_fma_f64 v[18:19], -v[34:35], v[54:55], v[18:19]
	v_fmac_f64_e32 v[10:11], v[32:33], v[54:55]
	v_fma_f64 v[16:17], -v[30:31], v[54:55], v[16:17]
	v_fmac_f64_e32 v[12:13], v[28:29], v[54:55]
	s_waitcnt vmcnt(7)
	v_fmac_f64_e32 v[18:19], v[48:49], v[56:57]
	v_fmac_f64_e32 v[10:11], v[50:51], v[56:57]
	v_fmac_f64_e32 v[16:17], v[44:45], v[56:57]
	v_fmac_f64_e32 v[12:13], v[46:47], v[56:57]
	v_fma_f64 v[18:19], -v[50:51], v[58:59], v[18:19]
	v_fmac_f64_e32 v[10:11], v[48:49], v[58:59]
	v_fma_f64 v[16:17], -v[46:47], v[58:59], v[16:17]
	v_fmac_f64_e32 v[12:13], v[44:45], v[58:59]
	;; [unrolled: 9-line block ×5, first 2 shown]
	s_andn2_b64 exec, exec, s[14:15]
	s_cbranch_execnz .LBB244_11
; %bb.12:
	s_or_b64 exec, exec, s[14:15]
.LBB244_13:
	s_or_b64 exec, exec, s[12:13]
	s_andn2_b64 vcc, exec, s[4:5]
	s_cbranch_vccz .LBB244_15
	s_branch .LBB244_20
.LBB244_14:
                                        ; implicit-def: $vgpr10_vgpr11
                                        ; implicit-def: $vgpr18_vgpr19
                                        ; implicit-def: $vgpr16_vgpr17
                                        ; implicit-def: $vgpr12_vgpr13
.LBB244_15:
	v_mov_b64_e32 v[10:11], 0
	v_mov_b64_e32 v[18:19], v[10:11]
	;; [unrolled: 1-line block ×4, first 2 shown]
	s_and_saveexec_b64 s[4:5], s[0:1]
	s_cbranch_execz .LBB244_19
; %bb.16:
	v_mad_u64_u32 v[20:21], s[0:1], v14, 10, 9
	v_mov_b64_e32 v[10:11], 0
	s_mov_b64 s[0:1], 0
	v_mov_b32_e32 v23, 0
	v_mov_b64_e32 v[18:19], v[10:11]
	v_mov_b64_e32 v[16:17], v[10:11]
	;; [unrolled: 1-line block ×3, first 2 shown]
.LBB244_17:                             ; =>This Inner Loop Header: Depth=1
	v_ashrrev_i32_e32 v15, 31, v14
	v_add_u32_e32 v22, -9, v20
	v_add_u32_e32 v28, -4, v20
	v_mov_b32_e32 v29, v23
	v_mov_b32_e32 v21, v23
	v_lshl_add_u64 v[44:45], v[14:15], 2, s[6:7]
	v_lshl_add_u64 v[46:47], v[22:23], 4, s[8:9]
	;; [unrolled: 1-line block ×4, first 2 shown]
	global_load_dword v15, v[44:45], off
	global_load_dwordx4 v[28:31], v[46:47], off offset:16
	global_load_dwordx4 v[32:35], v[46:47], off
	global_load_dwordx4 v[36:39], v[48:49], off
	;; [unrolled: 1-line block ×3, first 2 shown]
	v_mov_b32_e32 v25, v23
	v_add_u32_e32 v14, 8, v14
	v_cmp_ge_i32_e32 vcc, v14, v26
	s_or_b64 s[0:1], vcc, s[0:1]
	s_waitcnt vmcnt(4)
	v_subrev_u32_e32 v15, s16, v15
	v_lshl_add_u32 v24, v15, 2, v15
	v_lshl_add_u64 v[44:45], v[24:25], 4, s[10:11]
	global_load_dwordx4 v[44:47], v[44:45], off
	v_add_u32_e32 v22, 1, v24
	v_lshl_add_u64 v[48:49], v[22:23], 4, s[10:11]
	global_load_dwordx4 v[48:51], v[48:49], off
	v_add_u32_e32 v22, -3, v20
	v_lshl_add_u64 v[60:61], v[22:23], 4, s[8:9]
	v_add_u32_e32 v22, -7, v20
	v_lshl_add_u64 v[62:63], v[22:23], 4, s[8:9]
	v_add_u32_e32 v22, 2, v24
	global_load_dwordx4 v[52:55], v[60:61], off
	global_load_dwordx4 v[56:59], v[62:63], off
	v_lshl_add_u64 v[60:61], v[22:23], 4, s[10:11]
	v_add_u32_e32 v22, -2, v20
	v_lshl_add_u64 v[72:73], v[22:23], 4, s[8:9]
	v_add_u32_e32 v22, -6, v20
	v_lshl_add_u64 v[74:75], v[22:23], 4, s[8:9]
	v_add_u32_e32 v22, 3, v24
	global_load_dwordx4 v[60:63], v[60:61], off
	s_nop 0
	global_load_dwordx4 v[64:67], v[72:73], off
	global_load_dwordx4 v[68:71], v[74:75], off
	v_lshl_add_u64 v[72:73], v[22:23], 4, s[10:11]
	v_add_u32_e32 v22, -1, v20
	v_lshl_add_u64 v[80:81], v[22:23], 4, s[8:9]
	v_add_u32_e32 v22, -5, v20
	v_lshl_add_u64 v[82:83], v[22:23], 4, s[8:9]
	v_add_u32_e32 v22, 4, v24
	global_load_dwordx4 v[72:75], v[72:73], off
	v_lshl_add_u64 v[24:25], v[22:23], 4, s[10:11]
	v_add_u32_e32 v20, 0x50, v20
	s_waitcnt vmcnt(7)
	v_fmac_f64_e32 v[18:19], v[32:33], v[44:45]
	v_fmac_f64_e32 v[10:11], v[34:35], v[44:45]
	v_fma_f64 v[18:19], -v[34:35], v[46:47], v[18:19]
	v_fmac_f64_e32 v[10:11], v[32:33], v[46:47]
	global_load_dwordx4 v[32:35], v[80:81], off
	global_load_dwordx4 v[76:79], v[82:83], off
	v_fmac_f64_e32 v[16:17], v[36:37], v[44:45]
	v_fmac_f64_e32 v[12:13], v[38:39], v[44:45]
	v_fma_f64 v[16:17], -v[38:39], v[46:47], v[16:17]
	v_fmac_f64_e32 v[12:13], v[36:37], v[46:47]
	global_load_dwordx4 v[36:39], v[24:25], off
	s_waitcnt vmcnt(9)
	v_fmac_f64_e32 v[18:19], v[28:29], v[48:49]
	v_fmac_f64_e32 v[10:11], v[30:31], v[48:49]
	s_waitcnt vmcnt(8)
	v_fmac_f64_e32 v[16:17], v[52:53], v[48:49]
	v_fmac_f64_e32 v[12:13], v[54:55], v[48:49]
	v_fma_f64 v[18:19], -v[30:31], v[50:51], v[18:19]
	v_fmac_f64_e32 v[10:11], v[28:29], v[50:51]
	v_fma_f64 v[16:17], -v[54:55], v[50:51], v[16:17]
	v_fmac_f64_e32 v[12:13], v[52:53], v[50:51]
	s_waitcnt vmcnt(6)
	v_fmac_f64_e32 v[18:19], v[56:57], v[60:61]
	v_fmac_f64_e32 v[10:11], v[58:59], v[60:61]
	s_waitcnt vmcnt(5)
	v_fmac_f64_e32 v[16:17], v[64:65], v[60:61]
	v_fmac_f64_e32 v[12:13], v[66:67], v[60:61]
	v_fma_f64 v[18:19], -v[58:59], v[62:63], v[18:19]
	v_fmac_f64_e32 v[10:11], v[56:57], v[62:63]
	v_fma_f64 v[16:17], -v[66:67], v[62:63], v[16:17]
	v_fmac_f64_e32 v[12:13], v[64:65], v[62:63]
	s_waitcnt vmcnt(3)
	v_fmac_f64_e32 v[18:19], v[68:69], v[72:73]
	v_fmac_f64_e32 v[10:11], v[70:71], v[72:73]
	v_fma_f64 v[18:19], -v[70:71], v[74:75], v[18:19]
	v_fmac_f64_e32 v[10:11], v[68:69], v[74:75]
	s_waitcnt vmcnt(2)
	v_fmac_f64_e32 v[16:17], v[32:33], v[72:73]
	;; [unrolled: 5-line block ×3, first 2 shown]
	v_fmac_f64_e32 v[10:11], v[78:79], v[36:37]
	v_fmac_f64_e32 v[16:17], v[40:41], v[36:37]
	;; [unrolled: 1-line block ×3, first 2 shown]
	v_fma_f64 v[18:19], -v[78:79], v[38:39], v[18:19]
	v_fmac_f64_e32 v[10:11], v[76:77], v[38:39]
	v_fma_f64 v[16:17], -v[42:43], v[38:39], v[16:17]
	v_fmac_f64_e32 v[12:13], v[40:41], v[38:39]
	s_andn2_b64 exec, exec, s[0:1]
	s_cbranch_execnz .LBB244_17
; %bb.18:
	s_or_b64 exec, exec, s[0:1]
.LBB244_19:
	s_or_b64 exec, exec, s[4:5]
.LBB244_20:
	v_mov_b32_dpp v22, v16 row_shr:1 row_mask:0xf bank_mask:0xf
	v_mov_b32_dpp v23, v17 row_shr:1 row_mask:0xf bank_mask:0xf
	v_add_f64 v[16:17], v[16:17], v[22:23]
	v_mov_b32_dpp v14, v18 row_shr:1 row_mask:0xf bank_mask:0xf
	v_mov_b32_dpp v15, v19 row_shr:1 row_mask:0xf bank_mask:0xf
	;; [unrolled: 1-line block ×6, first 2 shown]
	v_add_f64 v[22:23], v[16:17], v[22:23]
	v_mov_b32_dpp v16, v12 row_shr:1 row_mask:0xf bank_mask:0xf
	v_mov_b32_dpp v17, v13 row_shr:1 row_mask:0xf bank_mask:0xf
	v_add_f64 v[14:15], v[18:19], v[14:15]
	v_add_f64 v[10:11], v[10:11], v[20:21]
	v_add_f64 v[12:13], v[12:13], v[16:17]
	v_mov_b32_dpp v18, v14 row_shr:2 row_mask:0xf bank_mask:0xf
	v_mov_b32_dpp v19, v15 row_shr:2 row_mask:0xf bank_mask:0xf
	;; [unrolled: 1-line block ×6, first 2 shown]
	v_add_f64 v[14:15], v[14:15], v[18:19]
	v_add_f64 v[10:11], v[10:11], v[20:21]
	;; [unrolled: 1-line block ×3, first 2 shown]
	v_mov_b32_dpp v18, v14 row_shr:4 row_mask:0xf bank_mask:0xe
	v_mov_b32_dpp v19, v15 row_shr:4 row_mask:0xf bank_mask:0xe
	;; [unrolled: 1-line block ×8, first 2 shown]
	v_cmp_eq_u32_e32 vcc, 7, v9
	s_and_b64 exec, exec, vcc
	s_cbranch_execz .LBB244_25
; %bb.21:
	s_load_dwordx2 s[2:3], s[2:3], 0x48
	v_cmp_eq_f64_e32 vcc, 0, v[4:5]
	v_cmp_eq_f64_e64 s[0:1], 0, v[6:7]
	v_add_f64 v[14:15], v[14:15], v[18:19]
	v_add_f64 v[16:17], v[10:11], v[20:21]
	;; [unrolled: 1-line block ×4, first 2 shown]
	s_and_b64 s[0:1], vcc, s[0:1]
	s_and_saveexec_b64 s[4:5], s[0:1]
	s_xor_b64 s[0:1], exec, s[4:5]
	s_cbranch_execz .LBB244_23
; %bb.22:
	v_lshlrev_b32_e32 v8, 1, v8
	v_mul_f64 v[4:5], v[16:17], -v[2:3]
	v_mul_f64 v[6:7], v[0:1], v[16:17]
	v_ashrrev_i32_e32 v9, 31, v8
	v_fmac_f64_e32 v[4:5], v[0:1], v[14:15]
	v_fmac_f64_e32 v[6:7], v[2:3], v[14:15]
	s_waitcnt lgkmcnt(0)
	v_lshl_add_u64 v[8:9], v[8:9], 4, s[2:3]
	global_store_dwordx4 v[8:9], v[4:7], off
                                        ; implicit-def: $vgpr14_vgpr15
                                        ; implicit-def: $vgpr16_vgpr17
	s_nop 1
	v_mul_f64 v[4:5], v[12:13], -v[2:3]
	v_mul_f64 v[6:7], v[0:1], v[12:13]
	v_fmac_f64_e32 v[4:5], v[0:1], v[10:11]
	v_fmac_f64_e32 v[6:7], v[2:3], v[10:11]
	global_store_dwordx4 v[8:9], v[4:7], off offset:16
                                        ; implicit-def: $vgpr0_vgpr1
                                        ; implicit-def: $vgpr2_vgpr3
                                        ; implicit-def: $vgpr4_vgpr5
                                        ; implicit-def: $vgpr6_vgpr7
                                        ; implicit-def: $vgpr8
                                        ; implicit-def: $vgpr10_vgpr11
                                        ; implicit-def: $vgpr12_vgpr13
.LBB244_23:
	s_andn2_saveexec_b64 s[0:1], s[0:1]
	s_cbranch_execz .LBB244_25
; %bb.24:
	v_lshlrev_b32_e32 v8, 1, v8
	v_ashrrev_i32_e32 v9, 31, v8
	s_waitcnt lgkmcnt(0)
	v_lshl_add_u64 v[26:27], v[8:9], 4, s[2:3]
	global_load_dwordx4 v[18:21], v[26:27], off
	global_load_dwordx4 v[22:25], v[26:27], off offset:16
	v_mul_f64 v[28:29], v[16:17], -v[2:3]
	v_mul_f64 v[16:17], v[0:1], v[16:17]
	v_mul_f64 v[30:31], v[12:13], -v[2:3]
	v_mul_f64 v[8:9], v[0:1], v[12:13]
	v_fmac_f64_e32 v[28:29], v[0:1], v[14:15]
	v_fmac_f64_e32 v[16:17], v[2:3], v[14:15]
	;; [unrolled: 1-line block ×4, first 2 shown]
	s_waitcnt vmcnt(1)
	v_fmac_f64_e32 v[28:29], v[4:5], v[18:19]
	v_fmac_f64_e32 v[16:17], v[6:7], v[18:19]
	s_waitcnt vmcnt(0)
	v_fmac_f64_e32 v[30:31], v[4:5], v[22:23]
	v_fmac_f64_e32 v[8:9], v[6:7], v[22:23]
	v_fma_f64 v[14:15], -v[6:7], v[20:21], v[28:29]
	v_fmac_f64_e32 v[16:17], v[4:5], v[20:21]
	v_fma_f64 v[6:7], -v[6:7], v[24:25], v[30:31]
	v_fmac_f64_e32 v[8:9], v[4:5], v[24:25]
	global_store_dwordx4 v[26:27], v[14:17], off
	global_store_dwordx4 v[26:27], v[6:9], off offset:16
.LBB244_25:
	s_endpgm
	.section	.rodata,"a",@progbits
	.p2align	6, 0x0
	.amdhsa_kernel _ZN9rocsparseL19gebsrmvn_2xn_kernelILj128ELj5ELj8E21rocsparse_complex_numIdEEEvi20rocsparse_direction_NS_24const_host_device_scalarIT2_EEPKiS8_PKS5_SA_S6_PS5_21rocsparse_index_base_b
		.amdhsa_group_segment_fixed_size 2048
		.amdhsa_private_segment_fixed_size 0
		.amdhsa_kernarg_size 88
		.amdhsa_user_sgpr_count 4
		.amdhsa_user_sgpr_dispatch_ptr 1
		.amdhsa_user_sgpr_queue_ptr 0
		.amdhsa_user_sgpr_kernarg_segment_ptr 1
		.amdhsa_user_sgpr_dispatch_id 0
		.amdhsa_user_sgpr_kernarg_preload_length 0
		.amdhsa_user_sgpr_kernarg_preload_offset 0
		.amdhsa_user_sgpr_private_segment_size 0
		.amdhsa_uses_dynamic_stack 0
		.amdhsa_enable_private_segment 0
		.amdhsa_system_sgpr_workgroup_id_x 1
		.amdhsa_system_sgpr_workgroup_id_y 0
		.amdhsa_system_sgpr_workgroup_id_z 0
		.amdhsa_system_sgpr_workgroup_info 0
		.amdhsa_system_vgpr_workitem_id 2
		.amdhsa_next_free_vgpr 88
		.amdhsa_next_free_sgpr 20
		.amdhsa_accum_offset 88
		.amdhsa_reserve_vcc 1
		.amdhsa_float_round_mode_32 0
		.amdhsa_float_round_mode_16_64 0
		.amdhsa_float_denorm_mode_32 3
		.amdhsa_float_denorm_mode_16_64 3
		.amdhsa_dx10_clamp 1
		.amdhsa_ieee_mode 1
		.amdhsa_fp16_overflow 0
		.amdhsa_tg_split 0
		.amdhsa_exception_fp_ieee_invalid_op 0
		.amdhsa_exception_fp_denorm_src 0
		.amdhsa_exception_fp_ieee_div_zero 0
		.amdhsa_exception_fp_ieee_overflow 0
		.amdhsa_exception_fp_ieee_underflow 0
		.amdhsa_exception_fp_ieee_inexact 0
		.amdhsa_exception_int_div_zero 0
	.end_amdhsa_kernel
	.section	.text._ZN9rocsparseL19gebsrmvn_2xn_kernelILj128ELj5ELj8E21rocsparse_complex_numIdEEEvi20rocsparse_direction_NS_24const_host_device_scalarIT2_EEPKiS8_PKS5_SA_S6_PS5_21rocsparse_index_base_b,"axG",@progbits,_ZN9rocsparseL19gebsrmvn_2xn_kernelILj128ELj5ELj8E21rocsparse_complex_numIdEEEvi20rocsparse_direction_NS_24const_host_device_scalarIT2_EEPKiS8_PKS5_SA_S6_PS5_21rocsparse_index_base_b,comdat
.Lfunc_end244:
	.size	_ZN9rocsparseL19gebsrmvn_2xn_kernelILj128ELj5ELj8E21rocsparse_complex_numIdEEEvi20rocsparse_direction_NS_24const_host_device_scalarIT2_EEPKiS8_PKS5_SA_S6_PS5_21rocsparse_index_base_b, .Lfunc_end244-_ZN9rocsparseL19gebsrmvn_2xn_kernelILj128ELj5ELj8E21rocsparse_complex_numIdEEEvi20rocsparse_direction_NS_24const_host_device_scalarIT2_EEPKiS8_PKS5_SA_S6_PS5_21rocsparse_index_base_b
                                        ; -- End function
	.section	.AMDGPU.csdata,"",@progbits
; Kernel info:
; codeLenInByte = 2248
; NumSgprs: 26
; NumVgprs: 88
; NumAgprs: 0
; TotalNumVgprs: 88
; ScratchSize: 0
; MemoryBound: 0
; FloatMode: 240
; IeeeMode: 1
; LDSByteSize: 2048 bytes/workgroup (compile time only)
; SGPRBlocks: 3
; VGPRBlocks: 10
; NumSGPRsForWavesPerEU: 26
; NumVGPRsForWavesPerEU: 88
; AccumOffset: 88
; Occupancy: 5
; WaveLimiterHint : 1
; COMPUTE_PGM_RSRC2:SCRATCH_EN: 0
; COMPUTE_PGM_RSRC2:USER_SGPR: 4
; COMPUTE_PGM_RSRC2:TRAP_HANDLER: 0
; COMPUTE_PGM_RSRC2:TGID_X_EN: 1
; COMPUTE_PGM_RSRC2:TGID_Y_EN: 0
; COMPUTE_PGM_RSRC2:TGID_Z_EN: 0
; COMPUTE_PGM_RSRC2:TIDIG_COMP_CNT: 2
; COMPUTE_PGM_RSRC3_GFX90A:ACCUM_OFFSET: 21
; COMPUTE_PGM_RSRC3_GFX90A:TG_SPLIT: 0
	.section	.text._ZN9rocsparseL19gebsrmvn_2xn_kernelILj128ELj5ELj16E21rocsparse_complex_numIdEEEvi20rocsparse_direction_NS_24const_host_device_scalarIT2_EEPKiS8_PKS5_SA_S6_PS5_21rocsparse_index_base_b,"axG",@progbits,_ZN9rocsparseL19gebsrmvn_2xn_kernelILj128ELj5ELj16E21rocsparse_complex_numIdEEEvi20rocsparse_direction_NS_24const_host_device_scalarIT2_EEPKiS8_PKS5_SA_S6_PS5_21rocsparse_index_base_b,comdat
	.globl	_ZN9rocsparseL19gebsrmvn_2xn_kernelILj128ELj5ELj16E21rocsparse_complex_numIdEEEvi20rocsparse_direction_NS_24const_host_device_scalarIT2_EEPKiS8_PKS5_SA_S6_PS5_21rocsparse_index_base_b ; -- Begin function _ZN9rocsparseL19gebsrmvn_2xn_kernelILj128ELj5ELj16E21rocsparse_complex_numIdEEEvi20rocsparse_direction_NS_24const_host_device_scalarIT2_EEPKiS8_PKS5_SA_S6_PS5_21rocsparse_index_base_b
	.p2align	8
	.type	_ZN9rocsparseL19gebsrmvn_2xn_kernelILj128ELj5ELj16E21rocsparse_complex_numIdEEEvi20rocsparse_direction_NS_24const_host_device_scalarIT2_EEPKiS8_PKS5_SA_S6_PS5_21rocsparse_index_base_b,@function
_ZN9rocsparseL19gebsrmvn_2xn_kernelILj128ELj5ELj16E21rocsparse_complex_numIdEEEvi20rocsparse_direction_NS_24const_host_device_scalarIT2_EEPKiS8_PKS5_SA_S6_PS5_21rocsparse_index_base_b: ; @_ZN9rocsparseL19gebsrmvn_2xn_kernelILj128ELj5ELj16E21rocsparse_complex_numIdEEEvi20rocsparse_direction_NS_24const_host_device_scalarIT2_EEPKiS8_PKS5_SA_S6_PS5_21rocsparse_index_base_b
; %bb.0:
	s_load_dwordx2 s[16:17], s[2:3], 0x50
	s_load_dwordx4 s[12:15], s[2:3], 0x8
	s_load_dwordx4 s[8:11], s[2:3], 0x38
	s_load_dwordx2 s[18:19], s[0:1], 0x4
	s_mov_b64 s[6:7], src_shared_base
	s_waitcnt lgkmcnt(0)
	s_bitcmp1_b32 s17, 0
	s_cselect_b64 s[0:1], -1, 0
	s_and_b64 vcc, s[0:1], exec
	s_cselect_b32 s5, s7, s13
	s_lshr_b32 s6, s18, 16
	v_bfe_u32 v1, v0, 10, 10
	v_and_b32_e32 v10, 0x3ff, v0
	s_mul_i32 s6, s6, s19
	v_mul_u32_u24_e32 v1, s19, v1
	v_mad_u32_u24 v1, s6, v10, v1
	v_bfe_u32 v0, v0, 20, 10
	v_add_lshl_u32 v4, v1, v0, 3
	v_mov_b32_e32 v5, s12
	v_add_u32_e32 v6, 0x400, v4
	v_mov_b64_e32 v[0:1], s[12:13]
	v_mov_b64_e32 v[2:3], s[8:9]
	ds_write2st64_b64 v4, v[2:3], v[0:1] offset1:2
	v_cndmask_b32_e64 v0, v5, v6, s[0:1]
	v_mov_b32_e32 v1, s5
	flat_load_dwordx2 v[0:1], v[0:1]
	s_xor_b64 s[18:19], s[0:1], -1
	v_mov_b64_e32 v[2:3], s[14:15]
	s_cbranch_vccnz .LBB245_2
; %bb.1:
	v_mov_b64_e32 v[2:3], s[12:13]
	flat_load_dwordx2 v[2:3], v[2:3] offset:8
.LBB245_2:
	s_and_b64 s[12:13], s[0:1], exec
	s_cselect_b32 s5, s7, s9
	v_mov_b32_e32 v5, s8
	v_cndmask_b32_e64 v4, v5, v4, s[0:1]
	v_mov_b32_e32 v5, s5
	flat_load_dwordx2 v[4:5], v[4:5]
	s_andn2_b64 vcc, exec, s[18:19]
	v_mov_b64_e32 v[6:7], s[10:11]
	s_cbranch_vccnz .LBB245_4
; %bb.3:
	v_mov_b64_e32 v[6:7], s[8:9]
	flat_load_dwordx2 v[6:7], v[6:7] offset:8
.LBB245_4:
	s_waitcnt vmcnt(0) lgkmcnt(0)
	v_cmp_eq_f64_e32 vcc, 0, v[0:1]
	v_cmp_eq_f64_e64 s[0:1], 0, v[2:3]
	s_and_b64 s[8:9], vcc, s[0:1]
	s_mov_b64 s[0:1], -1
	s_and_saveexec_b64 s[6:7], s[8:9]
; %bb.5:
	v_cmp_neq_f64_e32 vcc, 1.0, v[4:5]
	v_cmp_neq_f64_e64 s[0:1], 0, v[6:7]
	s_or_b64 s[0:1], vcc, s[0:1]
	s_orn2_b64 s[0:1], s[0:1], exec
; %bb.6:
	s_or_b64 exec, exec, s[6:7]
	s_and_saveexec_b64 s[6:7], s[0:1]
	s_cbranch_execz .LBB245_25
; %bb.7:
	s_load_dwordx2 s[0:1], s[2:3], 0x0
	v_lshrrev_b32_e32 v8, 4, v10
	v_lshl_or_b32 v8, s4, 3, v8
	s_waitcnt lgkmcnt(0)
	v_cmp_gt_i32_e32 vcc, s0, v8
	s_and_b64 exec, exec, vcc
	s_cbranch_execz .LBB245_25
; %bb.8:
	s_load_dwordx8 s[4:11], s[2:3], 0x18
	v_ashrrev_i32_e32 v9, 31, v8
	s_cmp_lg_u32 s1, 0
	s_waitcnt lgkmcnt(0)
	v_lshl_add_u64 v[12:13], v[8:9], 2, s[4:5]
	global_load_dwordx2 v[12:13], v[12:13], off
	v_and_b32_e32 v9, 15, v10
	s_waitcnt vmcnt(0)
	v_subrev_u32_e32 v10, s16, v12
	v_subrev_u32_e32 v26, s16, v13
	v_add_u32_e32 v14, v10, v9
	v_cmp_lt_i32_e64 s[0:1], v14, v26
	s_cbranch_scc0 .LBB245_14
; %bb.9:
	v_mov_b64_e32 v[12:13], 0
	s_mov_b64 s[4:5], 0
	v_mov_b64_e32 v[18:19], v[12:13]
	v_mov_b64_e32 v[16:17], v[12:13]
	;; [unrolled: 1-line block ×3, first 2 shown]
	s_and_saveexec_b64 s[12:13], s[0:1]
	s_cbranch_execz .LBB245_13
; %bb.10:
	v_mad_u64_u32 v[20:21], s[14:15], v14, 10, 8
	v_mov_b64_e32 v[12:13], 0
	s_mov_b64 s[14:15], 0
	v_mov_b32_e32 v23, 0
	v_mov_b32_e32 v24, v14
	v_mov_b64_e32 v[18:19], v[12:13]
	v_mov_b64_e32 v[16:17], v[12:13]
	;; [unrolled: 1-line block ×3, first 2 shown]
.LBB245_11:                             ; =>This Inner Loop Header: Depth=1
	v_ashrrev_i32_e32 v25, 31, v24
	v_lshl_add_u64 v[28:29], v[24:25], 2, s[6:7]
	global_load_dword v15, v[28:29], off
	v_add_u32_e32 v22, -8, v20
	v_mov_b32_e32 v21, v23
	v_mov_b32_e32 v81, v23
	v_lshl_add_u64 v[36:37], v[22:23], 4, s[8:9]
	v_add_u32_e32 v22, -6, v20
	v_lshl_add_u64 v[52:53], v[20:21], 4, s[8:9]
	global_load_dwordx4 v[28:31], v[36:37], off offset:16
	global_load_dwordx4 v[32:35], v[36:37], off
	v_lshl_add_u64 v[54:55], v[22:23], 4, s[8:9]
	global_load_dwordx4 v[36:39], v[52:53], off offset:16
	global_load_dwordx4 v[40:43], v[52:53], off
	global_load_dwordx4 v[44:47], v[54:55], off offset:16
	global_load_dwordx4 v[48:51], v[54:55], off
	v_add_u32_e32 v24, 16, v24
	v_cmp_ge_i32_e32 vcc, v24, v26
	s_or_b64 s[14:15], vcc, s[14:15]
	s_waitcnt vmcnt(6)
	v_subrev_u32_e32 v15, s16, v15
	v_lshl_add_u32 v80, v15, 2, v15
	v_lshl_add_u64 v[52:53], v[80:81], 4, s[10:11]
	v_add_u32_e32 v22, 1, v80
	global_load_dwordx4 v[52:55], v[52:53], off
	v_lshl_add_u64 v[56:57], v[22:23], 4, s[10:11]
	global_load_dwordx4 v[56:59], v[56:57], off
	v_add_u32_e32 v22, -4, v20
	v_lshl_add_u64 v[68:69], v[22:23], 4, s[8:9]
	v_add_u32_e32 v22, 2, v80
	global_load_dwordx4 v[60:63], v[68:69], off offset:16
	global_load_dwordx4 v[64:67], v[68:69], off
	v_lshl_add_u64 v[68:69], v[22:23], 4, s[10:11]
	v_add_u32_e32 v22, -2, v20
	global_load_dwordx4 v[68:71], v[68:69], off
	v_lshl_add_u64 v[82:83], v[22:23], 4, s[8:9]
	v_add_u32_e32 v22, 3, v80
	global_load_dwordx4 v[72:75], v[82:83], off offset:16
	global_load_dwordx4 v[76:79], v[82:83], off
	v_lshl_add_u64 v[82:83], v[22:23], 4, s[10:11]
	v_add_u32_e32 v22, 4, v80
	global_load_dwordx4 v[80:83], v[82:83], off
	v_lshl_add_u64 v[84:85], v[22:23], 4, s[10:11]
	global_load_dwordx4 v[84:87], v[84:85], off
	v_add_u32_e32 v20, 0xa0, v20
	s_waitcnt vmcnt(8)
	v_fmac_f64_e32 v[18:19], v[32:33], v[52:53]
	v_fmac_f64_e32 v[12:13], v[34:35], v[52:53]
	v_fmac_f64_e32 v[16:17], v[28:29], v[52:53]
	v_fmac_f64_e32 v[10:11], v[30:31], v[52:53]
	v_fma_f64 v[18:19], -v[34:35], v[54:55], v[18:19]
	v_fmac_f64_e32 v[12:13], v[32:33], v[54:55]
	v_fma_f64 v[16:17], -v[30:31], v[54:55], v[16:17]
	v_fmac_f64_e32 v[10:11], v[28:29], v[54:55]
	s_waitcnt vmcnt(7)
	v_fmac_f64_e32 v[18:19], v[48:49], v[56:57]
	v_fmac_f64_e32 v[12:13], v[50:51], v[56:57]
	v_fmac_f64_e32 v[16:17], v[44:45], v[56:57]
	v_fmac_f64_e32 v[10:11], v[46:47], v[56:57]
	v_fma_f64 v[18:19], -v[50:51], v[58:59], v[18:19]
	v_fmac_f64_e32 v[12:13], v[48:49], v[58:59]
	v_fma_f64 v[16:17], -v[46:47], v[58:59], v[16:17]
	v_fmac_f64_e32 v[10:11], v[44:45], v[58:59]
	;; [unrolled: 9-line block ×5, first 2 shown]
	s_andn2_b64 exec, exec, s[14:15]
	s_cbranch_execnz .LBB245_11
; %bb.12:
	s_or_b64 exec, exec, s[14:15]
.LBB245_13:
	s_or_b64 exec, exec, s[12:13]
	s_andn2_b64 vcc, exec, s[4:5]
	s_cbranch_vccz .LBB245_15
	s_branch .LBB245_20
.LBB245_14:
                                        ; implicit-def: $vgpr12_vgpr13
                                        ; implicit-def: $vgpr18_vgpr19
                                        ; implicit-def: $vgpr16_vgpr17
                                        ; implicit-def: $vgpr10_vgpr11
.LBB245_15:
	v_mov_b64_e32 v[12:13], 0
	v_mov_b64_e32 v[18:19], v[12:13]
	;; [unrolled: 1-line block ×4, first 2 shown]
	s_and_saveexec_b64 s[4:5], s[0:1]
	s_cbranch_execz .LBB245_19
; %bb.16:
	v_mad_u64_u32 v[20:21], s[0:1], v14, 10, 9
	v_mov_b64_e32 v[12:13], 0
	s_mov_b64 s[0:1], 0
	v_mov_b32_e32 v23, 0
	v_mov_b64_e32 v[18:19], v[12:13]
	v_mov_b64_e32 v[16:17], v[12:13]
	;; [unrolled: 1-line block ×3, first 2 shown]
.LBB245_17:                             ; =>This Inner Loop Header: Depth=1
	v_ashrrev_i32_e32 v15, 31, v14
	v_add_u32_e32 v22, -9, v20
	v_add_u32_e32 v28, -4, v20
	v_mov_b32_e32 v29, v23
	v_mov_b32_e32 v21, v23
	v_lshl_add_u64 v[44:45], v[14:15], 2, s[6:7]
	v_lshl_add_u64 v[46:47], v[22:23], 4, s[8:9]
	;; [unrolled: 1-line block ×4, first 2 shown]
	global_load_dword v15, v[44:45], off
	global_load_dwordx4 v[28:31], v[46:47], off offset:16
	global_load_dwordx4 v[32:35], v[46:47], off
	global_load_dwordx4 v[36:39], v[48:49], off
	;; [unrolled: 1-line block ×3, first 2 shown]
	v_mov_b32_e32 v25, v23
	v_add_u32_e32 v14, 16, v14
	v_cmp_ge_i32_e32 vcc, v14, v26
	s_or_b64 s[0:1], vcc, s[0:1]
	s_waitcnt vmcnt(4)
	v_subrev_u32_e32 v15, s16, v15
	v_lshl_add_u32 v24, v15, 2, v15
	v_lshl_add_u64 v[44:45], v[24:25], 4, s[10:11]
	global_load_dwordx4 v[44:47], v[44:45], off
	v_add_u32_e32 v22, 1, v24
	v_lshl_add_u64 v[48:49], v[22:23], 4, s[10:11]
	global_load_dwordx4 v[48:51], v[48:49], off
	v_add_u32_e32 v22, -3, v20
	v_lshl_add_u64 v[60:61], v[22:23], 4, s[8:9]
	v_add_u32_e32 v22, -7, v20
	v_lshl_add_u64 v[62:63], v[22:23], 4, s[8:9]
	v_add_u32_e32 v22, 2, v24
	global_load_dwordx4 v[52:55], v[60:61], off
	global_load_dwordx4 v[56:59], v[62:63], off
	v_lshl_add_u64 v[60:61], v[22:23], 4, s[10:11]
	v_add_u32_e32 v22, -2, v20
	v_lshl_add_u64 v[72:73], v[22:23], 4, s[8:9]
	v_add_u32_e32 v22, -6, v20
	v_lshl_add_u64 v[74:75], v[22:23], 4, s[8:9]
	v_add_u32_e32 v22, 3, v24
	global_load_dwordx4 v[60:63], v[60:61], off
	s_nop 0
	global_load_dwordx4 v[64:67], v[72:73], off
	global_load_dwordx4 v[68:71], v[74:75], off
	v_lshl_add_u64 v[72:73], v[22:23], 4, s[10:11]
	v_add_u32_e32 v22, -1, v20
	v_lshl_add_u64 v[80:81], v[22:23], 4, s[8:9]
	v_add_u32_e32 v22, -5, v20
	v_lshl_add_u64 v[82:83], v[22:23], 4, s[8:9]
	v_add_u32_e32 v22, 4, v24
	global_load_dwordx4 v[72:75], v[72:73], off
	v_lshl_add_u64 v[24:25], v[22:23], 4, s[10:11]
	v_add_u32_e32 v20, 0xa0, v20
	s_waitcnt vmcnt(7)
	v_fmac_f64_e32 v[18:19], v[32:33], v[44:45]
	v_fmac_f64_e32 v[12:13], v[34:35], v[44:45]
	v_fma_f64 v[18:19], -v[34:35], v[46:47], v[18:19]
	v_fmac_f64_e32 v[12:13], v[32:33], v[46:47]
	global_load_dwordx4 v[32:35], v[80:81], off
	global_load_dwordx4 v[76:79], v[82:83], off
	v_fmac_f64_e32 v[16:17], v[36:37], v[44:45]
	v_fmac_f64_e32 v[10:11], v[38:39], v[44:45]
	v_fma_f64 v[16:17], -v[38:39], v[46:47], v[16:17]
	v_fmac_f64_e32 v[10:11], v[36:37], v[46:47]
	global_load_dwordx4 v[36:39], v[24:25], off
	s_waitcnt vmcnt(9)
	v_fmac_f64_e32 v[18:19], v[28:29], v[48:49]
	v_fmac_f64_e32 v[12:13], v[30:31], v[48:49]
	s_waitcnt vmcnt(8)
	v_fmac_f64_e32 v[16:17], v[52:53], v[48:49]
	v_fmac_f64_e32 v[10:11], v[54:55], v[48:49]
	v_fma_f64 v[18:19], -v[30:31], v[50:51], v[18:19]
	v_fmac_f64_e32 v[12:13], v[28:29], v[50:51]
	v_fma_f64 v[16:17], -v[54:55], v[50:51], v[16:17]
	v_fmac_f64_e32 v[10:11], v[52:53], v[50:51]
	s_waitcnt vmcnt(6)
	v_fmac_f64_e32 v[18:19], v[56:57], v[60:61]
	v_fmac_f64_e32 v[12:13], v[58:59], v[60:61]
	s_waitcnt vmcnt(5)
	v_fmac_f64_e32 v[16:17], v[64:65], v[60:61]
	v_fmac_f64_e32 v[10:11], v[66:67], v[60:61]
	v_fma_f64 v[18:19], -v[58:59], v[62:63], v[18:19]
	v_fmac_f64_e32 v[12:13], v[56:57], v[62:63]
	v_fma_f64 v[16:17], -v[66:67], v[62:63], v[16:17]
	v_fmac_f64_e32 v[10:11], v[64:65], v[62:63]
	s_waitcnt vmcnt(3)
	v_fmac_f64_e32 v[18:19], v[68:69], v[72:73]
	v_fmac_f64_e32 v[12:13], v[70:71], v[72:73]
	v_fma_f64 v[18:19], -v[70:71], v[74:75], v[18:19]
	v_fmac_f64_e32 v[12:13], v[68:69], v[74:75]
	s_waitcnt vmcnt(2)
	v_fmac_f64_e32 v[16:17], v[32:33], v[72:73]
	;; [unrolled: 5-line block ×3, first 2 shown]
	v_fmac_f64_e32 v[12:13], v[78:79], v[36:37]
	v_fmac_f64_e32 v[16:17], v[40:41], v[36:37]
	;; [unrolled: 1-line block ×3, first 2 shown]
	v_fma_f64 v[18:19], -v[78:79], v[38:39], v[18:19]
	v_fmac_f64_e32 v[12:13], v[76:77], v[38:39]
	v_fma_f64 v[16:17], -v[42:43], v[38:39], v[16:17]
	v_fmac_f64_e32 v[10:11], v[40:41], v[38:39]
	s_andn2_b64 exec, exec, s[0:1]
	s_cbranch_execnz .LBB245_17
; %bb.18:
	s_or_b64 exec, exec, s[0:1]
.LBB245_19:
	s_or_b64 exec, exec, s[4:5]
.LBB245_20:
	v_mov_b32_dpp v22, v16 row_shr:1 row_mask:0xf bank_mask:0xf
	v_mov_b32_dpp v23, v17 row_shr:1 row_mask:0xf bank_mask:0xf
	v_add_f64 v[16:17], v[16:17], v[22:23]
	v_mov_b32_dpp v14, v18 row_shr:1 row_mask:0xf bank_mask:0xf
	v_mov_b32_dpp v15, v19 row_shr:1 row_mask:0xf bank_mask:0xf
	v_mov_b32_dpp v22, v16 row_shr:2 row_mask:0xf bank_mask:0xf
	v_mov_b32_dpp v23, v17 row_shr:2 row_mask:0xf bank_mask:0xf
	v_add_f64 v[16:17], v[16:17], v[22:23]
	v_mov_b32_dpp v20, v12 row_shr:1 row_mask:0xf bank_mask:0xf
	v_mov_b32_dpp v21, v13 row_shr:1 row_mask:0xf bank_mask:0xf
	;; [unrolled: 5-line block ×3, first 2 shown]
	v_add_f64 v[14:15], v[18:19], v[14:15]
	v_add_f64 v[12:13], v[12:13], v[20:21]
	v_add_f64 v[10:11], v[10:11], v[16:17]
	v_mov_b32_dpp v18, v14 row_shr:2 row_mask:0xf bank_mask:0xf
	v_mov_b32_dpp v19, v15 row_shr:2 row_mask:0xf bank_mask:0xf
	v_mov_b32_dpp v20, v12 row_shr:2 row_mask:0xf bank_mask:0xf
	v_mov_b32_dpp v21, v13 row_shr:2 row_mask:0xf bank_mask:0xf
	v_mov_b32_dpp v16, v10 row_shr:2 row_mask:0xf bank_mask:0xf
	v_mov_b32_dpp v17, v11 row_shr:2 row_mask:0xf bank_mask:0xf
	v_add_f64 v[14:15], v[14:15], v[18:19]
	v_add_f64 v[12:13], v[12:13], v[20:21]
	v_add_f64 v[10:11], v[10:11], v[16:17]
	v_mov_b32_dpp v18, v14 row_shr:4 row_mask:0xf bank_mask:0xe
	v_mov_b32_dpp v19, v15 row_shr:4 row_mask:0xf bank_mask:0xe
	v_mov_b32_dpp v20, v12 row_shr:4 row_mask:0xf bank_mask:0xe
	v_mov_b32_dpp v21, v13 row_shr:4 row_mask:0xf bank_mask:0xe
	v_mov_b32_dpp v16, v10 row_shr:4 row_mask:0xf bank_mask:0xe
	v_mov_b32_dpp v17, v11 row_shr:4 row_mask:0xf bank_mask:0xe
	;; [unrolled: 9-line block ×3, first 2 shown]
	v_mov_b32_dpp v28, v26 row_shr:8 row_mask:0xf bank_mask:0xc
	v_mov_b32_dpp v29, v27 row_shr:8 row_mask:0xf bank_mask:0xc
	v_cmp_eq_u32_e32 vcc, 15, v9
	s_and_b64 exec, exec, vcc
	s_cbranch_execz .LBB245_25
; %bb.21:
	s_load_dwordx2 s[2:3], s[2:3], 0x48
	v_cmp_eq_f64_e32 vcc, 0, v[4:5]
	v_cmp_eq_f64_e64 s[0:1], 0, v[6:7]
	v_add_f64 v[14:15], v[14:15], v[18:19]
	v_add_f64 v[16:17], v[12:13], v[20:21]
	v_add_f64 v[10:11], v[22:23], v[24:25]
	v_add_f64 v[12:13], v[26:27], v[28:29]
	s_and_b64 s[0:1], vcc, s[0:1]
	s_and_saveexec_b64 s[4:5], s[0:1]
	s_xor_b64 s[0:1], exec, s[4:5]
	s_cbranch_execz .LBB245_23
; %bb.22:
	v_lshlrev_b32_e32 v8, 1, v8
	v_mul_f64 v[4:5], v[16:17], -v[2:3]
	v_mul_f64 v[6:7], v[0:1], v[16:17]
	v_ashrrev_i32_e32 v9, 31, v8
	v_fmac_f64_e32 v[4:5], v[0:1], v[14:15]
	v_fmac_f64_e32 v[6:7], v[2:3], v[14:15]
	s_waitcnt lgkmcnt(0)
	v_lshl_add_u64 v[8:9], v[8:9], 4, s[2:3]
	global_store_dwordx4 v[8:9], v[4:7], off
                                        ; implicit-def: $vgpr14_vgpr15
                                        ; implicit-def: $vgpr16_vgpr17
	s_nop 1
	v_mul_f64 v[4:5], v[12:13], -v[2:3]
	v_mul_f64 v[6:7], v[0:1], v[12:13]
	v_fmac_f64_e32 v[4:5], v[0:1], v[10:11]
	v_fmac_f64_e32 v[6:7], v[2:3], v[10:11]
	global_store_dwordx4 v[8:9], v[4:7], off offset:16
                                        ; implicit-def: $vgpr0_vgpr1
                                        ; implicit-def: $vgpr2_vgpr3
                                        ; implicit-def: $vgpr4_vgpr5
                                        ; implicit-def: $vgpr6_vgpr7
                                        ; implicit-def: $vgpr8
                                        ; implicit-def: $vgpr10_vgpr11
                                        ; implicit-def: $vgpr12_vgpr13
.LBB245_23:
	s_andn2_saveexec_b64 s[0:1], s[0:1]
	s_cbranch_execz .LBB245_25
; %bb.24:
	v_lshlrev_b32_e32 v8, 1, v8
	v_ashrrev_i32_e32 v9, 31, v8
	s_waitcnt lgkmcnt(0)
	v_lshl_add_u64 v[26:27], v[8:9], 4, s[2:3]
	global_load_dwordx4 v[18:21], v[26:27], off
	global_load_dwordx4 v[22:25], v[26:27], off offset:16
	v_mul_f64 v[28:29], v[16:17], -v[2:3]
	v_mul_f64 v[16:17], v[0:1], v[16:17]
	v_mul_f64 v[30:31], v[12:13], -v[2:3]
	v_mul_f64 v[8:9], v[0:1], v[12:13]
	v_fmac_f64_e32 v[28:29], v[0:1], v[14:15]
	v_fmac_f64_e32 v[16:17], v[2:3], v[14:15]
	v_fmac_f64_e32 v[30:31], v[0:1], v[10:11]
	v_fmac_f64_e32 v[8:9], v[2:3], v[10:11]
	s_waitcnt vmcnt(1)
	v_fmac_f64_e32 v[28:29], v[4:5], v[18:19]
	v_fmac_f64_e32 v[16:17], v[6:7], v[18:19]
	s_waitcnt vmcnt(0)
	v_fmac_f64_e32 v[30:31], v[4:5], v[22:23]
	v_fmac_f64_e32 v[8:9], v[6:7], v[22:23]
	v_fma_f64 v[14:15], -v[6:7], v[20:21], v[28:29]
	v_fmac_f64_e32 v[16:17], v[4:5], v[20:21]
	v_fma_f64 v[6:7], -v[6:7], v[24:25], v[30:31]
	v_fmac_f64_e32 v[8:9], v[4:5], v[24:25]
	global_store_dwordx4 v[26:27], v[14:17], off
	global_store_dwordx4 v[26:27], v[6:9], off offset:16
.LBB245_25:
	s_endpgm
	.section	.rodata,"a",@progbits
	.p2align	6, 0x0
	.amdhsa_kernel _ZN9rocsparseL19gebsrmvn_2xn_kernelILj128ELj5ELj16E21rocsparse_complex_numIdEEEvi20rocsparse_direction_NS_24const_host_device_scalarIT2_EEPKiS8_PKS5_SA_S6_PS5_21rocsparse_index_base_b
		.amdhsa_group_segment_fixed_size 2048
		.amdhsa_private_segment_fixed_size 0
		.amdhsa_kernarg_size 88
		.amdhsa_user_sgpr_count 4
		.amdhsa_user_sgpr_dispatch_ptr 1
		.amdhsa_user_sgpr_queue_ptr 0
		.amdhsa_user_sgpr_kernarg_segment_ptr 1
		.amdhsa_user_sgpr_dispatch_id 0
		.amdhsa_user_sgpr_kernarg_preload_length 0
		.amdhsa_user_sgpr_kernarg_preload_offset 0
		.amdhsa_user_sgpr_private_segment_size 0
		.amdhsa_uses_dynamic_stack 0
		.amdhsa_enable_private_segment 0
		.amdhsa_system_sgpr_workgroup_id_x 1
		.amdhsa_system_sgpr_workgroup_id_y 0
		.amdhsa_system_sgpr_workgroup_id_z 0
		.amdhsa_system_sgpr_workgroup_info 0
		.amdhsa_system_vgpr_workitem_id 2
		.amdhsa_next_free_vgpr 88
		.amdhsa_next_free_sgpr 20
		.amdhsa_accum_offset 88
		.amdhsa_reserve_vcc 1
		.amdhsa_float_round_mode_32 0
		.amdhsa_float_round_mode_16_64 0
		.amdhsa_float_denorm_mode_32 3
		.amdhsa_float_denorm_mode_16_64 3
		.amdhsa_dx10_clamp 1
		.amdhsa_ieee_mode 1
		.amdhsa_fp16_overflow 0
		.amdhsa_tg_split 0
		.amdhsa_exception_fp_ieee_invalid_op 0
		.amdhsa_exception_fp_denorm_src 0
		.amdhsa_exception_fp_ieee_div_zero 0
		.amdhsa_exception_fp_ieee_overflow 0
		.amdhsa_exception_fp_ieee_underflow 0
		.amdhsa_exception_fp_ieee_inexact 0
		.amdhsa_exception_int_div_zero 0
	.end_amdhsa_kernel
	.section	.text._ZN9rocsparseL19gebsrmvn_2xn_kernelILj128ELj5ELj16E21rocsparse_complex_numIdEEEvi20rocsparse_direction_NS_24const_host_device_scalarIT2_EEPKiS8_PKS5_SA_S6_PS5_21rocsparse_index_base_b,"axG",@progbits,_ZN9rocsparseL19gebsrmvn_2xn_kernelILj128ELj5ELj16E21rocsparse_complex_numIdEEEvi20rocsparse_direction_NS_24const_host_device_scalarIT2_EEPKiS8_PKS5_SA_S6_PS5_21rocsparse_index_base_b,comdat
.Lfunc_end245:
	.size	_ZN9rocsparseL19gebsrmvn_2xn_kernelILj128ELj5ELj16E21rocsparse_complex_numIdEEEvi20rocsparse_direction_NS_24const_host_device_scalarIT2_EEPKiS8_PKS5_SA_S6_PS5_21rocsparse_index_base_b, .Lfunc_end245-_ZN9rocsparseL19gebsrmvn_2xn_kernelILj128ELj5ELj16E21rocsparse_complex_numIdEEEvi20rocsparse_direction_NS_24const_host_device_scalarIT2_EEPKiS8_PKS5_SA_S6_PS5_21rocsparse_index_base_b
                                        ; -- End function
	.section	.AMDGPU.csdata,"",@progbits
; Kernel info:
; codeLenInByte = 2344
; NumSgprs: 26
; NumVgprs: 88
; NumAgprs: 0
; TotalNumVgprs: 88
; ScratchSize: 0
; MemoryBound: 0
; FloatMode: 240
; IeeeMode: 1
; LDSByteSize: 2048 bytes/workgroup (compile time only)
; SGPRBlocks: 3
; VGPRBlocks: 10
; NumSGPRsForWavesPerEU: 26
; NumVGPRsForWavesPerEU: 88
; AccumOffset: 88
; Occupancy: 5
; WaveLimiterHint : 1
; COMPUTE_PGM_RSRC2:SCRATCH_EN: 0
; COMPUTE_PGM_RSRC2:USER_SGPR: 4
; COMPUTE_PGM_RSRC2:TRAP_HANDLER: 0
; COMPUTE_PGM_RSRC2:TGID_X_EN: 1
; COMPUTE_PGM_RSRC2:TGID_Y_EN: 0
; COMPUTE_PGM_RSRC2:TGID_Z_EN: 0
; COMPUTE_PGM_RSRC2:TIDIG_COMP_CNT: 2
; COMPUTE_PGM_RSRC3_GFX90A:ACCUM_OFFSET: 21
; COMPUTE_PGM_RSRC3_GFX90A:TG_SPLIT: 0
	.section	.text._ZN9rocsparseL19gebsrmvn_2xn_kernelILj128ELj5ELj32E21rocsparse_complex_numIdEEEvi20rocsparse_direction_NS_24const_host_device_scalarIT2_EEPKiS8_PKS5_SA_S6_PS5_21rocsparse_index_base_b,"axG",@progbits,_ZN9rocsparseL19gebsrmvn_2xn_kernelILj128ELj5ELj32E21rocsparse_complex_numIdEEEvi20rocsparse_direction_NS_24const_host_device_scalarIT2_EEPKiS8_PKS5_SA_S6_PS5_21rocsparse_index_base_b,comdat
	.globl	_ZN9rocsparseL19gebsrmvn_2xn_kernelILj128ELj5ELj32E21rocsparse_complex_numIdEEEvi20rocsparse_direction_NS_24const_host_device_scalarIT2_EEPKiS8_PKS5_SA_S6_PS5_21rocsparse_index_base_b ; -- Begin function _ZN9rocsparseL19gebsrmvn_2xn_kernelILj128ELj5ELj32E21rocsparse_complex_numIdEEEvi20rocsparse_direction_NS_24const_host_device_scalarIT2_EEPKiS8_PKS5_SA_S6_PS5_21rocsparse_index_base_b
	.p2align	8
	.type	_ZN9rocsparseL19gebsrmvn_2xn_kernelILj128ELj5ELj32E21rocsparse_complex_numIdEEEvi20rocsparse_direction_NS_24const_host_device_scalarIT2_EEPKiS8_PKS5_SA_S6_PS5_21rocsparse_index_base_b,@function
_ZN9rocsparseL19gebsrmvn_2xn_kernelILj128ELj5ELj32E21rocsparse_complex_numIdEEEvi20rocsparse_direction_NS_24const_host_device_scalarIT2_EEPKiS8_PKS5_SA_S6_PS5_21rocsparse_index_base_b: ; @_ZN9rocsparseL19gebsrmvn_2xn_kernelILj128ELj5ELj32E21rocsparse_complex_numIdEEEvi20rocsparse_direction_NS_24const_host_device_scalarIT2_EEPKiS8_PKS5_SA_S6_PS5_21rocsparse_index_base_b
; %bb.0:
	s_load_dwordx2 s[16:17], s[2:3], 0x50
	s_load_dwordx4 s[12:15], s[2:3], 0x8
	s_load_dwordx4 s[8:11], s[2:3], 0x38
	s_load_dwordx2 s[18:19], s[0:1], 0x4
	s_mov_b64 s[6:7], src_shared_base
	s_waitcnt lgkmcnt(0)
	s_bitcmp1_b32 s17, 0
	s_cselect_b64 s[0:1], -1, 0
	s_and_b64 vcc, s[0:1], exec
	s_cselect_b32 s5, s7, s13
	s_lshr_b32 s6, s18, 16
	v_bfe_u32 v1, v0, 10, 10
	v_and_b32_e32 v10, 0x3ff, v0
	s_mul_i32 s6, s6, s19
	v_mul_u32_u24_e32 v1, s19, v1
	v_mad_u32_u24 v1, s6, v10, v1
	v_bfe_u32 v0, v0, 20, 10
	v_add_lshl_u32 v4, v1, v0, 3
	v_mov_b32_e32 v5, s12
	v_add_u32_e32 v6, 0x400, v4
	v_mov_b64_e32 v[0:1], s[12:13]
	v_mov_b64_e32 v[2:3], s[8:9]
	ds_write2st64_b64 v4, v[2:3], v[0:1] offset1:2
	v_cndmask_b32_e64 v0, v5, v6, s[0:1]
	v_mov_b32_e32 v1, s5
	flat_load_dwordx2 v[0:1], v[0:1]
	s_xor_b64 s[18:19], s[0:1], -1
	v_mov_b64_e32 v[2:3], s[14:15]
	s_cbranch_vccnz .LBB246_2
; %bb.1:
	v_mov_b64_e32 v[2:3], s[12:13]
	flat_load_dwordx2 v[2:3], v[2:3] offset:8
.LBB246_2:
	s_and_b64 s[12:13], s[0:1], exec
	s_cselect_b32 s5, s7, s9
	v_mov_b32_e32 v5, s8
	v_cndmask_b32_e64 v4, v5, v4, s[0:1]
	v_mov_b32_e32 v5, s5
	flat_load_dwordx2 v[4:5], v[4:5]
	s_andn2_b64 vcc, exec, s[18:19]
	v_mov_b64_e32 v[6:7], s[10:11]
	s_cbranch_vccnz .LBB246_4
; %bb.3:
	v_mov_b64_e32 v[6:7], s[8:9]
	flat_load_dwordx2 v[6:7], v[6:7] offset:8
.LBB246_4:
	s_waitcnt vmcnt(0) lgkmcnt(0)
	v_cmp_eq_f64_e32 vcc, 0, v[0:1]
	v_cmp_eq_f64_e64 s[0:1], 0, v[2:3]
	s_and_b64 s[8:9], vcc, s[0:1]
	s_mov_b64 s[0:1], -1
	s_and_saveexec_b64 s[6:7], s[8:9]
; %bb.5:
	v_cmp_neq_f64_e32 vcc, 1.0, v[4:5]
	v_cmp_neq_f64_e64 s[0:1], 0, v[6:7]
	s_or_b64 s[0:1], vcc, s[0:1]
	s_orn2_b64 s[0:1], s[0:1], exec
; %bb.6:
	s_or_b64 exec, exec, s[6:7]
	s_and_saveexec_b64 s[6:7], s[0:1]
	s_cbranch_execz .LBB246_25
; %bb.7:
	s_load_dwordx2 s[0:1], s[2:3], 0x0
	v_lshrrev_b32_e32 v8, 5, v10
	v_lshl_or_b32 v8, s4, 2, v8
	s_waitcnt lgkmcnt(0)
	v_cmp_gt_i32_e32 vcc, s0, v8
	s_and_b64 exec, exec, vcc
	s_cbranch_execz .LBB246_25
; %bb.8:
	s_load_dwordx8 s[4:11], s[2:3], 0x18
	v_ashrrev_i32_e32 v9, 31, v8
	s_cmp_lg_u32 s1, 0
	s_waitcnt lgkmcnt(0)
	v_lshl_add_u64 v[12:13], v[8:9], 2, s[4:5]
	global_load_dwordx2 v[12:13], v[12:13], off
	v_and_b32_e32 v9, 31, v10
	s_waitcnt vmcnt(0)
	v_subrev_u32_e32 v10, s16, v12
	v_subrev_u32_e32 v26, s16, v13
	v_add_u32_e32 v14, v10, v9
	v_cmp_lt_i32_e64 s[0:1], v14, v26
	s_cbranch_scc0 .LBB246_14
; %bb.9:
	v_mov_b64_e32 v[12:13], 0
	s_mov_b64 s[4:5], 0
	v_mov_b64_e32 v[18:19], v[12:13]
	v_mov_b64_e32 v[16:17], v[12:13]
	;; [unrolled: 1-line block ×3, first 2 shown]
	s_and_saveexec_b64 s[12:13], s[0:1]
	s_cbranch_execz .LBB246_13
; %bb.10:
	v_mad_u64_u32 v[20:21], s[14:15], v14, 10, 8
	v_mov_b64_e32 v[12:13], 0
	s_mov_b64 s[14:15], 0
	v_mov_b32_e32 v23, 0
	v_mov_b32_e32 v24, v14
	v_mov_b64_e32 v[18:19], v[12:13]
	v_mov_b64_e32 v[16:17], v[12:13]
	;; [unrolled: 1-line block ×3, first 2 shown]
.LBB246_11:                             ; =>This Inner Loop Header: Depth=1
	v_ashrrev_i32_e32 v25, 31, v24
	v_lshl_add_u64 v[28:29], v[24:25], 2, s[6:7]
	global_load_dword v15, v[28:29], off
	v_add_u32_e32 v22, -8, v20
	v_mov_b32_e32 v21, v23
	v_mov_b32_e32 v81, v23
	v_lshl_add_u64 v[36:37], v[22:23], 4, s[8:9]
	v_add_u32_e32 v22, -6, v20
	v_lshl_add_u64 v[52:53], v[20:21], 4, s[8:9]
	global_load_dwordx4 v[28:31], v[36:37], off offset:16
	global_load_dwordx4 v[32:35], v[36:37], off
	v_lshl_add_u64 v[54:55], v[22:23], 4, s[8:9]
	global_load_dwordx4 v[36:39], v[52:53], off offset:16
	global_load_dwordx4 v[40:43], v[52:53], off
	global_load_dwordx4 v[44:47], v[54:55], off offset:16
	global_load_dwordx4 v[48:51], v[54:55], off
	v_add_u32_e32 v24, 32, v24
	v_cmp_ge_i32_e32 vcc, v24, v26
	s_or_b64 s[14:15], vcc, s[14:15]
	s_waitcnt vmcnt(6)
	v_subrev_u32_e32 v15, s16, v15
	v_lshl_add_u32 v80, v15, 2, v15
	v_lshl_add_u64 v[52:53], v[80:81], 4, s[10:11]
	v_add_u32_e32 v22, 1, v80
	global_load_dwordx4 v[52:55], v[52:53], off
	v_lshl_add_u64 v[56:57], v[22:23], 4, s[10:11]
	global_load_dwordx4 v[56:59], v[56:57], off
	v_add_u32_e32 v22, -4, v20
	v_lshl_add_u64 v[68:69], v[22:23], 4, s[8:9]
	v_add_u32_e32 v22, 2, v80
	global_load_dwordx4 v[60:63], v[68:69], off offset:16
	global_load_dwordx4 v[64:67], v[68:69], off
	v_lshl_add_u64 v[68:69], v[22:23], 4, s[10:11]
	v_add_u32_e32 v22, -2, v20
	global_load_dwordx4 v[68:71], v[68:69], off
	v_lshl_add_u64 v[82:83], v[22:23], 4, s[8:9]
	v_add_u32_e32 v22, 3, v80
	global_load_dwordx4 v[72:75], v[82:83], off offset:16
	global_load_dwordx4 v[76:79], v[82:83], off
	v_lshl_add_u64 v[82:83], v[22:23], 4, s[10:11]
	v_add_u32_e32 v22, 4, v80
	global_load_dwordx4 v[80:83], v[82:83], off
	v_lshl_add_u64 v[84:85], v[22:23], 4, s[10:11]
	global_load_dwordx4 v[84:87], v[84:85], off
	v_add_u32_e32 v20, 0x140, v20
	s_waitcnt vmcnt(8)
	v_fmac_f64_e32 v[18:19], v[32:33], v[52:53]
	v_fmac_f64_e32 v[12:13], v[34:35], v[52:53]
	v_fmac_f64_e32 v[16:17], v[28:29], v[52:53]
	v_fmac_f64_e32 v[10:11], v[30:31], v[52:53]
	v_fma_f64 v[18:19], -v[34:35], v[54:55], v[18:19]
	v_fmac_f64_e32 v[12:13], v[32:33], v[54:55]
	v_fma_f64 v[16:17], -v[30:31], v[54:55], v[16:17]
	v_fmac_f64_e32 v[10:11], v[28:29], v[54:55]
	s_waitcnt vmcnt(7)
	v_fmac_f64_e32 v[18:19], v[48:49], v[56:57]
	v_fmac_f64_e32 v[12:13], v[50:51], v[56:57]
	v_fmac_f64_e32 v[16:17], v[44:45], v[56:57]
	v_fmac_f64_e32 v[10:11], v[46:47], v[56:57]
	v_fma_f64 v[18:19], -v[50:51], v[58:59], v[18:19]
	v_fmac_f64_e32 v[12:13], v[48:49], v[58:59]
	v_fma_f64 v[16:17], -v[46:47], v[58:59], v[16:17]
	v_fmac_f64_e32 v[10:11], v[44:45], v[58:59]
	;; [unrolled: 9-line block ×5, first 2 shown]
	s_andn2_b64 exec, exec, s[14:15]
	s_cbranch_execnz .LBB246_11
; %bb.12:
	s_or_b64 exec, exec, s[14:15]
.LBB246_13:
	s_or_b64 exec, exec, s[12:13]
	s_andn2_b64 vcc, exec, s[4:5]
	s_cbranch_vccz .LBB246_15
	s_branch .LBB246_20
.LBB246_14:
                                        ; implicit-def: $vgpr12_vgpr13
                                        ; implicit-def: $vgpr18_vgpr19
                                        ; implicit-def: $vgpr16_vgpr17
                                        ; implicit-def: $vgpr10_vgpr11
.LBB246_15:
	v_mov_b64_e32 v[12:13], 0
	v_mov_b64_e32 v[18:19], v[12:13]
	;; [unrolled: 1-line block ×4, first 2 shown]
	s_and_saveexec_b64 s[4:5], s[0:1]
	s_cbranch_execz .LBB246_19
; %bb.16:
	v_mad_u64_u32 v[20:21], s[0:1], v14, 10, 9
	v_mov_b64_e32 v[12:13], 0
	s_mov_b64 s[0:1], 0
	v_mov_b32_e32 v23, 0
	v_mov_b64_e32 v[18:19], v[12:13]
	v_mov_b64_e32 v[16:17], v[12:13]
	;; [unrolled: 1-line block ×3, first 2 shown]
.LBB246_17:                             ; =>This Inner Loop Header: Depth=1
	v_ashrrev_i32_e32 v15, 31, v14
	v_add_u32_e32 v22, -9, v20
	v_add_u32_e32 v28, -4, v20
	v_mov_b32_e32 v29, v23
	v_mov_b32_e32 v21, v23
	v_lshl_add_u64 v[44:45], v[14:15], 2, s[6:7]
	v_lshl_add_u64 v[46:47], v[22:23], 4, s[8:9]
	;; [unrolled: 1-line block ×4, first 2 shown]
	global_load_dword v15, v[44:45], off
	global_load_dwordx4 v[28:31], v[46:47], off offset:16
	global_load_dwordx4 v[32:35], v[46:47], off
	global_load_dwordx4 v[36:39], v[48:49], off
	;; [unrolled: 1-line block ×3, first 2 shown]
	v_mov_b32_e32 v25, v23
	v_add_u32_e32 v14, 32, v14
	v_cmp_ge_i32_e32 vcc, v14, v26
	s_or_b64 s[0:1], vcc, s[0:1]
	s_waitcnt vmcnt(4)
	v_subrev_u32_e32 v15, s16, v15
	v_lshl_add_u32 v24, v15, 2, v15
	v_lshl_add_u64 v[44:45], v[24:25], 4, s[10:11]
	global_load_dwordx4 v[44:47], v[44:45], off
	v_add_u32_e32 v22, 1, v24
	v_lshl_add_u64 v[48:49], v[22:23], 4, s[10:11]
	global_load_dwordx4 v[48:51], v[48:49], off
	v_add_u32_e32 v22, -3, v20
	v_lshl_add_u64 v[60:61], v[22:23], 4, s[8:9]
	v_add_u32_e32 v22, -7, v20
	v_lshl_add_u64 v[62:63], v[22:23], 4, s[8:9]
	v_add_u32_e32 v22, 2, v24
	global_load_dwordx4 v[52:55], v[60:61], off
	global_load_dwordx4 v[56:59], v[62:63], off
	v_lshl_add_u64 v[60:61], v[22:23], 4, s[10:11]
	v_add_u32_e32 v22, -2, v20
	v_lshl_add_u64 v[72:73], v[22:23], 4, s[8:9]
	v_add_u32_e32 v22, -6, v20
	v_lshl_add_u64 v[74:75], v[22:23], 4, s[8:9]
	v_add_u32_e32 v22, 3, v24
	global_load_dwordx4 v[60:63], v[60:61], off
	s_nop 0
	global_load_dwordx4 v[64:67], v[72:73], off
	global_load_dwordx4 v[68:71], v[74:75], off
	v_lshl_add_u64 v[72:73], v[22:23], 4, s[10:11]
	v_add_u32_e32 v22, -1, v20
	v_lshl_add_u64 v[80:81], v[22:23], 4, s[8:9]
	v_add_u32_e32 v22, -5, v20
	v_lshl_add_u64 v[82:83], v[22:23], 4, s[8:9]
	v_add_u32_e32 v22, 4, v24
	global_load_dwordx4 v[72:75], v[72:73], off
	v_lshl_add_u64 v[24:25], v[22:23], 4, s[10:11]
	v_add_u32_e32 v20, 0x140, v20
	s_waitcnt vmcnt(7)
	v_fmac_f64_e32 v[18:19], v[32:33], v[44:45]
	v_fmac_f64_e32 v[12:13], v[34:35], v[44:45]
	v_fma_f64 v[18:19], -v[34:35], v[46:47], v[18:19]
	v_fmac_f64_e32 v[12:13], v[32:33], v[46:47]
	global_load_dwordx4 v[32:35], v[80:81], off
	global_load_dwordx4 v[76:79], v[82:83], off
	v_fmac_f64_e32 v[16:17], v[36:37], v[44:45]
	v_fmac_f64_e32 v[10:11], v[38:39], v[44:45]
	v_fma_f64 v[16:17], -v[38:39], v[46:47], v[16:17]
	v_fmac_f64_e32 v[10:11], v[36:37], v[46:47]
	global_load_dwordx4 v[36:39], v[24:25], off
	s_waitcnt vmcnt(9)
	v_fmac_f64_e32 v[18:19], v[28:29], v[48:49]
	v_fmac_f64_e32 v[12:13], v[30:31], v[48:49]
	s_waitcnt vmcnt(8)
	v_fmac_f64_e32 v[16:17], v[52:53], v[48:49]
	v_fmac_f64_e32 v[10:11], v[54:55], v[48:49]
	v_fma_f64 v[18:19], -v[30:31], v[50:51], v[18:19]
	v_fmac_f64_e32 v[12:13], v[28:29], v[50:51]
	v_fma_f64 v[16:17], -v[54:55], v[50:51], v[16:17]
	v_fmac_f64_e32 v[10:11], v[52:53], v[50:51]
	s_waitcnt vmcnt(6)
	v_fmac_f64_e32 v[18:19], v[56:57], v[60:61]
	v_fmac_f64_e32 v[12:13], v[58:59], v[60:61]
	s_waitcnt vmcnt(5)
	v_fmac_f64_e32 v[16:17], v[64:65], v[60:61]
	v_fmac_f64_e32 v[10:11], v[66:67], v[60:61]
	v_fma_f64 v[18:19], -v[58:59], v[62:63], v[18:19]
	v_fmac_f64_e32 v[12:13], v[56:57], v[62:63]
	v_fma_f64 v[16:17], -v[66:67], v[62:63], v[16:17]
	v_fmac_f64_e32 v[10:11], v[64:65], v[62:63]
	s_waitcnt vmcnt(3)
	v_fmac_f64_e32 v[18:19], v[68:69], v[72:73]
	v_fmac_f64_e32 v[12:13], v[70:71], v[72:73]
	v_fma_f64 v[18:19], -v[70:71], v[74:75], v[18:19]
	v_fmac_f64_e32 v[12:13], v[68:69], v[74:75]
	s_waitcnt vmcnt(2)
	v_fmac_f64_e32 v[16:17], v[32:33], v[72:73]
	;; [unrolled: 5-line block ×3, first 2 shown]
	v_fmac_f64_e32 v[12:13], v[78:79], v[36:37]
	v_fmac_f64_e32 v[16:17], v[40:41], v[36:37]
	;; [unrolled: 1-line block ×3, first 2 shown]
	v_fma_f64 v[18:19], -v[78:79], v[38:39], v[18:19]
	v_fmac_f64_e32 v[12:13], v[76:77], v[38:39]
	v_fma_f64 v[16:17], -v[42:43], v[38:39], v[16:17]
	v_fmac_f64_e32 v[10:11], v[40:41], v[38:39]
	s_andn2_b64 exec, exec, s[0:1]
	s_cbranch_execnz .LBB246_17
; %bb.18:
	s_or_b64 exec, exec, s[0:1]
.LBB246_19:
	s_or_b64 exec, exec, s[4:5]
.LBB246_20:
	v_mov_b32_dpp v22, v16 row_shr:1 row_mask:0xf bank_mask:0xf
	v_mov_b32_dpp v23, v17 row_shr:1 row_mask:0xf bank_mask:0xf
	v_add_f64 v[16:17], v[16:17], v[22:23]
	v_mov_b32_dpp v14, v18 row_shr:1 row_mask:0xf bank_mask:0xf
	v_mov_b32_dpp v15, v19 row_shr:1 row_mask:0xf bank_mask:0xf
	;; [unrolled: 1-line block ×4, first 2 shown]
	v_add_f64 v[16:17], v[16:17], v[22:23]
	v_mov_b32_dpp v20, v12 row_shr:1 row_mask:0xf bank_mask:0xf
	v_mov_b32_dpp v21, v13 row_shr:1 row_mask:0xf bank_mask:0xf
	;; [unrolled: 1-line block ×4, first 2 shown]
	v_add_f64 v[16:17], v[16:17], v[22:23]
	v_add_f64 v[14:15], v[18:19], v[14:15]
	;; [unrolled: 1-line block ×3, first 2 shown]
	v_mov_b32_dpp v22, v16 row_shr:8 row_mask:0xf bank_mask:0xc
	v_mov_b32_dpp v23, v17 row_shr:8 row_mask:0xf bank_mask:0xc
	v_add_f64 v[22:23], v[16:17], v[22:23]
	v_mov_b32_dpp v16, v10 row_shr:1 row_mask:0xf bank_mask:0xf
	v_mov_b32_dpp v17, v11 row_shr:1 row_mask:0xf bank_mask:0xf
	v_add_f64 v[10:11], v[10:11], v[16:17]
	v_mov_b32_dpp v18, v14 row_shr:2 row_mask:0xf bank_mask:0xf
	v_mov_b32_dpp v19, v15 row_shr:2 row_mask:0xf bank_mask:0xf
	v_mov_b32_dpp v20, v12 row_shr:2 row_mask:0xf bank_mask:0xf
	v_mov_b32_dpp v21, v13 row_shr:2 row_mask:0xf bank_mask:0xf
	v_mov_b32_dpp v16, v10 row_shr:2 row_mask:0xf bank_mask:0xf
	v_mov_b32_dpp v17, v11 row_shr:2 row_mask:0xf bank_mask:0xf
	v_add_f64 v[14:15], v[14:15], v[18:19]
	v_add_f64 v[12:13], v[12:13], v[20:21]
	v_add_f64 v[10:11], v[10:11], v[16:17]
	v_mov_b32_dpp v18, v14 row_shr:4 row_mask:0xf bank_mask:0xe
	v_mov_b32_dpp v19, v15 row_shr:4 row_mask:0xf bank_mask:0xe
	v_mov_b32_dpp v20, v12 row_shr:4 row_mask:0xf bank_mask:0xe
	v_mov_b32_dpp v21, v13 row_shr:4 row_mask:0xf bank_mask:0xe
	v_mov_b32_dpp v16, v10 row_shr:4 row_mask:0xf bank_mask:0xe
	v_mov_b32_dpp v17, v11 row_shr:4 row_mask:0xf bank_mask:0xe
	v_add_f64 v[14:15], v[14:15], v[18:19]
	v_add_f64 v[12:13], v[12:13], v[20:21]
	;; [unrolled: 9-line block ×3, first 2 shown]
	v_add_f64 v[26:27], v[10:11], v[16:17]
	v_mov_b32_dpp v18, v14 row_bcast:15 row_mask:0xa bank_mask:0xf
	v_mov_b32_dpp v19, v15 row_bcast:15 row_mask:0xa bank_mask:0xf
	;; [unrolled: 1-line block ×8, first 2 shown]
	v_cmp_eq_u32_e32 vcc, 31, v9
	s_and_b64 exec, exec, vcc
	s_cbranch_execz .LBB246_25
; %bb.21:
	s_load_dwordx2 s[2:3], s[2:3], 0x48
	v_cmp_eq_f64_e32 vcc, 0, v[4:5]
	v_cmp_eq_f64_e64 s[0:1], 0, v[6:7]
	v_add_f64 v[14:15], v[14:15], v[18:19]
	v_add_f64 v[16:17], v[12:13], v[20:21]
	;; [unrolled: 1-line block ×4, first 2 shown]
	s_and_b64 s[0:1], vcc, s[0:1]
	s_and_saveexec_b64 s[4:5], s[0:1]
	s_xor_b64 s[0:1], exec, s[4:5]
	s_cbranch_execz .LBB246_23
; %bb.22:
	v_lshlrev_b32_e32 v8, 1, v8
	v_mul_f64 v[4:5], v[16:17], -v[2:3]
	v_mul_f64 v[6:7], v[0:1], v[16:17]
	v_ashrrev_i32_e32 v9, 31, v8
	v_fmac_f64_e32 v[4:5], v[0:1], v[14:15]
	v_fmac_f64_e32 v[6:7], v[2:3], v[14:15]
	s_waitcnt lgkmcnt(0)
	v_lshl_add_u64 v[8:9], v[8:9], 4, s[2:3]
	global_store_dwordx4 v[8:9], v[4:7], off
                                        ; implicit-def: $vgpr14_vgpr15
                                        ; implicit-def: $vgpr16_vgpr17
	s_nop 1
	v_mul_f64 v[4:5], v[12:13], -v[2:3]
	v_mul_f64 v[6:7], v[0:1], v[12:13]
	v_fmac_f64_e32 v[4:5], v[0:1], v[10:11]
	v_fmac_f64_e32 v[6:7], v[2:3], v[10:11]
	global_store_dwordx4 v[8:9], v[4:7], off offset:16
                                        ; implicit-def: $vgpr0_vgpr1
                                        ; implicit-def: $vgpr2_vgpr3
                                        ; implicit-def: $vgpr4_vgpr5
                                        ; implicit-def: $vgpr6_vgpr7
                                        ; implicit-def: $vgpr8
                                        ; implicit-def: $vgpr10_vgpr11
                                        ; implicit-def: $vgpr12_vgpr13
.LBB246_23:
	s_andn2_saveexec_b64 s[0:1], s[0:1]
	s_cbranch_execz .LBB246_25
; %bb.24:
	v_lshlrev_b32_e32 v8, 1, v8
	v_ashrrev_i32_e32 v9, 31, v8
	s_waitcnt lgkmcnt(0)
	v_lshl_add_u64 v[26:27], v[8:9], 4, s[2:3]
	global_load_dwordx4 v[18:21], v[26:27], off
	global_load_dwordx4 v[22:25], v[26:27], off offset:16
	v_mul_f64 v[28:29], v[16:17], -v[2:3]
	v_mul_f64 v[16:17], v[0:1], v[16:17]
	v_mul_f64 v[30:31], v[12:13], -v[2:3]
	v_mul_f64 v[8:9], v[0:1], v[12:13]
	v_fmac_f64_e32 v[28:29], v[0:1], v[14:15]
	v_fmac_f64_e32 v[16:17], v[2:3], v[14:15]
	;; [unrolled: 1-line block ×4, first 2 shown]
	s_waitcnt vmcnt(1)
	v_fmac_f64_e32 v[28:29], v[4:5], v[18:19]
	v_fmac_f64_e32 v[16:17], v[6:7], v[18:19]
	s_waitcnt vmcnt(0)
	v_fmac_f64_e32 v[30:31], v[4:5], v[22:23]
	v_fmac_f64_e32 v[8:9], v[6:7], v[22:23]
	v_fma_f64 v[14:15], -v[6:7], v[20:21], v[28:29]
	v_fmac_f64_e32 v[16:17], v[4:5], v[20:21]
	v_fma_f64 v[6:7], -v[6:7], v[24:25], v[30:31]
	v_fmac_f64_e32 v[8:9], v[4:5], v[24:25]
	global_store_dwordx4 v[26:27], v[14:17], off
	global_store_dwordx4 v[26:27], v[6:9], off offset:16
.LBB246_25:
	s_endpgm
	.section	.rodata,"a",@progbits
	.p2align	6, 0x0
	.amdhsa_kernel _ZN9rocsparseL19gebsrmvn_2xn_kernelILj128ELj5ELj32E21rocsparse_complex_numIdEEEvi20rocsparse_direction_NS_24const_host_device_scalarIT2_EEPKiS8_PKS5_SA_S6_PS5_21rocsparse_index_base_b
		.amdhsa_group_segment_fixed_size 2048
		.amdhsa_private_segment_fixed_size 0
		.amdhsa_kernarg_size 88
		.amdhsa_user_sgpr_count 4
		.amdhsa_user_sgpr_dispatch_ptr 1
		.amdhsa_user_sgpr_queue_ptr 0
		.amdhsa_user_sgpr_kernarg_segment_ptr 1
		.amdhsa_user_sgpr_dispatch_id 0
		.amdhsa_user_sgpr_kernarg_preload_length 0
		.amdhsa_user_sgpr_kernarg_preload_offset 0
		.amdhsa_user_sgpr_private_segment_size 0
		.amdhsa_uses_dynamic_stack 0
		.amdhsa_enable_private_segment 0
		.amdhsa_system_sgpr_workgroup_id_x 1
		.amdhsa_system_sgpr_workgroup_id_y 0
		.amdhsa_system_sgpr_workgroup_id_z 0
		.amdhsa_system_sgpr_workgroup_info 0
		.amdhsa_system_vgpr_workitem_id 2
		.amdhsa_next_free_vgpr 88
		.amdhsa_next_free_sgpr 20
		.amdhsa_accum_offset 88
		.amdhsa_reserve_vcc 1
		.amdhsa_float_round_mode_32 0
		.amdhsa_float_round_mode_16_64 0
		.amdhsa_float_denorm_mode_32 3
		.amdhsa_float_denorm_mode_16_64 3
		.amdhsa_dx10_clamp 1
		.amdhsa_ieee_mode 1
		.amdhsa_fp16_overflow 0
		.amdhsa_tg_split 0
		.amdhsa_exception_fp_ieee_invalid_op 0
		.amdhsa_exception_fp_denorm_src 0
		.amdhsa_exception_fp_ieee_div_zero 0
		.amdhsa_exception_fp_ieee_overflow 0
		.amdhsa_exception_fp_ieee_underflow 0
		.amdhsa_exception_fp_ieee_inexact 0
		.amdhsa_exception_int_div_zero 0
	.end_amdhsa_kernel
	.section	.text._ZN9rocsparseL19gebsrmvn_2xn_kernelILj128ELj5ELj32E21rocsparse_complex_numIdEEEvi20rocsparse_direction_NS_24const_host_device_scalarIT2_EEPKiS8_PKS5_SA_S6_PS5_21rocsparse_index_base_b,"axG",@progbits,_ZN9rocsparseL19gebsrmvn_2xn_kernelILj128ELj5ELj32E21rocsparse_complex_numIdEEEvi20rocsparse_direction_NS_24const_host_device_scalarIT2_EEPKiS8_PKS5_SA_S6_PS5_21rocsparse_index_base_b,comdat
.Lfunc_end246:
	.size	_ZN9rocsparseL19gebsrmvn_2xn_kernelILj128ELj5ELj32E21rocsparse_complex_numIdEEEvi20rocsparse_direction_NS_24const_host_device_scalarIT2_EEPKiS8_PKS5_SA_S6_PS5_21rocsparse_index_base_b, .Lfunc_end246-_ZN9rocsparseL19gebsrmvn_2xn_kernelILj128ELj5ELj32E21rocsparse_complex_numIdEEEvi20rocsparse_direction_NS_24const_host_device_scalarIT2_EEPKiS8_PKS5_SA_S6_PS5_21rocsparse_index_base_b
                                        ; -- End function
	.section	.AMDGPU.csdata,"",@progbits
; Kernel info:
; codeLenInByte = 2440
; NumSgprs: 26
; NumVgprs: 88
; NumAgprs: 0
; TotalNumVgprs: 88
; ScratchSize: 0
; MemoryBound: 0
; FloatMode: 240
; IeeeMode: 1
; LDSByteSize: 2048 bytes/workgroup (compile time only)
; SGPRBlocks: 3
; VGPRBlocks: 10
; NumSGPRsForWavesPerEU: 26
; NumVGPRsForWavesPerEU: 88
; AccumOffset: 88
; Occupancy: 5
; WaveLimiterHint : 1
; COMPUTE_PGM_RSRC2:SCRATCH_EN: 0
; COMPUTE_PGM_RSRC2:USER_SGPR: 4
; COMPUTE_PGM_RSRC2:TRAP_HANDLER: 0
; COMPUTE_PGM_RSRC2:TGID_X_EN: 1
; COMPUTE_PGM_RSRC2:TGID_Y_EN: 0
; COMPUTE_PGM_RSRC2:TGID_Z_EN: 0
; COMPUTE_PGM_RSRC2:TIDIG_COMP_CNT: 2
; COMPUTE_PGM_RSRC3_GFX90A:ACCUM_OFFSET: 21
; COMPUTE_PGM_RSRC3_GFX90A:TG_SPLIT: 0
	.section	.text._ZN9rocsparseL19gebsrmvn_2xn_kernelILj128ELj5ELj64E21rocsparse_complex_numIdEEEvi20rocsparse_direction_NS_24const_host_device_scalarIT2_EEPKiS8_PKS5_SA_S6_PS5_21rocsparse_index_base_b,"axG",@progbits,_ZN9rocsparseL19gebsrmvn_2xn_kernelILj128ELj5ELj64E21rocsparse_complex_numIdEEEvi20rocsparse_direction_NS_24const_host_device_scalarIT2_EEPKiS8_PKS5_SA_S6_PS5_21rocsparse_index_base_b,comdat
	.globl	_ZN9rocsparseL19gebsrmvn_2xn_kernelILj128ELj5ELj64E21rocsparse_complex_numIdEEEvi20rocsparse_direction_NS_24const_host_device_scalarIT2_EEPKiS8_PKS5_SA_S6_PS5_21rocsparse_index_base_b ; -- Begin function _ZN9rocsparseL19gebsrmvn_2xn_kernelILj128ELj5ELj64E21rocsparse_complex_numIdEEEvi20rocsparse_direction_NS_24const_host_device_scalarIT2_EEPKiS8_PKS5_SA_S6_PS5_21rocsparse_index_base_b
	.p2align	8
	.type	_ZN9rocsparseL19gebsrmvn_2xn_kernelILj128ELj5ELj64E21rocsparse_complex_numIdEEEvi20rocsparse_direction_NS_24const_host_device_scalarIT2_EEPKiS8_PKS5_SA_S6_PS5_21rocsparse_index_base_b,@function
_ZN9rocsparseL19gebsrmvn_2xn_kernelILj128ELj5ELj64E21rocsparse_complex_numIdEEEvi20rocsparse_direction_NS_24const_host_device_scalarIT2_EEPKiS8_PKS5_SA_S6_PS5_21rocsparse_index_base_b: ; @_ZN9rocsparseL19gebsrmvn_2xn_kernelILj128ELj5ELj64E21rocsparse_complex_numIdEEEvi20rocsparse_direction_NS_24const_host_device_scalarIT2_EEPKiS8_PKS5_SA_S6_PS5_21rocsparse_index_base_b
; %bb.0:
	s_load_dwordx2 s[16:17], s[2:3], 0x50
	s_load_dwordx4 s[12:15], s[2:3], 0x8
	s_load_dwordx4 s[8:11], s[2:3], 0x38
	s_load_dwordx2 s[18:19], s[0:1], 0x4
	s_mov_b64 s[6:7], src_shared_base
	s_waitcnt lgkmcnt(0)
	s_bitcmp1_b32 s17, 0
	s_cselect_b64 s[0:1], -1, 0
	s_and_b64 vcc, s[0:1], exec
	s_cselect_b32 s5, s7, s13
	s_lshr_b32 s6, s18, 16
	v_bfe_u32 v1, v0, 10, 10
	v_and_b32_e32 v10, 0x3ff, v0
	s_mul_i32 s6, s6, s19
	v_mul_u32_u24_e32 v1, s19, v1
	v_mad_u32_u24 v1, s6, v10, v1
	v_bfe_u32 v0, v0, 20, 10
	v_add_lshl_u32 v4, v1, v0, 3
	v_mov_b32_e32 v5, s12
	v_add_u32_e32 v6, 0x400, v4
	v_mov_b64_e32 v[0:1], s[12:13]
	v_mov_b64_e32 v[2:3], s[8:9]
	ds_write2st64_b64 v4, v[2:3], v[0:1] offset1:2
	v_cndmask_b32_e64 v0, v5, v6, s[0:1]
	v_mov_b32_e32 v1, s5
	flat_load_dwordx2 v[0:1], v[0:1]
	s_xor_b64 s[18:19], s[0:1], -1
	v_mov_b64_e32 v[2:3], s[14:15]
	s_cbranch_vccnz .LBB247_2
; %bb.1:
	v_mov_b64_e32 v[2:3], s[12:13]
	flat_load_dwordx2 v[2:3], v[2:3] offset:8
.LBB247_2:
	s_and_b64 s[12:13], s[0:1], exec
	s_cselect_b32 s5, s7, s9
	v_mov_b32_e32 v5, s8
	v_cndmask_b32_e64 v4, v5, v4, s[0:1]
	v_mov_b32_e32 v5, s5
	flat_load_dwordx2 v[4:5], v[4:5]
	s_andn2_b64 vcc, exec, s[18:19]
	v_mov_b64_e32 v[6:7], s[10:11]
	s_cbranch_vccnz .LBB247_4
; %bb.3:
	v_mov_b64_e32 v[6:7], s[8:9]
	flat_load_dwordx2 v[6:7], v[6:7] offset:8
.LBB247_4:
	s_waitcnt vmcnt(0) lgkmcnt(0)
	v_cmp_eq_f64_e32 vcc, 0, v[0:1]
	v_cmp_eq_f64_e64 s[0:1], 0, v[2:3]
	s_and_b64 s[8:9], vcc, s[0:1]
	s_mov_b64 s[0:1], -1
	s_and_saveexec_b64 s[6:7], s[8:9]
; %bb.5:
	v_cmp_neq_f64_e32 vcc, 1.0, v[4:5]
	v_cmp_neq_f64_e64 s[0:1], 0, v[6:7]
	s_or_b64 s[0:1], vcc, s[0:1]
	s_orn2_b64 s[0:1], s[0:1], exec
; %bb.6:
	s_or_b64 exec, exec, s[6:7]
	s_and_saveexec_b64 s[6:7], s[0:1]
	s_cbranch_execz .LBB247_25
; %bb.7:
	s_load_dwordx2 s[0:1], s[2:3], 0x0
	v_lshrrev_b32_e32 v8, 6, v10
	v_lshl_or_b32 v8, s4, 1, v8
	s_waitcnt lgkmcnt(0)
	v_cmp_gt_i32_e32 vcc, s0, v8
	s_and_b64 exec, exec, vcc
	s_cbranch_execz .LBB247_25
; %bb.8:
	s_load_dwordx8 s[4:11], s[2:3], 0x18
	v_ashrrev_i32_e32 v9, 31, v8
	s_cmp_lg_u32 s1, 0
	s_waitcnt lgkmcnt(0)
	v_lshl_add_u64 v[12:13], v[8:9], 2, s[4:5]
	global_load_dwordx2 v[12:13], v[12:13], off
	v_and_b32_e32 v9, 63, v10
	s_waitcnt vmcnt(0)
	v_subrev_u32_e32 v10, s16, v12
	v_subrev_u32_e32 v26, s16, v13
	v_add_u32_e32 v14, v10, v9
	v_cmp_lt_i32_e64 s[0:1], v14, v26
	s_cbranch_scc0 .LBB247_14
; %bb.9:
	v_mov_b64_e32 v[12:13], 0
	s_mov_b64 s[4:5], 0
	v_mov_b64_e32 v[18:19], v[12:13]
	v_mov_b64_e32 v[16:17], v[12:13]
	;; [unrolled: 1-line block ×3, first 2 shown]
	s_and_saveexec_b64 s[12:13], s[0:1]
	s_cbranch_execz .LBB247_13
; %bb.10:
	v_mad_u64_u32 v[20:21], s[14:15], v14, 10, 8
	v_mov_b64_e32 v[12:13], 0
	s_mov_b64 s[14:15], 0
	v_mov_b32_e32 v23, 0
	v_mov_b32_e32 v24, v14
	v_mov_b64_e32 v[18:19], v[12:13]
	v_mov_b64_e32 v[16:17], v[12:13]
	;; [unrolled: 1-line block ×3, first 2 shown]
.LBB247_11:                             ; =>This Inner Loop Header: Depth=1
	v_ashrrev_i32_e32 v25, 31, v24
	v_lshl_add_u64 v[28:29], v[24:25], 2, s[6:7]
	global_load_dword v15, v[28:29], off
	v_add_u32_e32 v22, -8, v20
	v_mov_b32_e32 v21, v23
	v_mov_b32_e32 v81, v23
	v_lshl_add_u64 v[36:37], v[22:23], 4, s[8:9]
	v_add_u32_e32 v22, -6, v20
	v_lshl_add_u64 v[52:53], v[20:21], 4, s[8:9]
	global_load_dwordx4 v[28:31], v[36:37], off offset:16
	global_load_dwordx4 v[32:35], v[36:37], off
	v_lshl_add_u64 v[54:55], v[22:23], 4, s[8:9]
	global_load_dwordx4 v[36:39], v[52:53], off offset:16
	global_load_dwordx4 v[40:43], v[52:53], off
	global_load_dwordx4 v[44:47], v[54:55], off offset:16
	global_load_dwordx4 v[48:51], v[54:55], off
	v_add_u32_e32 v24, 64, v24
	v_cmp_ge_i32_e32 vcc, v24, v26
	s_or_b64 s[14:15], vcc, s[14:15]
	s_waitcnt vmcnt(6)
	v_subrev_u32_e32 v15, s16, v15
	v_lshl_add_u32 v80, v15, 2, v15
	v_lshl_add_u64 v[52:53], v[80:81], 4, s[10:11]
	v_add_u32_e32 v22, 1, v80
	global_load_dwordx4 v[52:55], v[52:53], off
	v_lshl_add_u64 v[56:57], v[22:23], 4, s[10:11]
	global_load_dwordx4 v[56:59], v[56:57], off
	v_add_u32_e32 v22, -4, v20
	v_lshl_add_u64 v[68:69], v[22:23], 4, s[8:9]
	v_add_u32_e32 v22, 2, v80
	global_load_dwordx4 v[60:63], v[68:69], off offset:16
	global_load_dwordx4 v[64:67], v[68:69], off
	v_lshl_add_u64 v[68:69], v[22:23], 4, s[10:11]
	v_add_u32_e32 v22, -2, v20
	global_load_dwordx4 v[68:71], v[68:69], off
	v_lshl_add_u64 v[82:83], v[22:23], 4, s[8:9]
	v_add_u32_e32 v22, 3, v80
	global_load_dwordx4 v[72:75], v[82:83], off offset:16
	global_load_dwordx4 v[76:79], v[82:83], off
	v_lshl_add_u64 v[82:83], v[22:23], 4, s[10:11]
	v_add_u32_e32 v22, 4, v80
	global_load_dwordx4 v[80:83], v[82:83], off
	v_lshl_add_u64 v[84:85], v[22:23], 4, s[10:11]
	global_load_dwordx4 v[84:87], v[84:85], off
	v_add_u32_e32 v20, 0x280, v20
	s_waitcnt vmcnt(8)
	v_fmac_f64_e32 v[18:19], v[32:33], v[52:53]
	v_fmac_f64_e32 v[12:13], v[34:35], v[52:53]
	v_fmac_f64_e32 v[16:17], v[28:29], v[52:53]
	v_fmac_f64_e32 v[10:11], v[30:31], v[52:53]
	v_fma_f64 v[18:19], -v[34:35], v[54:55], v[18:19]
	v_fmac_f64_e32 v[12:13], v[32:33], v[54:55]
	v_fma_f64 v[16:17], -v[30:31], v[54:55], v[16:17]
	v_fmac_f64_e32 v[10:11], v[28:29], v[54:55]
	s_waitcnt vmcnt(7)
	v_fmac_f64_e32 v[18:19], v[48:49], v[56:57]
	v_fmac_f64_e32 v[12:13], v[50:51], v[56:57]
	v_fmac_f64_e32 v[16:17], v[44:45], v[56:57]
	v_fmac_f64_e32 v[10:11], v[46:47], v[56:57]
	v_fma_f64 v[18:19], -v[50:51], v[58:59], v[18:19]
	v_fmac_f64_e32 v[12:13], v[48:49], v[58:59]
	v_fma_f64 v[16:17], -v[46:47], v[58:59], v[16:17]
	v_fmac_f64_e32 v[10:11], v[44:45], v[58:59]
	;; [unrolled: 9-line block ×5, first 2 shown]
	s_andn2_b64 exec, exec, s[14:15]
	s_cbranch_execnz .LBB247_11
; %bb.12:
	s_or_b64 exec, exec, s[14:15]
.LBB247_13:
	s_or_b64 exec, exec, s[12:13]
	s_andn2_b64 vcc, exec, s[4:5]
	s_cbranch_vccz .LBB247_15
	s_branch .LBB247_20
.LBB247_14:
                                        ; implicit-def: $vgpr12_vgpr13
                                        ; implicit-def: $vgpr18_vgpr19
                                        ; implicit-def: $vgpr16_vgpr17
                                        ; implicit-def: $vgpr10_vgpr11
.LBB247_15:
	v_mov_b64_e32 v[12:13], 0
	v_mov_b64_e32 v[18:19], v[12:13]
	;; [unrolled: 1-line block ×4, first 2 shown]
	s_and_saveexec_b64 s[4:5], s[0:1]
	s_cbranch_execz .LBB247_19
; %bb.16:
	v_mad_u64_u32 v[20:21], s[0:1], v14, 10, 9
	v_mov_b64_e32 v[12:13], 0
	s_mov_b64 s[0:1], 0
	v_mov_b32_e32 v23, 0
	v_mov_b64_e32 v[18:19], v[12:13]
	v_mov_b64_e32 v[16:17], v[12:13]
	;; [unrolled: 1-line block ×3, first 2 shown]
.LBB247_17:                             ; =>This Inner Loop Header: Depth=1
	v_ashrrev_i32_e32 v15, 31, v14
	v_add_u32_e32 v22, -9, v20
	v_add_u32_e32 v28, -4, v20
	v_mov_b32_e32 v29, v23
	v_mov_b32_e32 v21, v23
	v_lshl_add_u64 v[44:45], v[14:15], 2, s[6:7]
	v_lshl_add_u64 v[46:47], v[22:23], 4, s[8:9]
	;; [unrolled: 1-line block ×4, first 2 shown]
	global_load_dword v15, v[44:45], off
	global_load_dwordx4 v[28:31], v[46:47], off offset:16
	global_load_dwordx4 v[32:35], v[46:47], off
	global_load_dwordx4 v[36:39], v[48:49], off
	;; [unrolled: 1-line block ×3, first 2 shown]
	v_mov_b32_e32 v25, v23
	v_add_u32_e32 v14, 64, v14
	v_cmp_ge_i32_e32 vcc, v14, v26
	s_or_b64 s[0:1], vcc, s[0:1]
	s_waitcnt vmcnt(4)
	v_subrev_u32_e32 v15, s16, v15
	v_lshl_add_u32 v24, v15, 2, v15
	v_lshl_add_u64 v[44:45], v[24:25], 4, s[10:11]
	global_load_dwordx4 v[44:47], v[44:45], off
	v_add_u32_e32 v22, 1, v24
	v_lshl_add_u64 v[48:49], v[22:23], 4, s[10:11]
	global_load_dwordx4 v[48:51], v[48:49], off
	v_add_u32_e32 v22, -3, v20
	v_lshl_add_u64 v[60:61], v[22:23], 4, s[8:9]
	v_add_u32_e32 v22, -7, v20
	v_lshl_add_u64 v[62:63], v[22:23], 4, s[8:9]
	v_add_u32_e32 v22, 2, v24
	global_load_dwordx4 v[52:55], v[60:61], off
	global_load_dwordx4 v[56:59], v[62:63], off
	v_lshl_add_u64 v[60:61], v[22:23], 4, s[10:11]
	v_add_u32_e32 v22, -2, v20
	v_lshl_add_u64 v[72:73], v[22:23], 4, s[8:9]
	v_add_u32_e32 v22, -6, v20
	v_lshl_add_u64 v[74:75], v[22:23], 4, s[8:9]
	v_add_u32_e32 v22, 3, v24
	global_load_dwordx4 v[60:63], v[60:61], off
	s_nop 0
	global_load_dwordx4 v[64:67], v[72:73], off
	global_load_dwordx4 v[68:71], v[74:75], off
	v_lshl_add_u64 v[72:73], v[22:23], 4, s[10:11]
	v_add_u32_e32 v22, -1, v20
	v_lshl_add_u64 v[80:81], v[22:23], 4, s[8:9]
	v_add_u32_e32 v22, -5, v20
	v_lshl_add_u64 v[82:83], v[22:23], 4, s[8:9]
	v_add_u32_e32 v22, 4, v24
	global_load_dwordx4 v[72:75], v[72:73], off
	v_lshl_add_u64 v[24:25], v[22:23], 4, s[10:11]
	v_add_u32_e32 v20, 0x280, v20
	s_waitcnt vmcnt(7)
	v_fmac_f64_e32 v[18:19], v[32:33], v[44:45]
	v_fmac_f64_e32 v[12:13], v[34:35], v[44:45]
	v_fma_f64 v[18:19], -v[34:35], v[46:47], v[18:19]
	v_fmac_f64_e32 v[12:13], v[32:33], v[46:47]
	global_load_dwordx4 v[32:35], v[80:81], off
	global_load_dwordx4 v[76:79], v[82:83], off
	v_fmac_f64_e32 v[16:17], v[36:37], v[44:45]
	v_fmac_f64_e32 v[10:11], v[38:39], v[44:45]
	v_fma_f64 v[16:17], -v[38:39], v[46:47], v[16:17]
	v_fmac_f64_e32 v[10:11], v[36:37], v[46:47]
	global_load_dwordx4 v[36:39], v[24:25], off
	s_waitcnt vmcnt(9)
	v_fmac_f64_e32 v[18:19], v[28:29], v[48:49]
	v_fmac_f64_e32 v[12:13], v[30:31], v[48:49]
	s_waitcnt vmcnt(8)
	v_fmac_f64_e32 v[16:17], v[52:53], v[48:49]
	v_fmac_f64_e32 v[10:11], v[54:55], v[48:49]
	v_fma_f64 v[18:19], -v[30:31], v[50:51], v[18:19]
	v_fmac_f64_e32 v[12:13], v[28:29], v[50:51]
	v_fma_f64 v[16:17], -v[54:55], v[50:51], v[16:17]
	v_fmac_f64_e32 v[10:11], v[52:53], v[50:51]
	s_waitcnt vmcnt(6)
	v_fmac_f64_e32 v[18:19], v[56:57], v[60:61]
	v_fmac_f64_e32 v[12:13], v[58:59], v[60:61]
	s_waitcnt vmcnt(5)
	v_fmac_f64_e32 v[16:17], v[64:65], v[60:61]
	v_fmac_f64_e32 v[10:11], v[66:67], v[60:61]
	v_fma_f64 v[18:19], -v[58:59], v[62:63], v[18:19]
	v_fmac_f64_e32 v[12:13], v[56:57], v[62:63]
	v_fma_f64 v[16:17], -v[66:67], v[62:63], v[16:17]
	v_fmac_f64_e32 v[10:11], v[64:65], v[62:63]
	s_waitcnt vmcnt(3)
	v_fmac_f64_e32 v[18:19], v[68:69], v[72:73]
	v_fmac_f64_e32 v[12:13], v[70:71], v[72:73]
	v_fma_f64 v[18:19], -v[70:71], v[74:75], v[18:19]
	v_fmac_f64_e32 v[12:13], v[68:69], v[74:75]
	s_waitcnt vmcnt(2)
	v_fmac_f64_e32 v[16:17], v[32:33], v[72:73]
	;; [unrolled: 5-line block ×3, first 2 shown]
	v_fmac_f64_e32 v[12:13], v[78:79], v[36:37]
	v_fmac_f64_e32 v[16:17], v[40:41], v[36:37]
	;; [unrolled: 1-line block ×3, first 2 shown]
	v_fma_f64 v[18:19], -v[78:79], v[38:39], v[18:19]
	v_fmac_f64_e32 v[12:13], v[76:77], v[38:39]
	v_fma_f64 v[16:17], -v[42:43], v[38:39], v[16:17]
	v_fmac_f64_e32 v[10:11], v[40:41], v[38:39]
	s_andn2_b64 exec, exec, s[0:1]
	s_cbranch_execnz .LBB247_17
; %bb.18:
	s_or_b64 exec, exec, s[0:1]
.LBB247_19:
	s_or_b64 exec, exec, s[4:5]
.LBB247_20:
	v_mov_b32_dpp v22, v16 row_shr:1 row_mask:0xf bank_mask:0xf
	v_mov_b32_dpp v23, v17 row_shr:1 row_mask:0xf bank_mask:0xf
	v_add_f64 v[16:17], v[16:17], v[22:23]
	v_mov_b32_dpp v14, v18 row_shr:1 row_mask:0xf bank_mask:0xf
	v_mov_b32_dpp v15, v19 row_shr:1 row_mask:0xf bank_mask:0xf
	;; [unrolled: 1-line block ×4, first 2 shown]
	v_add_f64 v[16:17], v[16:17], v[22:23]
	v_mov_b32_dpp v20, v12 row_shr:1 row_mask:0xf bank_mask:0xf
	v_mov_b32_dpp v21, v13 row_shr:1 row_mask:0xf bank_mask:0xf
	;; [unrolled: 1-line block ×4, first 2 shown]
	v_add_f64 v[16:17], v[16:17], v[22:23]
	v_add_f64 v[14:15], v[18:19], v[14:15]
	v_add_f64 v[12:13], v[12:13], v[20:21]
	v_mov_b32_dpp v22, v16 row_shr:8 row_mask:0xf bank_mask:0xc
	v_mov_b32_dpp v23, v17 row_shr:8 row_mask:0xf bank_mask:0xc
	v_add_f64 v[16:17], v[16:17], v[22:23]
	v_mov_b32_dpp v18, v14 row_shr:2 row_mask:0xf bank_mask:0xf
	v_mov_b32_dpp v19, v15 row_shr:2 row_mask:0xf bank_mask:0xf
	v_mov_b32_dpp v22, v16 row_bcast:15 row_mask:0xa bank_mask:0xf
	v_mov_b32_dpp v23, v17 row_bcast:15 row_mask:0xa bank_mask:0xf
	v_add_f64 v[22:23], v[16:17], v[22:23]
	v_mov_b32_dpp v16, v10 row_shr:1 row_mask:0xf bank_mask:0xf
	v_mov_b32_dpp v17, v11 row_shr:1 row_mask:0xf bank_mask:0xf
	v_add_f64 v[10:11], v[10:11], v[16:17]
	v_mov_b32_dpp v20, v12 row_shr:2 row_mask:0xf bank_mask:0xf
	v_mov_b32_dpp v21, v13 row_shr:2 row_mask:0xf bank_mask:0xf
	v_mov_b32_dpp v16, v10 row_shr:2 row_mask:0xf bank_mask:0xf
	v_mov_b32_dpp v17, v11 row_shr:2 row_mask:0xf bank_mask:0xf
	v_add_f64 v[14:15], v[14:15], v[18:19]
	v_add_f64 v[12:13], v[12:13], v[20:21]
	;; [unrolled: 1-line block ×3, first 2 shown]
	v_mov_b32_dpp v18, v14 row_shr:4 row_mask:0xf bank_mask:0xe
	v_mov_b32_dpp v19, v15 row_shr:4 row_mask:0xf bank_mask:0xe
	;; [unrolled: 1-line block ×6, first 2 shown]
	v_add_f64 v[14:15], v[14:15], v[18:19]
	v_add_f64 v[12:13], v[12:13], v[20:21]
	;; [unrolled: 1-line block ×3, first 2 shown]
	v_mov_b32_dpp v18, v14 row_shr:8 row_mask:0xf bank_mask:0xc
	v_mov_b32_dpp v19, v15 row_shr:8 row_mask:0xf bank_mask:0xc
	;; [unrolled: 1-line block ×6, first 2 shown]
	v_add_f64 v[14:15], v[14:15], v[18:19]
	v_add_f64 v[12:13], v[12:13], v[20:21]
	;; [unrolled: 1-line block ×3, first 2 shown]
	v_mov_b32_dpp v18, v14 row_bcast:15 row_mask:0xa bank_mask:0xf
	v_mov_b32_dpp v19, v15 row_bcast:15 row_mask:0xa bank_mask:0xf
	;; [unrolled: 1-line block ×6, first 2 shown]
	v_add_f64 v[14:15], v[14:15], v[18:19]
	v_add_f64 v[12:13], v[12:13], v[20:21]
	v_add_f64 v[26:27], v[10:11], v[16:17]
	v_mov_b32_dpp v18, v14 row_bcast:31 row_mask:0xc bank_mask:0xf
	v_mov_b32_dpp v19, v15 row_bcast:31 row_mask:0xc bank_mask:0xf
	;; [unrolled: 1-line block ×8, first 2 shown]
	v_cmp_eq_u32_e32 vcc, 63, v9
	s_and_b64 exec, exec, vcc
	s_cbranch_execz .LBB247_25
; %bb.21:
	s_load_dwordx2 s[2:3], s[2:3], 0x48
	v_cmp_eq_f64_e32 vcc, 0, v[4:5]
	v_cmp_eq_f64_e64 s[0:1], 0, v[6:7]
	v_add_f64 v[14:15], v[14:15], v[18:19]
	v_add_f64 v[16:17], v[12:13], v[20:21]
	v_add_f64 v[10:11], v[22:23], v[24:25]
	v_add_f64 v[12:13], v[26:27], v[28:29]
	s_and_b64 s[0:1], vcc, s[0:1]
	s_and_saveexec_b64 s[4:5], s[0:1]
	s_xor_b64 s[0:1], exec, s[4:5]
	s_cbranch_execz .LBB247_23
; %bb.22:
	v_lshlrev_b32_e32 v8, 1, v8
	v_mul_f64 v[4:5], v[16:17], -v[2:3]
	v_mul_f64 v[6:7], v[0:1], v[16:17]
	v_ashrrev_i32_e32 v9, 31, v8
	v_fmac_f64_e32 v[4:5], v[0:1], v[14:15]
	v_fmac_f64_e32 v[6:7], v[2:3], v[14:15]
	s_waitcnt lgkmcnt(0)
	v_lshl_add_u64 v[8:9], v[8:9], 4, s[2:3]
	global_store_dwordx4 v[8:9], v[4:7], off
                                        ; implicit-def: $vgpr14_vgpr15
                                        ; implicit-def: $vgpr16_vgpr17
	s_nop 1
	v_mul_f64 v[4:5], v[12:13], -v[2:3]
	v_mul_f64 v[6:7], v[0:1], v[12:13]
	v_fmac_f64_e32 v[4:5], v[0:1], v[10:11]
	v_fmac_f64_e32 v[6:7], v[2:3], v[10:11]
	global_store_dwordx4 v[8:9], v[4:7], off offset:16
                                        ; implicit-def: $vgpr0_vgpr1
                                        ; implicit-def: $vgpr2_vgpr3
                                        ; implicit-def: $vgpr4_vgpr5
                                        ; implicit-def: $vgpr6_vgpr7
                                        ; implicit-def: $vgpr8
                                        ; implicit-def: $vgpr10_vgpr11
                                        ; implicit-def: $vgpr12_vgpr13
.LBB247_23:
	s_andn2_saveexec_b64 s[0:1], s[0:1]
	s_cbranch_execz .LBB247_25
; %bb.24:
	v_lshlrev_b32_e32 v8, 1, v8
	v_ashrrev_i32_e32 v9, 31, v8
	s_waitcnt lgkmcnt(0)
	v_lshl_add_u64 v[26:27], v[8:9], 4, s[2:3]
	global_load_dwordx4 v[18:21], v[26:27], off
	global_load_dwordx4 v[22:25], v[26:27], off offset:16
	v_mul_f64 v[28:29], v[16:17], -v[2:3]
	v_mul_f64 v[16:17], v[0:1], v[16:17]
	v_mul_f64 v[30:31], v[12:13], -v[2:3]
	v_mul_f64 v[8:9], v[0:1], v[12:13]
	v_fmac_f64_e32 v[28:29], v[0:1], v[14:15]
	v_fmac_f64_e32 v[16:17], v[2:3], v[14:15]
	v_fmac_f64_e32 v[30:31], v[0:1], v[10:11]
	v_fmac_f64_e32 v[8:9], v[2:3], v[10:11]
	s_waitcnt vmcnt(1)
	v_fmac_f64_e32 v[28:29], v[4:5], v[18:19]
	v_fmac_f64_e32 v[16:17], v[6:7], v[18:19]
	s_waitcnt vmcnt(0)
	v_fmac_f64_e32 v[30:31], v[4:5], v[22:23]
	v_fmac_f64_e32 v[8:9], v[6:7], v[22:23]
	v_fma_f64 v[14:15], -v[6:7], v[20:21], v[28:29]
	v_fmac_f64_e32 v[16:17], v[4:5], v[20:21]
	v_fma_f64 v[6:7], -v[6:7], v[24:25], v[30:31]
	v_fmac_f64_e32 v[8:9], v[4:5], v[24:25]
	global_store_dwordx4 v[26:27], v[14:17], off
	global_store_dwordx4 v[26:27], v[6:9], off offset:16
.LBB247_25:
	s_endpgm
	.section	.rodata,"a",@progbits
	.p2align	6, 0x0
	.amdhsa_kernel _ZN9rocsparseL19gebsrmvn_2xn_kernelILj128ELj5ELj64E21rocsparse_complex_numIdEEEvi20rocsparse_direction_NS_24const_host_device_scalarIT2_EEPKiS8_PKS5_SA_S6_PS5_21rocsparse_index_base_b
		.amdhsa_group_segment_fixed_size 2048
		.amdhsa_private_segment_fixed_size 0
		.amdhsa_kernarg_size 88
		.amdhsa_user_sgpr_count 4
		.amdhsa_user_sgpr_dispatch_ptr 1
		.amdhsa_user_sgpr_queue_ptr 0
		.amdhsa_user_sgpr_kernarg_segment_ptr 1
		.amdhsa_user_sgpr_dispatch_id 0
		.amdhsa_user_sgpr_kernarg_preload_length 0
		.amdhsa_user_sgpr_kernarg_preload_offset 0
		.amdhsa_user_sgpr_private_segment_size 0
		.amdhsa_uses_dynamic_stack 0
		.amdhsa_enable_private_segment 0
		.amdhsa_system_sgpr_workgroup_id_x 1
		.amdhsa_system_sgpr_workgroup_id_y 0
		.amdhsa_system_sgpr_workgroup_id_z 0
		.amdhsa_system_sgpr_workgroup_info 0
		.amdhsa_system_vgpr_workitem_id 2
		.amdhsa_next_free_vgpr 88
		.amdhsa_next_free_sgpr 20
		.amdhsa_accum_offset 88
		.amdhsa_reserve_vcc 1
		.amdhsa_float_round_mode_32 0
		.amdhsa_float_round_mode_16_64 0
		.amdhsa_float_denorm_mode_32 3
		.amdhsa_float_denorm_mode_16_64 3
		.amdhsa_dx10_clamp 1
		.amdhsa_ieee_mode 1
		.amdhsa_fp16_overflow 0
		.amdhsa_tg_split 0
		.amdhsa_exception_fp_ieee_invalid_op 0
		.amdhsa_exception_fp_denorm_src 0
		.amdhsa_exception_fp_ieee_div_zero 0
		.amdhsa_exception_fp_ieee_overflow 0
		.amdhsa_exception_fp_ieee_underflow 0
		.amdhsa_exception_fp_ieee_inexact 0
		.amdhsa_exception_int_div_zero 0
	.end_amdhsa_kernel
	.section	.text._ZN9rocsparseL19gebsrmvn_2xn_kernelILj128ELj5ELj64E21rocsparse_complex_numIdEEEvi20rocsparse_direction_NS_24const_host_device_scalarIT2_EEPKiS8_PKS5_SA_S6_PS5_21rocsparse_index_base_b,"axG",@progbits,_ZN9rocsparseL19gebsrmvn_2xn_kernelILj128ELj5ELj64E21rocsparse_complex_numIdEEEvi20rocsparse_direction_NS_24const_host_device_scalarIT2_EEPKiS8_PKS5_SA_S6_PS5_21rocsparse_index_base_b,comdat
.Lfunc_end247:
	.size	_ZN9rocsparseL19gebsrmvn_2xn_kernelILj128ELj5ELj64E21rocsparse_complex_numIdEEEvi20rocsparse_direction_NS_24const_host_device_scalarIT2_EEPKiS8_PKS5_SA_S6_PS5_21rocsparse_index_base_b, .Lfunc_end247-_ZN9rocsparseL19gebsrmvn_2xn_kernelILj128ELj5ELj64E21rocsparse_complex_numIdEEEvi20rocsparse_direction_NS_24const_host_device_scalarIT2_EEPKiS8_PKS5_SA_S6_PS5_21rocsparse_index_base_b
                                        ; -- End function
	.section	.AMDGPU.csdata,"",@progbits
; Kernel info:
; codeLenInByte = 2536
; NumSgprs: 26
; NumVgprs: 88
; NumAgprs: 0
; TotalNumVgprs: 88
; ScratchSize: 0
; MemoryBound: 0
; FloatMode: 240
; IeeeMode: 1
; LDSByteSize: 2048 bytes/workgroup (compile time only)
; SGPRBlocks: 3
; VGPRBlocks: 10
; NumSGPRsForWavesPerEU: 26
; NumVGPRsForWavesPerEU: 88
; AccumOffset: 88
; Occupancy: 5
; WaveLimiterHint : 1
; COMPUTE_PGM_RSRC2:SCRATCH_EN: 0
; COMPUTE_PGM_RSRC2:USER_SGPR: 4
; COMPUTE_PGM_RSRC2:TRAP_HANDLER: 0
; COMPUTE_PGM_RSRC2:TGID_X_EN: 1
; COMPUTE_PGM_RSRC2:TGID_Y_EN: 0
; COMPUTE_PGM_RSRC2:TGID_Z_EN: 0
; COMPUTE_PGM_RSRC2:TIDIG_COMP_CNT: 2
; COMPUTE_PGM_RSRC3_GFX90A:ACCUM_OFFSET: 21
; COMPUTE_PGM_RSRC3_GFX90A:TG_SPLIT: 0
	.section	.text._ZN9rocsparseL19gebsrmvn_2xn_kernelILj128ELj6ELj4E21rocsparse_complex_numIdEEEvi20rocsparse_direction_NS_24const_host_device_scalarIT2_EEPKiS8_PKS5_SA_S6_PS5_21rocsparse_index_base_b,"axG",@progbits,_ZN9rocsparseL19gebsrmvn_2xn_kernelILj128ELj6ELj4E21rocsparse_complex_numIdEEEvi20rocsparse_direction_NS_24const_host_device_scalarIT2_EEPKiS8_PKS5_SA_S6_PS5_21rocsparse_index_base_b,comdat
	.globl	_ZN9rocsparseL19gebsrmvn_2xn_kernelILj128ELj6ELj4E21rocsparse_complex_numIdEEEvi20rocsparse_direction_NS_24const_host_device_scalarIT2_EEPKiS8_PKS5_SA_S6_PS5_21rocsparse_index_base_b ; -- Begin function _ZN9rocsparseL19gebsrmvn_2xn_kernelILj128ELj6ELj4E21rocsparse_complex_numIdEEEvi20rocsparse_direction_NS_24const_host_device_scalarIT2_EEPKiS8_PKS5_SA_S6_PS5_21rocsparse_index_base_b
	.p2align	8
	.type	_ZN9rocsparseL19gebsrmvn_2xn_kernelILj128ELj6ELj4E21rocsparse_complex_numIdEEEvi20rocsparse_direction_NS_24const_host_device_scalarIT2_EEPKiS8_PKS5_SA_S6_PS5_21rocsparse_index_base_b,@function
_ZN9rocsparseL19gebsrmvn_2xn_kernelILj128ELj6ELj4E21rocsparse_complex_numIdEEEvi20rocsparse_direction_NS_24const_host_device_scalarIT2_EEPKiS8_PKS5_SA_S6_PS5_21rocsparse_index_base_b: ; @_ZN9rocsparseL19gebsrmvn_2xn_kernelILj128ELj6ELj4E21rocsparse_complex_numIdEEEvi20rocsparse_direction_NS_24const_host_device_scalarIT2_EEPKiS8_PKS5_SA_S6_PS5_21rocsparse_index_base_b
; %bb.0:
	s_load_dwordx2 s[16:17], s[2:3], 0x50
	s_load_dwordx4 s[12:15], s[2:3], 0x8
	s_load_dwordx4 s[8:11], s[2:3], 0x38
	s_load_dwordx2 s[18:19], s[0:1], 0x4
	s_mov_b64 s[6:7], src_shared_base
	s_waitcnt lgkmcnt(0)
	s_bitcmp1_b32 s17, 0
	s_cselect_b64 s[0:1], -1, 0
	s_and_b64 vcc, s[0:1], exec
	s_cselect_b32 s5, s7, s13
	s_lshr_b32 s6, s18, 16
	v_bfe_u32 v1, v0, 10, 10
	v_and_b32_e32 v10, 0x3ff, v0
	s_mul_i32 s6, s6, s19
	v_mul_u32_u24_e32 v1, s19, v1
	v_mad_u32_u24 v1, s6, v10, v1
	v_bfe_u32 v0, v0, 20, 10
	v_add_lshl_u32 v4, v1, v0, 3
	v_mov_b32_e32 v5, s12
	v_add_u32_e32 v6, 0x400, v4
	v_mov_b64_e32 v[0:1], s[12:13]
	v_mov_b64_e32 v[2:3], s[8:9]
	ds_write2st64_b64 v4, v[2:3], v[0:1] offset1:2
	v_cndmask_b32_e64 v0, v5, v6, s[0:1]
	v_mov_b32_e32 v1, s5
	flat_load_dwordx2 v[0:1], v[0:1]
	s_xor_b64 s[18:19], s[0:1], -1
	v_mov_b64_e32 v[2:3], s[14:15]
	s_cbranch_vccnz .LBB248_2
; %bb.1:
	v_mov_b64_e32 v[2:3], s[12:13]
	flat_load_dwordx2 v[2:3], v[2:3] offset:8
.LBB248_2:
	s_and_b64 s[12:13], s[0:1], exec
	s_cselect_b32 s5, s7, s9
	v_mov_b32_e32 v5, s8
	v_cndmask_b32_e64 v4, v5, v4, s[0:1]
	v_mov_b32_e32 v5, s5
	flat_load_dwordx2 v[4:5], v[4:5]
	s_andn2_b64 vcc, exec, s[18:19]
	v_mov_b64_e32 v[6:7], s[10:11]
	s_cbranch_vccnz .LBB248_4
; %bb.3:
	v_mov_b64_e32 v[6:7], s[8:9]
	flat_load_dwordx2 v[6:7], v[6:7] offset:8
.LBB248_4:
	s_waitcnt vmcnt(0) lgkmcnt(0)
	v_cmp_eq_f64_e32 vcc, 0, v[0:1]
	v_cmp_eq_f64_e64 s[0:1], 0, v[2:3]
	s_and_b64 s[8:9], vcc, s[0:1]
	s_mov_b64 s[0:1], -1
	s_and_saveexec_b64 s[6:7], s[8:9]
; %bb.5:
	v_cmp_neq_f64_e32 vcc, 1.0, v[4:5]
	v_cmp_neq_f64_e64 s[0:1], 0, v[6:7]
	s_or_b64 s[0:1], vcc, s[0:1]
	s_orn2_b64 s[0:1], s[0:1], exec
; %bb.6:
	s_or_b64 exec, exec, s[6:7]
	s_and_saveexec_b64 s[6:7], s[0:1]
	s_cbranch_execz .LBB248_25
; %bb.7:
	s_load_dwordx2 s[0:1], s[2:3], 0x0
	v_lshrrev_b32_e32 v8, 2, v10
	v_lshl_or_b32 v8, s4, 5, v8
	s_waitcnt lgkmcnt(0)
	v_cmp_gt_i32_e32 vcc, s0, v8
	s_and_b64 exec, exec, vcc
	s_cbranch_execz .LBB248_25
; %bb.8:
	s_load_dwordx8 s[4:11], s[2:3], 0x18
	v_ashrrev_i32_e32 v9, 31, v8
	s_cmp_lg_u32 s1, 0
	s_waitcnt lgkmcnt(0)
	v_lshl_add_u64 v[12:13], v[8:9], 2, s[4:5]
	global_load_dwordx2 v[12:13], v[12:13], off
	v_and_b32_e32 v9, 3, v10
	s_waitcnt vmcnt(0)
	v_subrev_u32_e32 v10, s16, v12
	v_subrev_u32_e32 v28, s16, v13
	v_add_u32_e32 v14, v10, v9
	v_cmp_lt_i32_e64 s[0:1], v14, v28
	s_cbranch_scc0 .LBB248_14
; %bb.9:
	v_mov_b64_e32 v[10:11], 0
	s_mov_b64 s[4:5], 0
	v_mov_b64_e32 v[18:19], v[10:11]
	v_mov_b64_e32 v[16:17], v[10:11]
	;; [unrolled: 1-line block ×3, first 2 shown]
	s_and_saveexec_b64 s[12:13], s[0:1]
	s_cbranch_execz .LBB248_13
; %bb.10:
	v_mad_u64_u32 v[20:21], s[14:15], v14, 12, 10
	v_mov_b64_e32 v[10:11], 0
	s_mov_b64 s[14:15], 0
	v_mov_b32_e32 v23, 0
	v_mov_b32_e32 v24, v14
	v_mov_b64_e32 v[18:19], v[10:11]
	v_mov_b64_e32 v[16:17], v[10:11]
	;; [unrolled: 1-line block ×3, first 2 shown]
.LBB248_11:                             ; =>This Inner Loop Header: Depth=1
	v_ashrrev_i32_e32 v25, 31, v24
	v_add_u32_e32 v22, -10, v20
	v_lshl_add_u64 v[46:47], v[24:25], 2, s[6:7]
	v_lshl_add_u64 v[48:49], v[22:23], 4, s[8:9]
	global_load_dword v15, v[46:47], off
	global_load_dwordx4 v[30:33], v[48:49], off offset:48
	global_load_dwordx4 v[34:37], v[48:49], off offset:32
	;; [unrolled: 1-line block ×3, first 2 shown]
	global_load_dwordx4 v[42:45], v[48:49], off
	v_mov_b32_e32 v27, v23
	v_mov_b32_e32 v21, v23
	v_add_u32_e32 v22, -6, v20
	v_lshl_add_u64 v[62:63], v[20:21], 4, s[8:9]
	v_lshl_add_u64 v[64:65], v[22:23], 4, s[8:9]
	global_load_dwordx4 v[46:49], v[62:63], off
	global_load_dwordx4 v[50:53], v[62:63], off offset:16
	global_load_dwordx4 v[54:57], v[64:65], off offset:16
	global_load_dwordx4 v[58:61], v[64:65], off
	v_add_u32_e32 v24, 4, v24
	v_cmp_ge_i32_e32 vcc, v24, v28
	s_or_b64 s[14:15], vcc, s[14:15]
	s_waitcnt vmcnt(8)
	v_subrev_u32_e32 v15, s16, v15
	v_mul_lo_u32 v26, v15, 6
	v_lshl_add_u64 v[70:71], v[26:27], 4, s[10:11]
	global_load_dwordx4 v[62:65], v[70:71], off
	global_load_dwordx4 v[66:69], v[70:71], off offset:16
	v_add_u32_e32 v22, 2, v26
	v_lshl_add_u64 v[78:79], v[22:23], 4, s[10:11]
	v_add_u32_e32 v22, -4, v20
	global_load_dwordx4 v[70:73], v[78:79], off
	global_load_dwordx4 v[74:77], v[78:79], off offset:16
	v_lshl_add_u64 v[86:87], v[22:23], 4, s[8:9]
	v_add_u32_e32 v22, -2, v20
	global_load_dwordx4 v[78:81], v[86:87], off offset:16
	global_load_dwordx4 v[82:85], v[86:87], off
	v_lshl_add_u64 v[90:91], v[22:23], 4, s[8:9]
	v_add_u32_e32 v22, 4, v26
	v_add_u32_e32 v20, 48, v20
	s_waitcnt vmcnt(5)
	v_fmac_f64_e32 v[18:19], v[42:43], v[62:63]
	v_fmac_f64_e32 v[10:11], v[44:45], v[62:63]
	;; [unrolled: 1-line block ×4, first 2 shown]
	v_fma_f64 v[26:27], -v[44:45], v[64:65], v[18:19]
	v_fmac_f64_e32 v[10:11], v[42:43], v[64:65]
	global_load_dwordx4 v[42:45], v[90:91], off offset:16
	global_load_dwordx4 v[86:89], v[90:91], off
	v_fma_f64 v[62:63], -v[40:41], v[64:65], v[16:17]
	v_fmac_f64_e32 v[12:13], v[38:39], v[64:65]
	v_lshl_add_u64 v[64:65], v[22:23], 4, s[10:11]
	global_load_dwordx4 v[16:19], v[64:65], off
	global_load_dwordx4 v[38:41], v[64:65], off offset:16
	s_waitcnt vmcnt(8)
	v_fmac_f64_e32 v[26:27], v[34:35], v[66:67]
	v_fmac_f64_e32 v[10:11], v[36:37], v[66:67]
	v_fmac_f64_e32 v[62:63], v[30:31], v[66:67]
	v_fmac_f64_e32 v[12:13], v[32:33], v[66:67]
	v_fma_f64 v[26:27], -v[36:37], v[68:69], v[26:27]
	v_fmac_f64_e32 v[10:11], v[34:35], v[68:69]
	v_fma_f64 v[32:33], -v[32:33], v[68:69], v[62:63]
	v_fmac_f64_e32 v[12:13], v[30:31], v[68:69]
	s_waitcnt vmcnt(7)
	v_fmac_f64_e32 v[26:27], v[58:59], v[70:71]
	v_fmac_f64_e32 v[10:11], v[60:61], v[70:71]
	v_fmac_f64_e32 v[32:33], v[54:55], v[70:71]
	v_fmac_f64_e32 v[12:13], v[56:57], v[70:71]
	v_fma_f64 v[26:27], -v[60:61], v[72:73], v[26:27]
	v_fmac_f64_e32 v[10:11], v[58:59], v[72:73]
	v_fma_f64 v[30:31], -v[56:57], v[72:73], v[32:33]
	v_fmac_f64_e32 v[12:13], v[54:55], v[72:73]
	;; [unrolled: 9-line block ×5, first 2 shown]
	s_andn2_b64 exec, exec, s[14:15]
	s_cbranch_execnz .LBB248_11
; %bb.12:
	s_or_b64 exec, exec, s[14:15]
.LBB248_13:
	s_or_b64 exec, exec, s[12:13]
	s_andn2_b64 vcc, exec, s[4:5]
	s_cbranch_vccz .LBB248_15
	s_branch .LBB248_20
.LBB248_14:
                                        ; implicit-def: $vgpr10_vgpr11
                                        ; implicit-def: $vgpr18_vgpr19
                                        ; implicit-def: $vgpr16_vgpr17
                                        ; implicit-def: $vgpr12_vgpr13
.LBB248_15:
	v_mov_b64_e32 v[10:11], 0
	v_mov_b64_e32 v[18:19], v[10:11]
	;; [unrolled: 1-line block ×4, first 2 shown]
	s_and_saveexec_b64 s[4:5], s[0:1]
	s_cbranch_execz .LBB248_19
; %bb.16:
	v_mad_u64_u32 v[20:21], s[0:1], v14, 12, 11
	v_mov_b64_e32 v[10:11], 0
	s_mov_b64 s[0:1], 0
	v_mov_b32_e32 v23, 0
	v_mov_b64_e32 v[18:19], v[10:11]
	v_mov_b64_e32 v[16:17], v[10:11]
	v_mov_b64_e32 v[12:13], v[10:11]
.LBB248_17:                             ; =>This Inner Loop Header: Depth=1
	v_ashrrev_i32_e32 v15, 31, v14
	v_add_u32_e32 v22, -11, v20
	v_lshl_add_u64 v[46:47], v[14:15], 2, s[6:7]
	v_lshl_add_u64 v[48:49], v[22:23], 4, s[8:9]
	global_load_dword v15, v[46:47], off
	global_load_dwordx4 v[30:33], v[48:49], off offset:48
	global_load_dwordx4 v[34:37], v[48:49], off offset:32
	;; [unrolled: 1-line block ×3, first 2 shown]
	global_load_dwordx4 v[42:45], v[48:49], off
	v_add_u32_e32 v26, -5, v20
	v_mov_b32_e32 v27, v23
	v_mov_b32_e32 v21, v23
	;; [unrolled: 1-line block ×3, first 2 shown]
	v_lshl_add_u64 v[26:27], v[26:27], 4, s[8:9]
	v_add_u32_e32 v22, -4, v20
	v_lshl_add_u64 v[58:59], v[20:21], 4, s[8:9]
	v_lshl_add_u64 v[60:61], v[22:23], 4, s[8:9]
	global_load_dwordx4 v[46:49], v[58:59], off
	global_load_dwordx4 v[50:53], v[26:27], off
	;; [unrolled: 1-line block ×3, first 2 shown]
	v_add_u32_e32 v14, 4, v14
	v_cmp_ge_i32_e32 vcc, v14, v28
	s_or_b64 s[0:1], vcc, s[0:1]
	s_waitcnt vmcnt(7)
	v_subrev_u32_e32 v15, s16, v15
	v_mul_lo_u32 v24, v15, 6
	v_lshl_add_u64 v[26:27], v[24:25], 4, s[10:11]
	global_load_dwordx4 v[58:61], v[26:27], off
	global_load_dwordx4 v[62:65], v[26:27], off offset:16
	v_add_u32_e32 v22, 2, v24
	v_lshl_add_u64 v[26:27], v[22:23], 4, s[10:11]
	v_add_u32_e32 v22, -3, v20
	global_load_dwordx4 v[66:69], v[26:27], off
	global_load_dwordx4 v[70:73], v[26:27], off offset:16
	v_lshl_add_u64 v[26:27], v[22:23], 4, s[8:9]
	v_add_u32_e32 v22, -2, v20
	v_lshl_add_u64 v[78:79], v[22:23], 4, s[8:9]
	v_add_u32_e32 v22, -7, v20
	global_load_dwordx4 v[74:77], v[26:27], off
	s_waitcnt vmcnt(4)
	v_fmac_f64_e32 v[18:19], v[42:43], v[58:59]
	v_fmac_f64_e32 v[10:11], v[44:45], v[58:59]
	v_fma_f64 v[80:81], -v[44:45], v[60:61], v[18:19]
	v_fmac_f64_e32 v[10:11], v[42:43], v[60:61]
	v_lshl_add_u64 v[18:19], v[22:23], 4, s[8:9]
	v_add_u32_e32 v22, 4, v24
	v_fmac_f64_e32 v[16:17], v[50:51], v[58:59]
	v_fmac_f64_e32 v[12:13], v[52:53], v[58:59]
	global_load_dwordx4 v[42:45], v[78:79], off
	global_load_dwordx4 v[24:27], v[18:19], off
	v_fma_f64 v[58:59], -v[52:53], v[60:61], v[16:17]
	v_fmac_f64_e32 v[12:13], v[50:51], v[60:61]
	v_lshl_add_u64 v[60:61], v[22:23], 4, s[10:11]
	v_add_u32_e32 v22, -1, v20
	s_waitcnt vmcnt(5)
	v_fmac_f64_e32 v[10:11], v[40:41], v[62:63]
	v_fmac_f64_e32 v[80:81], v[38:39], v[62:63]
	;; [unrolled: 1-line block ×3, first 2 shown]
	v_lshl_add_u64 v[38:39], v[22:23], 4, s[8:9]
	global_load_dwordx4 v[50:53], v[60:61], off offset:16
	global_load_dwordx4 v[16:19], v[60:61], off
	v_fma_f64 v[60:61], -v[40:41], v[64:65], v[80:81]
	v_add_u32_e32 v22, -6, v20
	global_load_dwordx4 v[38:41], v[38:39], off
	v_fmac_f64_e32 v[12:13], v[56:57], v[62:63]
	v_fmac_f64_e32 v[58:59], v[54:55], v[62:63]
	;; [unrolled: 1-line block ×3, first 2 shown]
	v_lshl_add_u64 v[54:55], v[22:23], 4, s[8:9]
	v_fma_f64 v[58:59], -v[56:57], v[64:65], v[58:59]
	global_load_dwordx4 v[54:57], v[54:55], off
	s_waitcnt vmcnt(8)
	v_fmac_f64_e32 v[60:61], v[34:35], v[66:67]
	v_fmac_f64_e32 v[10:11], v[36:37], v[66:67]
	s_waitcnt vmcnt(6)
	v_fmac_f64_e32 v[58:59], v[74:75], v[66:67]
	v_fmac_f64_e32 v[12:13], v[76:77], v[66:67]
	v_fma_f64 v[36:37], -v[36:37], v[68:69], v[60:61]
	v_fmac_f64_e32 v[10:11], v[34:35], v[68:69]
	v_fma_f64 v[34:35], -v[76:77], v[68:69], v[58:59]
	v_fmac_f64_e32 v[12:13], v[74:75], v[68:69]
	v_fmac_f64_e32 v[36:37], v[30:31], v[70:71]
	;; [unrolled: 1-line block ×3, first 2 shown]
	v_fma_f64 v[32:33], -v[32:33], v[72:73], v[36:37]
	v_fmac_f64_e32 v[10:11], v[30:31], v[72:73]
	v_add_u32_e32 v20, 48, v20
	s_waitcnt vmcnt(5)
	v_fmac_f64_e32 v[34:35], v[42:43], v[70:71]
	v_fmac_f64_e32 v[12:13], v[44:45], v[70:71]
	v_fma_f64 v[30:31], -v[44:45], v[72:73], v[34:35]
	v_fmac_f64_e32 v[12:13], v[42:43], v[72:73]
	s_waitcnt vmcnt(2)
	v_fmac_f64_e32 v[32:33], v[24:25], v[16:17]
	v_fmac_f64_e32 v[10:11], v[26:27], v[16:17]
	;; [unrolled: 1-line block ×3, first 2 shown]
	s_waitcnt vmcnt(1)
	v_fmac_f64_e32 v[30:31], v[38:39], v[16:17]
	v_fmac_f64_e32 v[12:13], v[40:41], v[16:17]
	v_fma_f64 v[16:17], -v[26:27], v[18:19], v[32:33]
	v_fma_f64 v[24:25], -v[40:41], v[18:19], v[30:31]
	v_fmac_f64_e32 v[12:13], v[38:39], v[18:19]
	v_fmac_f64_e32 v[24:25], v[46:47], v[50:51]
	s_waitcnt vmcnt(0)
	v_fmac_f64_e32 v[16:17], v[54:55], v[50:51]
	v_fmac_f64_e32 v[10:11], v[56:57], v[50:51]
	;; [unrolled: 1-line block ×3, first 2 shown]
	v_fma_f64 v[18:19], -v[56:57], v[52:53], v[16:17]
	v_fmac_f64_e32 v[10:11], v[54:55], v[52:53]
	v_fma_f64 v[16:17], -v[48:49], v[52:53], v[24:25]
	v_fmac_f64_e32 v[12:13], v[46:47], v[52:53]
	s_andn2_b64 exec, exec, s[0:1]
	s_cbranch_execnz .LBB248_17
; %bb.18:
	s_or_b64 exec, exec, s[0:1]
.LBB248_19:
	s_or_b64 exec, exec, s[4:5]
.LBB248_20:
	v_mov_b32_dpp v22, v16 row_shr:1 row_mask:0xf bank_mask:0xf
	v_mov_b32_dpp v23, v17 row_shr:1 row_mask:0xf bank_mask:0xf
	;; [unrolled: 1-line block ×6, first 2 shown]
	v_add_f64 v[22:23], v[16:17], v[22:23]
	v_mov_b32_dpp v16, v12 row_shr:1 row_mask:0xf bank_mask:0xf
	v_mov_b32_dpp v17, v13 row_shr:1 row_mask:0xf bank_mask:0xf
	v_add_f64 v[14:15], v[18:19], v[14:15]
	v_add_f64 v[10:11], v[10:11], v[20:21]
	;; [unrolled: 1-line block ×3, first 2 shown]
	v_mov_b32_dpp v18, v14 row_shr:2 row_mask:0xf bank_mask:0xf
	v_mov_b32_dpp v19, v15 row_shr:2 row_mask:0xf bank_mask:0xf
	;; [unrolled: 1-line block ×8, first 2 shown]
	v_cmp_eq_u32_e32 vcc, 3, v9
	s_and_b64 exec, exec, vcc
	s_cbranch_execz .LBB248_25
; %bb.21:
	s_load_dwordx2 s[2:3], s[2:3], 0x48
	v_cmp_eq_f64_e32 vcc, 0, v[4:5]
	v_cmp_eq_f64_e64 s[0:1], 0, v[6:7]
	v_add_f64 v[14:15], v[14:15], v[18:19]
	v_add_f64 v[16:17], v[10:11], v[20:21]
	;; [unrolled: 1-line block ×4, first 2 shown]
	s_and_b64 s[0:1], vcc, s[0:1]
	s_and_saveexec_b64 s[4:5], s[0:1]
	s_xor_b64 s[0:1], exec, s[4:5]
	s_cbranch_execz .LBB248_23
; %bb.22:
	v_lshlrev_b32_e32 v8, 1, v8
	v_mul_f64 v[4:5], v[16:17], -v[2:3]
	v_mul_f64 v[6:7], v[0:1], v[16:17]
	v_ashrrev_i32_e32 v9, 31, v8
	v_fmac_f64_e32 v[4:5], v[0:1], v[14:15]
	v_fmac_f64_e32 v[6:7], v[2:3], v[14:15]
	s_waitcnt lgkmcnt(0)
	v_lshl_add_u64 v[8:9], v[8:9], 4, s[2:3]
	global_store_dwordx4 v[8:9], v[4:7], off
                                        ; implicit-def: $vgpr14_vgpr15
                                        ; implicit-def: $vgpr16_vgpr17
	s_nop 1
	v_mul_f64 v[4:5], v[12:13], -v[2:3]
	v_mul_f64 v[6:7], v[0:1], v[12:13]
	v_fmac_f64_e32 v[4:5], v[0:1], v[10:11]
	v_fmac_f64_e32 v[6:7], v[2:3], v[10:11]
	global_store_dwordx4 v[8:9], v[4:7], off offset:16
                                        ; implicit-def: $vgpr0_vgpr1
                                        ; implicit-def: $vgpr2_vgpr3
                                        ; implicit-def: $vgpr4_vgpr5
                                        ; implicit-def: $vgpr6_vgpr7
                                        ; implicit-def: $vgpr8
                                        ; implicit-def: $vgpr10_vgpr11
                                        ; implicit-def: $vgpr12_vgpr13
.LBB248_23:
	s_andn2_saveexec_b64 s[0:1], s[0:1]
	s_cbranch_execz .LBB248_25
; %bb.24:
	v_lshlrev_b32_e32 v8, 1, v8
	v_ashrrev_i32_e32 v9, 31, v8
	s_waitcnt lgkmcnt(0)
	v_lshl_add_u64 v[26:27], v[8:9], 4, s[2:3]
	global_load_dwordx4 v[18:21], v[26:27], off
	global_load_dwordx4 v[22:25], v[26:27], off offset:16
	v_mul_f64 v[28:29], v[16:17], -v[2:3]
	v_mul_f64 v[16:17], v[0:1], v[16:17]
	v_mul_f64 v[30:31], v[12:13], -v[2:3]
	v_mul_f64 v[8:9], v[0:1], v[12:13]
	v_fmac_f64_e32 v[28:29], v[0:1], v[14:15]
	v_fmac_f64_e32 v[16:17], v[2:3], v[14:15]
	;; [unrolled: 1-line block ×4, first 2 shown]
	s_waitcnt vmcnt(1)
	v_fmac_f64_e32 v[28:29], v[4:5], v[18:19]
	v_fmac_f64_e32 v[16:17], v[6:7], v[18:19]
	s_waitcnt vmcnt(0)
	v_fmac_f64_e32 v[30:31], v[4:5], v[22:23]
	v_fmac_f64_e32 v[8:9], v[6:7], v[22:23]
	v_fma_f64 v[14:15], -v[6:7], v[20:21], v[28:29]
	v_fmac_f64_e32 v[16:17], v[4:5], v[20:21]
	v_fma_f64 v[6:7], -v[6:7], v[24:25], v[30:31]
	v_fmac_f64_e32 v[8:9], v[4:5], v[24:25]
	global_store_dwordx4 v[26:27], v[14:17], off
	global_store_dwordx4 v[26:27], v[6:9], off offset:16
.LBB248_25:
	s_endpgm
	.section	.rodata,"a",@progbits
	.p2align	6, 0x0
	.amdhsa_kernel _ZN9rocsparseL19gebsrmvn_2xn_kernelILj128ELj6ELj4E21rocsparse_complex_numIdEEEvi20rocsparse_direction_NS_24const_host_device_scalarIT2_EEPKiS8_PKS5_SA_S6_PS5_21rocsparse_index_base_b
		.amdhsa_group_segment_fixed_size 2048
		.amdhsa_private_segment_fixed_size 0
		.amdhsa_kernarg_size 88
		.amdhsa_user_sgpr_count 4
		.amdhsa_user_sgpr_dispatch_ptr 1
		.amdhsa_user_sgpr_queue_ptr 0
		.amdhsa_user_sgpr_kernarg_segment_ptr 1
		.amdhsa_user_sgpr_dispatch_id 0
		.amdhsa_user_sgpr_kernarg_preload_length 0
		.amdhsa_user_sgpr_kernarg_preload_offset 0
		.amdhsa_user_sgpr_private_segment_size 0
		.amdhsa_uses_dynamic_stack 0
		.amdhsa_enable_private_segment 0
		.amdhsa_system_sgpr_workgroup_id_x 1
		.amdhsa_system_sgpr_workgroup_id_y 0
		.amdhsa_system_sgpr_workgroup_id_z 0
		.amdhsa_system_sgpr_workgroup_info 0
		.amdhsa_system_vgpr_workitem_id 2
		.amdhsa_next_free_vgpr 92
		.amdhsa_next_free_sgpr 20
		.amdhsa_accum_offset 92
		.amdhsa_reserve_vcc 1
		.amdhsa_float_round_mode_32 0
		.amdhsa_float_round_mode_16_64 0
		.amdhsa_float_denorm_mode_32 3
		.amdhsa_float_denorm_mode_16_64 3
		.amdhsa_dx10_clamp 1
		.amdhsa_ieee_mode 1
		.amdhsa_fp16_overflow 0
		.amdhsa_tg_split 0
		.amdhsa_exception_fp_ieee_invalid_op 0
		.amdhsa_exception_fp_denorm_src 0
		.amdhsa_exception_fp_ieee_div_zero 0
		.amdhsa_exception_fp_ieee_overflow 0
		.amdhsa_exception_fp_ieee_underflow 0
		.amdhsa_exception_fp_ieee_inexact 0
		.amdhsa_exception_int_div_zero 0
	.end_amdhsa_kernel
	.section	.text._ZN9rocsparseL19gebsrmvn_2xn_kernelILj128ELj6ELj4E21rocsparse_complex_numIdEEEvi20rocsparse_direction_NS_24const_host_device_scalarIT2_EEPKiS8_PKS5_SA_S6_PS5_21rocsparse_index_base_b,"axG",@progbits,_ZN9rocsparseL19gebsrmvn_2xn_kernelILj128ELj6ELj4E21rocsparse_complex_numIdEEEvi20rocsparse_direction_NS_24const_host_device_scalarIT2_EEPKiS8_PKS5_SA_S6_PS5_21rocsparse_index_base_b,comdat
.Lfunc_end248:
	.size	_ZN9rocsparseL19gebsrmvn_2xn_kernelILj128ELj6ELj4E21rocsparse_complex_numIdEEEvi20rocsparse_direction_NS_24const_host_device_scalarIT2_EEPKiS8_PKS5_SA_S6_PS5_21rocsparse_index_base_b, .Lfunc_end248-_ZN9rocsparseL19gebsrmvn_2xn_kernelILj128ELj6ELj4E21rocsparse_complex_numIdEEEvi20rocsparse_direction_NS_24const_host_device_scalarIT2_EEPKiS8_PKS5_SA_S6_PS5_21rocsparse_index_base_b
                                        ; -- End function
	.section	.AMDGPU.csdata,"",@progbits
; Kernel info:
; codeLenInByte = 2224
; NumSgprs: 26
; NumVgprs: 92
; NumAgprs: 0
; TotalNumVgprs: 92
; ScratchSize: 0
; MemoryBound: 0
; FloatMode: 240
; IeeeMode: 1
; LDSByteSize: 2048 bytes/workgroup (compile time only)
; SGPRBlocks: 3
; VGPRBlocks: 11
; NumSGPRsForWavesPerEU: 26
; NumVGPRsForWavesPerEU: 92
; AccumOffset: 92
; Occupancy: 5
; WaveLimiterHint : 1
; COMPUTE_PGM_RSRC2:SCRATCH_EN: 0
; COMPUTE_PGM_RSRC2:USER_SGPR: 4
; COMPUTE_PGM_RSRC2:TRAP_HANDLER: 0
; COMPUTE_PGM_RSRC2:TGID_X_EN: 1
; COMPUTE_PGM_RSRC2:TGID_Y_EN: 0
; COMPUTE_PGM_RSRC2:TGID_Z_EN: 0
; COMPUTE_PGM_RSRC2:TIDIG_COMP_CNT: 2
; COMPUTE_PGM_RSRC3_GFX90A:ACCUM_OFFSET: 22
; COMPUTE_PGM_RSRC3_GFX90A:TG_SPLIT: 0
	.section	.text._ZN9rocsparseL19gebsrmvn_2xn_kernelILj128ELj6ELj8E21rocsparse_complex_numIdEEEvi20rocsparse_direction_NS_24const_host_device_scalarIT2_EEPKiS8_PKS5_SA_S6_PS5_21rocsparse_index_base_b,"axG",@progbits,_ZN9rocsparseL19gebsrmvn_2xn_kernelILj128ELj6ELj8E21rocsparse_complex_numIdEEEvi20rocsparse_direction_NS_24const_host_device_scalarIT2_EEPKiS8_PKS5_SA_S6_PS5_21rocsparse_index_base_b,comdat
	.globl	_ZN9rocsparseL19gebsrmvn_2xn_kernelILj128ELj6ELj8E21rocsparse_complex_numIdEEEvi20rocsparse_direction_NS_24const_host_device_scalarIT2_EEPKiS8_PKS5_SA_S6_PS5_21rocsparse_index_base_b ; -- Begin function _ZN9rocsparseL19gebsrmvn_2xn_kernelILj128ELj6ELj8E21rocsparse_complex_numIdEEEvi20rocsparse_direction_NS_24const_host_device_scalarIT2_EEPKiS8_PKS5_SA_S6_PS5_21rocsparse_index_base_b
	.p2align	8
	.type	_ZN9rocsparseL19gebsrmvn_2xn_kernelILj128ELj6ELj8E21rocsparse_complex_numIdEEEvi20rocsparse_direction_NS_24const_host_device_scalarIT2_EEPKiS8_PKS5_SA_S6_PS5_21rocsparse_index_base_b,@function
_ZN9rocsparseL19gebsrmvn_2xn_kernelILj128ELj6ELj8E21rocsparse_complex_numIdEEEvi20rocsparse_direction_NS_24const_host_device_scalarIT2_EEPKiS8_PKS5_SA_S6_PS5_21rocsparse_index_base_b: ; @_ZN9rocsparseL19gebsrmvn_2xn_kernelILj128ELj6ELj8E21rocsparse_complex_numIdEEEvi20rocsparse_direction_NS_24const_host_device_scalarIT2_EEPKiS8_PKS5_SA_S6_PS5_21rocsparse_index_base_b
; %bb.0:
	s_load_dwordx2 s[16:17], s[2:3], 0x50
	s_load_dwordx4 s[12:15], s[2:3], 0x8
	s_load_dwordx4 s[8:11], s[2:3], 0x38
	s_load_dwordx2 s[18:19], s[0:1], 0x4
	s_mov_b64 s[6:7], src_shared_base
	s_waitcnt lgkmcnt(0)
	s_bitcmp1_b32 s17, 0
	s_cselect_b64 s[0:1], -1, 0
	s_and_b64 vcc, s[0:1], exec
	s_cselect_b32 s5, s7, s13
	s_lshr_b32 s6, s18, 16
	v_bfe_u32 v1, v0, 10, 10
	v_and_b32_e32 v10, 0x3ff, v0
	s_mul_i32 s6, s6, s19
	v_mul_u32_u24_e32 v1, s19, v1
	v_mad_u32_u24 v1, s6, v10, v1
	v_bfe_u32 v0, v0, 20, 10
	v_add_lshl_u32 v4, v1, v0, 3
	v_mov_b32_e32 v5, s12
	v_add_u32_e32 v6, 0x400, v4
	v_mov_b64_e32 v[0:1], s[12:13]
	v_mov_b64_e32 v[2:3], s[8:9]
	ds_write2st64_b64 v4, v[2:3], v[0:1] offset1:2
	v_cndmask_b32_e64 v0, v5, v6, s[0:1]
	v_mov_b32_e32 v1, s5
	flat_load_dwordx2 v[0:1], v[0:1]
	s_xor_b64 s[18:19], s[0:1], -1
	v_mov_b64_e32 v[2:3], s[14:15]
	s_cbranch_vccnz .LBB249_2
; %bb.1:
	v_mov_b64_e32 v[2:3], s[12:13]
	flat_load_dwordx2 v[2:3], v[2:3] offset:8
.LBB249_2:
	s_and_b64 s[12:13], s[0:1], exec
	s_cselect_b32 s5, s7, s9
	v_mov_b32_e32 v5, s8
	v_cndmask_b32_e64 v4, v5, v4, s[0:1]
	v_mov_b32_e32 v5, s5
	flat_load_dwordx2 v[4:5], v[4:5]
	s_andn2_b64 vcc, exec, s[18:19]
	v_mov_b64_e32 v[6:7], s[10:11]
	s_cbranch_vccnz .LBB249_4
; %bb.3:
	v_mov_b64_e32 v[6:7], s[8:9]
	flat_load_dwordx2 v[6:7], v[6:7] offset:8
.LBB249_4:
	s_waitcnt vmcnt(0) lgkmcnt(0)
	v_cmp_eq_f64_e32 vcc, 0, v[0:1]
	v_cmp_eq_f64_e64 s[0:1], 0, v[2:3]
	s_and_b64 s[8:9], vcc, s[0:1]
	s_mov_b64 s[0:1], -1
	s_and_saveexec_b64 s[6:7], s[8:9]
; %bb.5:
	v_cmp_neq_f64_e32 vcc, 1.0, v[4:5]
	v_cmp_neq_f64_e64 s[0:1], 0, v[6:7]
	s_or_b64 s[0:1], vcc, s[0:1]
	s_orn2_b64 s[0:1], s[0:1], exec
; %bb.6:
	s_or_b64 exec, exec, s[6:7]
	s_and_saveexec_b64 s[6:7], s[0:1]
	s_cbranch_execz .LBB249_25
; %bb.7:
	s_load_dwordx2 s[0:1], s[2:3], 0x0
	v_lshrrev_b32_e32 v8, 3, v10
	v_lshl_or_b32 v8, s4, 4, v8
	s_waitcnt lgkmcnt(0)
	v_cmp_gt_i32_e32 vcc, s0, v8
	s_and_b64 exec, exec, vcc
	s_cbranch_execz .LBB249_25
; %bb.8:
	s_load_dwordx8 s[4:11], s[2:3], 0x18
	v_ashrrev_i32_e32 v9, 31, v8
	s_cmp_lg_u32 s1, 0
	s_waitcnt lgkmcnt(0)
	v_lshl_add_u64 v[12:13], v[8:9], 2, s[4:5]
	global_load_dwordx2 v[12:13], v[12:13], off
	v_and_b32_e32 v9, 7, v10
	s_waitcnt vmcnt(0)
	v_subrev_u32_e32 v10, s16, v12
	v_subrev_u32_e32 v28, s16, v13
	v_add_u32_e32 v14, v10, v9
	v_cmp_lt_i32_e64 s[0:1], v14, v28
	s_cbranch_scc0 .LBB249_14
; %bb.9:
	v_mov_b64_e32 v[10:11], 0
	s_mov_b64 s[4:5], 0
	v_mov_b64_e32 v[18:19], v[10:11]
	v_mov_b64_e32 v[16:17], v[10:11]
	;; [unrolled: 1-line block ×3, first 2 shown]
	s_and_saveexec_b64 s[12:13], s[0:1]
	s_cbranch_execz .LBB249_13
; %bb.10:
	v_mad_u64_u32 v[20:21], s[14:15], v14, 12, 10
	v_mov_b64_e32 v[10:11], 0
	s_mov_b64 s[14:15], 0
	v_mov_b32_e32 v23, 0
	v_mov_b32_e32 v24, v14
	v_mov_b64_e32 v[18:19], v[10:11]
	v_mov_b64_e32 v[16:17], v[10:11]
	v_mov_b64_e32 v[12:13], v[10:11]
.LBB249_11:                             ; =>This Inner Loop Header: Depth=1
	v_ashrrev_i32_e32 v25, 31, v24
	v_add_u32_e32 v22, -10, v20
	v_lshl_add_u64 v[46:47], v[24:25], 2, s[6:7]
	v_lshl_add_u64 v[48:49], v[22:23], 4, s[8:9]
	global_load_dword v15, v[46:47], off
	global_load_dwordx4 v[30:33], v[48:49], off offset:48
	global_load_dwordx4 v[34:37], v[48:49], off offset:32
	;; [unrolled: 1-line block ×3, first 2 shown]
	global_load_dwordx4 v[42:45], v[48:49], off
	v_mov_b32_e32 v27, v23
	v_mov_b32_e32 v21, v23
	v_add_u32_e32 v22, -6, v20
	v_lshl_add_u64 v[62:63], v[20:21], 4, s[8:9]
	v_lshl_add_u64 v[64:65], v[22:23], 4, s[8:9]
	global_load_dwordx4 v[46:49], v[62:63], off
	global_load_dwordx4 v[50:53], v[62:63], off offset:16
	global_load_dwordx4 v[54:57], v[64:65], off offset:16
	global_load_dwordx4 v[58:61], v[64:65], off
	v_add_u32_e32 v24, 8, v24
	v_cmp_ge_i32_e32 vcc, v24, v28
	s_or_b64 s[14:15], vcc, s[14:15]
	s_waitcnt vmcnt(8)
	v_subrev_u32_e32 v15, s16, v15
	v_mul_lo_u32 v26, v15, 6
	v_lshl_add_u64 v[70:71], v[26:27], 4, s[10:11]
	global_load_dwordx4 v[62:65], v[70:71], off
	global_load_dwordx4 v[66:69], v[70:71], off offset:16
	v_add_u32_e32 v22, 2, v26
	v_lshl_add_u64 v[78:79], v[22:23], 4, s[10:11]
	v_add_u32_e32 v22, -4, v20
	global_load_dwordx4 v[70:73], v[78:79], off
	global_load_dwordx4 v[74:77], v[78:79], off offset:16
	v_lshl_add_u64 v[86:87], v[22:23], 4, s[8:9]
	v_add_u32_e32 v22, -2, v20
	global_load_dwordx4 v[78:81], v[86:87], off offset:16
	global_load_dwordx4 v[82:85], v[86:87], off
	v_lshl_add_u64 v[90:91], v[22:23], 4, s[8:9]
	v_add_u32_e32 v22, 4, v26
	v_add_u32_e32 v20, 0x60, v20
	s_waitcnt vmcnt(5)
	v_fmac_f64_e32 v[18:19], v[42:43], v[62:63]
	v_fmac_f64_e32 v[10:11], v[44:45], v[62:63]
	;; [unrolled: 1-line block ×4, first 2 shown]
	v_fma_f64 v[26:27], -v[44:45], v[64:65], v[18:19]
	v_fmac_f64_e32 v[10:11], v[42:43], v[64:65]
	global_load_dwordx4 v[42:45], v[90:91], off offset:16
	global_load_dwordx4 v[86:89], v[90:91], off
	v_fma_f64 v[62:63], -v[40:41], v[64:65], v[16:17]
	v_fmac_f64_e32 v[12:13], v[38:39], v[64:65]
	v_lshl_add_u64 v[64:65], v[22:23], 4, s[10:11]
	global_load_dwordx4 v[16:19], v[64:65], off
	global_load_dwordx4 v[38:41], v[64:65], off offset:16
	s_waitcnt vmcnt(8)
	v_fmac_f64_e32 v[26:27], v[34:35], v[66:67]
	v_fmac_f64_e32 v[10:11], v[36:37], v[66:67]
	v_fmac_f64_e32 v[62:63], v[30:31], v[66:67]
	v_fmac_f64_e32 v[12:13], v[32:33], v[66:67]
	v_fma_f64 v[26:27], -v[36:37], v[68:69], v[26:27]
	v_fmac_f64_e32 v[10:11], v[34:35], v[68:69]
	v_fma_f64 v[32:33], -v[32:33], v[68:69], v[62:63]
	v_fmac_f64_e32 v[12:13], v[30:31], v[68:69]
	s_waitcnt vmcnt(7)
	v_fmac_f64_e32 v[26:27], v[58:59], v[70:71]
	v_fmac_f64_e32 v[10:11], v[60:61], v[70:71]
	v_fmac_f64_e32 v[32:33], v[54:55], v[70:71]
	v_fmac_f64_e32 v[12:13], v[56:57], v[70:71]
	v_fma_f64 v[26:27], -v[60:61], v[72:73], v[26:27]
	v_fmac_f64_e32 v[10:11], v[58:59], v[72:73]
	v_fma_f64 v[30:31], -v[56:57], v[72:73], v[32:33]
	v_fmac_f64_e32 v[12:13], v[54:55], v[72:73]
	;; [unrolled: 9-line block ×5, first 2 shown]
	s_andn2_b64 exec, exec, s[14:15]
	s_cbranch_execnz .LBB249_11
; %bb.12:
	s_or_b64 exec, exec, s[14:15]
.LBB249_13:
	s_or_b64 exec, exec, s[12:13]
	s_andn2_b64 vcc, exec, s[4:5]
	s_cbranch_vccz .LBB249_15
	s_branch .LBB249_20
.LBB249_14:
                                        ; implicit-def: $vgpr10_vgpr11
                                        ; implicit-def: $vgpr18_vgpr19
                                        ; implicit-def: $vgpr16_vgpr17
                                        ; implicit-def: $vgpr12_vgpr13
.LBB249_15:
	v_mov_b64_e32 v[10:11], 0
	v_mov_b64_e32 v[18:19], v[10:11]
	;; [unrolled: 1-line block ×4, first 2 shown]
	s_and_saveexec_b64 s[4:5], s[0:1]
	s_cbranch_execz .LBB249_19
; %bb.16:
	v_mad_u64_u32 v[20:21], s[0:1], v14, 12, 11
	v_mov_b64_e32 v[10:11], 0
	s_mov_b64 s[0:1], 0
	v_mov_b32_e32 v23, 0
	v_mov_b64_e32 v[18:19], v[10:11]
	v_mov_b64_e32 v[16:17], v[10:11]
	;; [unrolled: 1-line block ×3, first 2 shown]
.LBB249_17:                             ; =>This Inner Loop Header: Depth=1
	v_ashrrev_i32_e32 v15, 31, v14
	v_add_u32_e32 v22, -11, v20
	v_lshl_add_u64 v[46:47], v[14:15], 2, s[6:7]
	v_lshl_add_u64 v[48:49], v[22:23], 4, s[8:9]
	global_load_dword v15, v[46:47], off
	global_load_dwordx4 v[30:33], v[48:49], off offset:48
	global_load_dwordx4 v[34:37], v[48:49], off offset:32
	;; [unrolled: 1-line block ×3, first 2 shown]
	global_load_dwordx4 v[42:45], v[48:49], off
	v_add_u32_e32 v26, -5, v20
	v_mov_b32_e32 v27, v23
	v_mov_b32_e32 v21, v23
	;; [unrolled: 1-line block ×3, first 2 shown]
	v_lshl_add_u64 v[26:27], v[26:27], 4, s[8:9]
	v_add_u32_e32 v22, -4, v20
	v_lshl_add_u64 v[58:59], v[20:21], 4, s[8:9]
	v_lshl_add_u64 v[60:61], v[22:23], 4, s[8:9]
	global_load_dwordx4 v[46:49], v[58:59], off
	global_load_dwordx4 v[50:53], v[26:27], off
	;; [unrolled: 1-line block ×3, first 2 shown]
	v_add_u32_e32 v14, 8, v14
	v_cmp_ge_i32_e32 vcc, v14, v28
	s_or_b64 s[0:1], vcc, s[0:1]
	s_waitcnt vmcnt(7)
	v_subrev_u32_e32 v15, s16, v15
	v_mul_lo_u32 v24, v15, 6
	v_lshl_add_u64 v[26:27], v[24:25], 4, s[10:11]
	global_load_dwordx4 v[58:61], v[26:27], off
	global_load_dwordx4 v[62:65], v[26:27], off offset:16
	v_add_u32_e32 v22, 2, v24
	v_lshl_add_u64 v[26:27], v[22:23], 4, s[10:11]
	v_add_u32_e32 v22, -3, v20
	global_load_dwordx4 v[66:69], v[26:27], off
	global_load_dwordx4 v[70:73], v[26:27], off offset:16
	v_lshl_add_u64 v[26:27], v[22:23], 4, s[8:9]
	v_add_u32_e32 v22, -2, v20
	v_lshl_add_u64 v[78:79], v[22:23], 4, s[8:9]
	v_add_u32_e32 v22, -7, v20
	global_load_dwordx4 v[74:77], v[26:27], off
	s_waitcnt vmcnt(4)
	v_fmac_f64_e32 v[18:19], v[42:43], v[58:59]
	v_fmac_f64_e32 v[10:11], v[44:45], v[58:59]
	v_fma_f64 v[80:81], -v[44:45], v[60:61], v[18:19]
	v_fmac_f64_e32 v[10:11], v[42:43], v[60:61]
	v_lshl_add_u64 v[18:19], v[22:23], 4, s[8:9]
	v_add_u32_e32 v22, 4, v24
	v_fmac_f64_e32 v[16:17], v[50:51], v[58:59]
	v_fmac_f64_e32 v[12:13], v[52:53], v[58:59]
	global_load_dwordx4 v[42:45], v[78:79], off
	global_load_dwordx4 v[24:27], v[18:19], off
	v_fma_f64 v[58:59], -v[52:53], v[60:61], v[16:17]
	v_fmac_f64_e32 v[12:13], v[50:51], v[60:61]
	v_lshl_add_u64 v[60:61], v[22:23], 4, s[10:11]
	v_add_u32_e32 v22, -1, v20
	s_waitcnt vmcnt(5)
	v_fmac_f64_e32 v[10:11], v[40:41], v[62:63]
	v_fmac_f64_e32 v[80:81], v[38:39], v[62:63]
	;; [unrolled: 1-line block ×3, first 2 shown]
	v_lshl_add_u64 v[38:39], v[22:23], 4, s[8:9]
	global_load_dwordx4 v[50:53], v[60:61], off offset:16
	global_load_dwordx4 v[16:19], v[60:61], off
	v_fma_f64 v[60:61], -v[40:41], v[64:65], v[80:81]
	v_add_u32_e32 v22, -6, v20
	global_load_dwordx4 v[38:41], v[38:39], off
	v_fmac_f64_e32 v[12:13], v[56:57], v[62:63]
	v_fmac_f64_e32 v[58:59], v[54:55], v[62:63]
	;; [unrolled: 1-line block ×3, first 2 shown]
	v_lshl_add_u64 v[54:55], v[22:23], 4, s[8:9]
	v_fma_f64 v[58:59], -v[56:57], v[64:65], v[58:59]
	global_load_dwordx4 v[54:57], v[54:55], off
	s_waitcnt vmcnt(8)
	v_fmac_f64_e32 v[60:61], v[34:35], v[66:67]
	v_fmac_f64_e32 v[10:11], v[36:37], v[66:67]
	s_waitcnt vmcnt(6)
	v_fmac_f64_e32 v[58:59], v[74:75], v[66:67]
	v_fmac_f64_e32 v[12:13], v[76:77], v[66:67]
	v_fma_f64 v[36:37], -v[36:37], v[68:69], v[60:61]
	v_fmac_f64_e32 v[10:11], v[34:35], v[68:69]
	v_fma_f64 v[34:35], -v[76:77], v[68:69], v[58:59]
	v_fmac_f64_e32 v[12:13], v[74:75], v[68:69]
	v_fmac_f64_e32 v[36:37], v[30:31], v[70:71]
	;; [unrolled: 1-line block ×3, first 2 shown]
	v_fma_f64 v[32:33], -v[32:33], v[72:73], v[36:37]
	v_fmac_f64_e32 v[10:11], v[30:31], v[72:73]
	v_add_u32_e32 v20, 0x60, v20
	s_waitcnt vmcnt(5)
	v_fmac_f64_e32 v[34:35], v[42:43], v[70:71]
	v_fmac_f64_e32 v[12:13], v[44:45], v[70:71]
	v_fma_f64 v[30:31], -v[44:45], v[72:73], v[34:35]
	v_fmac_f64_e32 v[12:13], v[42:43], v[72:73]
	s_waitcnt vmcnt(2)
	v_fmac_f64_e32 v[32:33], v[24:25], v[16:17]
	v_fmac_f64_e32 v[10:11], v[26:27], v[16:17]
	;; [unrolled: 1-line block ×3, first 2 shown]
	s_waitcnt vmcnt(1)
	v_fmac_f64_e32 v[30:31], v[38:39], v[16:17]
	v_fmac_f64_e32 v[12:13], v[40:41], v[16:17]
	v_fma_f64 v[16:17], -v[26:27], v[18:19], v[32:33]
	v_fma_f64 v[24:25], -v[40:41], v[18:19], v[30:31]
	v_fmac_f64_e32 v[12:13], v[38:39], v[18:19]
	v_fmac_f64_e32 v[24:25], v[46:47], v[50:51]
	s_waitcnt vmcnt(0)
	v_fmac_f64_e32 v[16:17], v[54:55], v[50:51]
	v_fmac_f64_e32 v[10:11], v[56:57], v[50:51]
	;; [unrolled: 1-line block ×3, first 2 shown]
	v_fma_f64 v[18:19], -v[56:57], v[52:53], v[16:17]
	v_fmac_f64_e32 v[10:11], v[54:55], v[52:53]
	v_fma_f64 v[16:17], -v[48:49], v[52:53], v[24:25]
	v_fmac_f64_e32 v[12:13], v[46:47], v[52:53]
	s_andn2_b64 exec, exec, s[0:1]
	s_cbranch_execnz .LBB249_17
; %bb.18:
	s_or_b64 exec, exec, s[0:1]
.LBB249_19:
	s_or_b64 exec, exec, s[4:5]
.LBB249_20:
	v_mov_b32_dpp v22, v16 row_shr:1 row_mask:0xf bank_mask:0xf
	v_mov_b32_dpp v23, v17 row_shr:1 row_mask:0xf bank_mask:0xf
	v_add_f64 v[16:17], v[16:17], v[22:23]
	v_mov_b32_dpp v14, v18 row_shr:1 row_mask:0xf bank_mask:0xf
	v_mov_b32_dpp v15, v19 row_shr:1 row_mask:0xf bank_mask:0xf
	;; [unrolled: 1-line block ×6, first 2 shown]
	v_add_f64 v[22:23], v[16:17], v[22:23]
	v_mov_b32_dpp v16, v12 row_shr:1 row_mask:0xf bank_mask:0xf
	v_mov_b32_dpp v17, v13 row_shr:1 row_mask:0xf bank_mask:0xf
	v_add_f64 v[14:15], v[18:19], v[14:15]
	v_add_f64 v[10:11], v[10:11], v[20:21]
	;; [unrolled: 1-line block ×3, first 2 shown]
	v_mov_b32_dpp v18, v14 row_shr:2 row_mask:0xf bank_mask:0xf
	v_mov_b32_dpp v19, v15 row_shr:2 row_mask:0xf bank_mask:0xf
	;; [unrolled: 1-line block ×6, first 2 shown]
	v_add_f64 v[14:15], v[14:15], v[18:19]
	v_add_f64 v[10:11], v[10:11], v[20:21]
	;; [unrolled: 1-line block ×3, first 2 shown]
	v_mov_b32_dpp v18, v14 row_shr:4 row_mask:0xf bank_mask:0xe
	v_mov_b32_dpp v19, v15 row_shr:4 row_mask:0xf bank_mask:0xe
	;; [unrolled: 1-line block ×8, first 2 shown]
	v_cmp_eq_u32_e32 vcc, 7, v9
	s_and_b64 exec, exec, vcc
	s_cbranch_execz .LBB249_25
; %bb.21:
	s_load_dwordx2 s[2:3], s[2:3], 0x48
	v_cmp_eq_f64_e32 vcc, 0, v[4:5]
	v_cmp_eq_f64_e64 s[0:1], 0, v[6:7]
	v_add_f64 v[14:15], v[14:15], v[18:19]
	v_add_f64 v[16:17], v[10:11], v[20:21]
	;; [unrolled: 1-line block ×4, first 2 shown]
	s_and_b64 s[0:1], vcc, s[0:1]
	s_and_saveexec_b64 s[4:5], s[0:1]
	s_xor_b64 s[0:1], exec, s[4:5]
	s_cbranch_execz .LBB249_23
; %bb.22:
	v_lshlrev_b32_e32 v8, 1, v8
	v_mul_f64 v[4:5], v[16:17], -v[2:3]
	v_mul_f64 v[6:7], v[0:1], v[16:17]
	v_ashrrev_i32_e32 v9, 31, v8
	v_fmac_f64_e32 v[4:5], v[0:1], v[14:15]
	v_fmac_f64_e32 v[6:7], v[2:3], v[14:15]
	s_waitcnt lgkmcnt(0)
	v_lshl_add_u64 v[8:9], v[8:9], 4, s[2:3]
	global_store_dwordx4 v[8:9], v[4:7], off
                                        ; implicit-def: $vgpr14_vgpr15
                                        ; implicit-def: $vgpr16_vgpr17
	s_nop 1
	v_mul_f64 v[4:5], v[12:13], -v[2:3]
	v_mul_f64 v[6:7], v[0:1], v[12:13]
	v_fmac_f64_e32 v[4:5], v[0:1], v[10:11]
	v_fmac_f64_e32 v[6:7], v[2:3], v[10:11]
	global_store_dwordx4 v[8:9], v[4:7], off offset:16
                                        ; implicit-def: $vgpr0_vgpr1
                                        ; implicit-def: $vgpr2_vgpr3
                                        ; implicit-def: $vgpr4_vgpr5
                                        ; implicit-def: $vgpr6_vgpr7
                                        ; implicit-def: $vgpr8
                                        ; implicit-def: $vgpr10_vgpr11
                                        ; implicit-def: $vgpr12_vgpr13
.LBB249_23:
	s_andn2_saveexec_b64 s[0:1], s[0:1]
	s_cbranch_execz .LBB249_25
; %bb.24:
	v_lshlrev_b32_e32 v8, 1, v8
	v_ashrrev_i32_e32 v9, 31, v8
	s_waitcnt lgkmcnt(0)
	v_lshl_add_u64 v[26:27], v[8:9], 4, s[2:3]
	global_load_dwordx4 v[18:21], v[26:27], off
	global_load_dwordx4 v[22:25], v[26:27], off offset:16
	v_mul_f64 v[28:29], v[16:17], -v[2:3]
	v_mul_f64 v[16:17], v[0:1], v[16:17]
	v_mul_f64 v[30:31], v[12:13], -v[2:3]
	v_mul_f64 v[8:9], v[0:1], v[12:13]
	v_fmac_f64_e32 v[28:29], v[0:1], v[14:15]
	v_fmac_f64_e32 v[16:17], v[2:3], v[14:15]
	;; [unrolled: 1-line block ×4, first 2 shown]
	s_waitcnt vmcnt(1)
	v_fmac_f64_e32 v[28:29], v[4:5], v[18:19]
	v_fmac_f64_e32 v[16:17], v[6:7], v[18:19]
	s_waitcnt vmcnt(0)
	v_fmac_f64_e32 v[30:31], v[4:5], v[22:23]
	v_fmac_f64_e32 v[8:9], v[6:7], v[22:23]
	v_fma_f64 v[14:15], -v[6:7], v[20:21], v[28:29]
	v_fmac_f64_e32 v[16:17], v[4:5], v[20:21]
	v_fma_f64 v[6:7], -v[6:7], v[24:25], v[30:31]
	v_fmac_f64_e32 v[8:9], v[4:5], v[24:25]
	global_store_dwordx4 v[26:27], v[14:17], off
	global_store_dwordx4 v[26:27], v[6:9], off offset:16
.LBB249_25:
	s_endpgm
	.section	.rodata,"a",@progbits
	.p2align	6, 0x0
	.amdhsa_kernel _ZN9rocsparseL19gebsrmvn_2xn_kernelILj128ELj6ELj8E21rocsparse_complex_numIdEEEvi20rocsparse_direction_NS_24const_host_device_scalarIT2_EEPKiS8_PKS5_SA_S6_PS5_21rocsparse_index_base_b
		.amdhsa_group_segment_fixed_size 2048
		.amdhsa_private_segment_fixed_size 0
		.amdhsa_kernarg_size 88
		.amdhsa_user_sgpr_count 4
		.amdhsa_user_sgpr_dispatch_ptr 1
		.amdhsa_user_sgpr_queue_ptr 0
		.amdhsa_user_sgpr_kernarg_segment_ptr 1
		.amdhsa_user_sgpr_dispatch_id 0
		.amdhsa_user_sgpr_kernarg_preload_length 0
		.amdhsa_user_sgpr_kernarg_preload_offset 0
		.amdhsa_user_sgpr_private_segment_size 0
		.amdhsa_uses_dynamic_stack 0
		.amdhsa_enable_private_segment 0
		.amdhsa_system_sgpr_workgroup_id_x 1
		.amdhsa_system_sgpr_workgroup_id_y 0
		.amdhsa_system_sgpr_workgroup_id_z 0
		.amdhsa_system_sgpr_workgroup_info 0
		.amdhsa_system_vgpr_workitem_id 2
		.amdhsa_next_free_vgpr 92
		.amdhsa_next_free_sgpr 20
		.amdhsa_accum_offset 92
		.amdhsa_reserve_vcc 1
		.amdhsa_float_round_mode_32 0
		.amdhsa_float_round_mode_16_64 0
		.amdhsa_float_denorm_mode_32 3
		.amdhsa_float_denorm_mode_16_64 3
		.amdhsa_dx10_clamp 1
		.amdhsa_ieee_mode 1
		.amdhsa_fp16_overflow 0
		.amdhsa_tg_split 0
		.amdhsa_exception_fp_ieee_invalid_op 0
		.amdhsa_exception_fp_denorm_src 0
		.amdhsa_exception_fp_ieee_div_zero 0
		.amdhsa_exception_fp_ieee_overflow 0
		.amdhsa_exception_fp_ieee_underflow 0
		.amdhsa_exception_fp_ieee_inexact 0
		.amdhsa_exception_int_div_zero 0
	.end_amdhsa_kernel
	.section	.text._ZN9rocsparseL19gebsrmvn_2xn_kernelILj128ELj6ELj8E21rocsparse_complex_numIdEEEvi20rocsparse_direction_NS_24const_host_device_scalarIT2_EEPKiS8_PKS5_SA_S6_PS5_21rocsparse_index_base_b,"axG",@progbits,_ZN9rocsparseL19gebsrmvn_2xn_kernelILj128ELj6ELj8E21rocsparse_complex_numIdEEEvi20rocsparse_direction_NS_24const_host_device_scalarIT2_EEPKiS8_PKS5_SA_S6_PS5_21rocsparse_index_base_b,comdat
.Lfunc_end249:
	.size	_ZN9rocsparseL19gebsrmvn_2xn_kernelILj128ELj6ELj8E21rocsparse_complex_numIdEEEvi20rocsparse_direction_NS_24const_host_device_scalarIT2_EEPKiS8_PKS5_SA_S6_PS5_21rocsparse_index_base_b, .Lfunc_end249-_ZN9rocsparseL19gebsrmvn_2xn_kernelILj128ELj6ELj8E21rocsparse_complex_numIdEEEvi20rocsparse_direction_NS_24const_host_device_scalarIT2_EEPKiS8_PKS5_SA_S6_PS5_21rocsparse_index_base_b
                                        ; -- End function
	.section	.AMDGPU.csdata,"",@progbits
; Kernel info:
; codeLenInByte = 2328
; NumSgprs: 26
; NumVgprs: 92
; NumAgprs: 0
; TotalNumVgprs: 92
; ScratchSize: 0
; MemoryBound: 0
; FloatMode: 240
; IeeeMode: 1
; LDSByteSize: 2048 bytes/workgroup (compile time only)
; SGPRBlocks: 3
; VGPRBlocks: 11
; NumSGPRsForWavesPerEU: 26
; NumVGPRsForWavesPerEU: 92
; AccumOffset: 92
; Occupancy: 5
; WaveLimiterHint : 1
; COMPUTE_PGM_RSRC2:SCRATCH_EN: 0
; COMPUTE_PGM_RSRC2:USER_SGPR: 4
; COMPUTE_PGM_RSRC2:TRAP_HANDLER: 0
; COMPUTE_PGM_RSRC2:TGID_X_EN: 1
; COMPUTE_PGM_RSRC2:TGID_Y_EN: 0
; COMPUTE_PGM_RSRC2:TGID_Z_EN: 0
; COMPUTE_PGM_RSRC2:TIDIG_COMP_CNT: 2
; COMPUTE_PGM_RSRC3_GFX90A:ACCUM_OFFSET: 22
; COMPUTE_PGM_RSRC3_GFX90A:TG_SPLIT: 0
	.section	.text._ZN9rocsparseL19gebsrmvn_2xn_kernelILj128ELj6ELj16E21rocsparse_complex_numIdEEEvi20rocsparse_direction_NS_24const_host_device_scalarIT2_EEPKiS8_PKS5_SA_S6_PS5_21rocsparse_index_base_b,"axG",@progbits,_ZN9rocsparseL19gebsrmvn_2xn_kernelILj128ELj6ELj16E21rocsparse_complex_numIdEEEvi20rocsparse_direction_NS_24const_host_device_scalarIT2_EEPKiS8_PKS5_SA_S6_PS5_21rocsparse_index_base_b,comdat
	.globl	_ZN9rocsparseL19gebsrmvn_2xn_kernelILj128ELj6ELj16E21rocsparse_complex_numIdEEEvi20rocsparse_direction_NS_24const_host_device_scalarIT2_EEPKiS8_PKS5_SA_S6_PS5_21rocsparse_index_base_b ; -- Begin function _ZN9rocsparseL19gebsrmvn_2xn_kernelILj128ELj6ELj16E21rocsparse_complex_numIdEEEvi20rocsparse_direction_NS_24const_host_device_scalarIT2_EEPKiS8_PKS5_SA_S6_PS5_21rocsparse_index_base_b
	.p2align	8
	.type	_ZN9rocsparseL19gebsrmvn_2xn_kernelILj128ELj6ELj16E21rocsparse_complex_numIdEEEvi20rocsparse_direction_NS_24const_host_device_scalarIT2_EEPKiS8_PKS5_SA_S6_PS5_21rocsparse_index_base_b,@function
_ZN9rocsparseL19gebsrmvn_2xn_kernelILj128ELj6ELj16E21rocsparse_complex_numIdEEEvi20rocsparse_direction_NS_24const_host_device_scalarIT2_EEPKiS8_PKS5_SA_S6_PS5_21rocsparse_index_base_b: ; @_ZN9rocsparseL19gebsrmvn_2xn_kernelILj128ELj6ELj16E21rocsparse_complex_numIdEEEvi20rocsparse_direction_NS_24const_host_device_scalarIT2_EEPKiS8_PKS5_SA_S6_PS5_21rocsparse_index_base_b
; %bb.0:
	s_load_dwordx2 s[16:17], s[2:3], 0x50
	s_load_dwordx4 s[12:15], s[2:3], 0x8
	s_load_dwordx4 s[8:11], s[2:3], 0x38
	s_load_dwordx2 s[18:19], s[0:1], 0x4
	s_mov_b64 s[6:7], src_shared_base
	s_waitcnt lgkmcnt(0)
	s_bitcmp1_b32 s17, 0
	s_cselect_b64 s[0:1], -1, 0
	s_and_b64 vcc, s[0:1], exec
	s_cselect_b32 s5, s7, s13
	s_lshr_b32 s6, s18, 16
	v_bfe_u32 v1, v0, 10, 10
	v_and_b32_e32 v10, 0x3ff, v0
	s_mul_i32 s6, s6, s19
	v_mul_u32_u24_e32 v1, s19, v1
	v_mad_u32_u24 v1, s6, v10, v1
	v_bfe_u32 v0, v0, 20, 10
	v_add_lshl_u32 v4, v1, v0, 3
	v_mov_b32_e32 v5, s12
	v_add_u32_e32 v6, 0x400, v4
	v_mov_b64_e32 v[0:1], s[12:13]
	v_mov_b64_e32 v[2:3], s[8:9]
	ds_write2st64_b64 v4, v[2:3], v[0:1] offset1:2
	v_cndmask_b32_e64 v0, v5, v6, s[0:1]
	v_mov_b32_e32 v1, s5
	flat_load_dwordx2 v[0:1], v[0:1]
	s_xor_b64 s[18:19], s[0:1], -1
	v_mov_b64_e32 v[2:3], s[14:15]
	s_cbranch_vccnz .LBB250_2
; %bb.1:
	v_mov_b64_e32 v[2:3], s[12:13]
	flat_load_dwordx2 v[2:3], v[2:3] offset:8
.LBB250_2:
	s_and_b64 s[12:13], s[0:1], exec
	s_cselect_b32 s5, s7, s9
	v_mov_b32_e32 v5, s8
	v_cndmask_b32_e64 v4, v5, v4, s[0:1]
	v_mov_b32_e32 v5, s5
	flat_load_dwordx2 v[4:5], v[4:5]
	s_andn2_b64 vcc, exec, s[18:19]
	v_mov_b64_e32 v[6:7], s[10:11]
	s_cbranch_vccnz .LBB250_4
; %bb.3:
	v_mov_b64_e32 v[6:7], s[8:9]
	flat_load_dwordx2 v[6:7], v[6:7] offset:8
.LBB250_4:
	s_waitcnt vmcnt(0) lgkmcnt(0)
	v_cmp_eq_f64_e32 vcc, 0, v[0:1]
	v_cmp_eq_f64_e64 s[0:1], 0, v[2:3]
	s_and_b64 s[8:9], vcc, s[0:1]
	s_mov_b64 s[0:1], -1
	s_and_saveexec_b64 s[6:7], s[8:9]
; %bb.5:
	v_cmp_neq_f64_e32 vcc, 1.0, v[4:5]
	v_cmp_neq_f64_e64 s[0:1], 0, v[6:7]
	s_or_b64 s[0:1], vcc, s[0:1]
	s_orn2_b64 s[0:1], s[0:1], exec
; %bb.6:
	s_or_b64 exec, exec, s[6:7]
	s_and_saveexec_b64 s[6:7], s[0:1]
	s_cbranch_execz .LBB250_25
; %bb.7:
	s_load_dwordx2 s[0:1], s[2:3], 0x0
	v_lshrrev_b32_e32 v8, 4, v10
	v_lshl_or_b32 v8, s4, 3, v8
	s_waitcnt lgkmcnt(0)
	v_cmp_gt_i32_e32 vcc, s0, v8
	s_and_b64 exec, exec, vcc
	s_cbranch_execz .LBB250_25
; %bb.8:
	s_load_dwordx8 s[4:11], s[2:3], 0x18
	v_ashrrev_i32_e32 v9, 31, v8
	s_cmp_lg_u32 s1, 0
	s_waitcnt lgkmcnt(0)
	v_lshl_add_u64 v[12:13], v[8:9], 2, s[4:5]
	global_load_dwordx2 v[12:13], v[12:13], off
	v_and_b32_e32 v9, 15, v10
	s_waitcnt vmcnt(0)
	v_subrev_u32_e32 v10, s16, v12
	v_subrev_u32_e32 v28, s16, v13
	v_add_u32_e32 v14, v10, v9
	v_cmp_lt_i32_e64 s[0:1], v14, v28
	s_cbranch_scc0 .LBB250_14
; %bb.9:
	v_mov_b64_e32 v[12:13], 0
	s_mov_b64 s[4:5], 0
	v_mov_b64_e32 v[18:19], v[12:13]
	v_mov_b64_e32 v[16:17], v[12:13]
	;; [unrolled: 1-line block ×3, first 2 shown]
	s_and_saveexec_b64 s[12:13], s[0:1]
	s_cbranch_execz .LBB250_13
; %bb.10:
	v_mad_u64_u32 v[20:21], s[14:15], v14, 12, 10
	v_mov_b64_e32 v[12:13], 0
	s_mov_b64 s[14:15], 0
	v_mov_b32_e32 v23, 0
	v_mov_b32_e32 v24, v14
	v_mov_b64_e32 v[18:19], v[12:13]
	v_mov_b64_e32 v[16:17], v[12:13]
	;; [unrolled: 1-line block ×3, first 2 shown]
.LBB250_11:                             ; =>This Inner Loop Header: Depth=1
	v_ashrrev_i32_e32 v25, 31, v24
	v_add_u32_e32 v22, -10, v20
	v_lshl_add_u64 v[46:47], v[24:25], 2, s[6:7]
	v_lshl_add_u64 v[48:49], v[22:23], 4, s[8:9]
	global_load_dword v15, v[46:47], off
	global_load_dwordx4 v[30:33], v[48:49], off offset:48
	global_load_dwordx4 v[34:37], v[48:49], off offset:32
	;; [unrolled: 1-line block ×3, first 2 shown]
	global_load_dwordx4 v[42:45], v[48:49], off
	v_mov_b32_e32 v27, v23
	v_mov_b32_e32 v21, v23
	v_add_u32_e32 v22, -6, v20
	v_lshl_add_u64 v[62:63], v[20:21], 4, s[8:9]
	v_lshl_add_u64 v[64:65], v[22:23], 4, s[8:9]
	global_load_dwordx4 v[46:49], v[62:63], off
	global_load_dwordx4 v[50:53], v[62:63], off offset:16
	global_load_dwordx4 v[54:57], v[64:65], off offset:16
	global_load_dwordx4 v[58:61], v[64:65], off
	v_add_u32_e32 v24, 16, v24
	v_cmp_ge_i32_e32 vcc, v24, v28
	s_or_b64 s[14:15], vcc, s[14:15]
	s_waitcnt vmcnt(8)
	v_subrev_u32_e32 v15, s16, v15
	v_mul_lo_u32 v26, v15, 6
	v_lshl_add_u64 v[70:71], v[26:27], 4, s[10:11]
	global_load_dwordx4 v[62:65], v[70:71], off
	global_load_dwordx4 v[66:69], v[70:71], off offset:16
	v_add_u32_e32 v22, 2, v26
	v_lshl_add_u64 v[78:79], v[22:23], 4, s[10:11]
	v_add_u32_e32 v22, -4, v20
	global_load_dwordx4 v[70:73], v[78:79], off
	global_load_dwordx4 v[74:77], v[78:79], off offset:16
	v_lshl_add_u64 v[86:87], v[22:23], 4, s[8:9]
	v_add_u32_e32 v22, -2, v20
	global_load_dwordx4 v[78:81], v[86:87], off offset:16
	global_load_dwordx4 v[82:85], v[86:87], off
	v_lshl_add_u64 v[90:91], v[22:23], 4, s[8:9]
	v_add_u32_e32 v22, 4, v26
	v_add_u32_e32 v20, 0xc0, v20
	s_waitcnt vmcnt(5)
	v_fmac_f64_e32 v[18:19], v[42:43], v[62:63]
	v_fmac_f64_e32 v[12:13], v[44:45], v[62:63]
	;; [unrolled: 1-line block ×4, first 2 shown]
	v_fma_f64 v[26:27], -v[44:45], v[64:65], v[18:19]
	v_fmac_f64_e32 v[12:13], v[42:43], v[64:65]
	global_load_dwordx4 v[42:45], v[90:91], off offset:16
	global_load_dwordx4 v[86:89], v[90:91], off
	v_fma_f64 v[62:63], -v[40:41], v[64:65], v[16:17]
	v_fmac_f64_e32 v[10:11], v[38:39], v[64:65]
	v_lshl_add_u64 v[64:65], v[22:23], 4, s[10:11]
	global_load_dwordx4 v[16:19], v[64:65], off
	global_load_dwordx4 v[38:41], v[64:65], off offset:16
	s_waitcnt vmcnt(8)
	v_fmac_f64_e32 v[26:27], v[34:35], v[66:67]
	v_fmac_f64_e32 v[12:13], v[36:37], v[66:67]
	v_fmac_f64_e32 v[62:63], v[30:31], v[66:67]
	v_fmac_f64_e32 v[10:11], v[32:33], v[66:67]
	v_fma_f64 v[26:27], -v[36:37], v[68:69], v[26:27]
	v_fmac_f64_e32 v[12:13], v[34:35], v[68:69]
	v_fma_f64 v[32:33], -v[32:33], v[68:69], v[62:63]
	v_fmac_f64_e32 v[10:11], v[30:31], v[68:69]
	s_waitcnt vmcnt(7)
	v_fmac_f64_e32 v[26:27], v[58:59], v[70:71]
	v_fmac_f64_e32 v[12:13], v[60:61], v[70:71]
	v_fmac_f64_e32 v[32:33], v[54:55], v[70:71]
	v_fmac_f64_e32 v[10:11], v[56:57], v[70:71]
	v_fma_f64 v[26:27], -v[60:61], v[72:73], v[26:27]
	v_fmac_f64_e32 v[12:13], v[58:59], v[72:73]
	v_fma_f64 v[30:31], -v[56:57], v[72:73], v[32:33]
	v_fmac_f64_e32 v[10:11], v[54:55], v[72:73]
	;; [unrolled: 9-line block ×5, first 2 shown]
	s_andn2_b64 exec, exec, s[14:15]
	s_cbranch_execnz .LBB250_11
; %bb.12:
	s_or_b64 exec, exec, s[14:15]
.LBB250_13:
	s_or_b64 exec, exec, s[12:13]
	s_andn2_b64 vcc, exec, s[4:5]
	s_cbranch_vccz .LBB250_15
	s_branch .LBB250_20
.LBB250_14:
                                        ; implicit-def: $vgpr12_vgpr13
                                        ; implicit-def: $vgpr18_vgpr19
                                        ; implicit-def: $vgpr16_vgpr17
                                        ; implicit-def: $vgpr10_vgpr11
.LBB250_15:
	v_mov_b64_e32 v[12:13], 0
	v_mov_b64_e32 v[18:19], v[12:13]
	;; [unrolled: 1-line block ×4, first 2 shown]
	s_and_saveexec_b64 s[4:5], s[0:1]
	s_cbranch_execz .LBB250_19
; %bb.16:
	v_mad_u64_u32 v[20:21], s[0:1], v14, 12, 11
	v_mov_b64_e32 v[12:13], 0
	s_mov_b64 s[0:1], 0
	v_mov_b32_e32 v23, 0
	v_mov_b64_e32 v[18:19], v[12:13]
	v_mov_b64_e32 v[16:17], v[12:13]
	;; [unrolled: 1-line block ×3, first 2 shown]
.LBB250_17:                             ; =>This Inner Loop Header: Depth=1
	v_ashrrev_i32_e32 v15, 31, v14
	v_add_u32_e32 v22, -11, v20
	v_lshl_add_u64 v[46:47], v[14:15], 2, s[6:7]
	v_lshl_add_u64 v[48:49], v[22:23], 4, s[8:9]
	global_load_dword v15, v[46:47], off
	global_load_dwordx4 v[30:33], v[48:49], off offset:48
	global_load_dwordx4 v[34:37], v[48:49], off offset:32
	;; [unrolled: 1-line block ×3, first 2 shown]
	global_load_dwordx4 v[42:45], v[48:49], off
	v_add_u32_e32 v26, -5, v20
	v_mov_b32_e32 v27, v23
	v_mov_b32_e32 v21, v23
	;; [unrolled: 1-line block ×3, first 2 shown]
	v_lshl_add_u64 v[26:27], v[26:27], 4, s[8:9]
	v_add_u32_e32 v22, -4, v20
	v_lshl_add_u64 v[58:59], v[20:21], 4, s[8:9]
	v_lshl_add_u64 v[60:61], v[22:23], 4, s[8:9]
	global_load_dwordx4 v[46:49], v[58:59], off
	global_load_dwordx4 v[50:53], v[26:27], off
	;; [unrolled: 1-line block ×3, first 2 shown]
	v_add_u32_e32 v14, 16, v14
	v_cmp_ge_i32_e32 vcc, v14, v28
	s_or_b64 s[0:1], vcc, s[0:1]
	s_waitcnt vmcnt(7)
	v_subrev_u32_e32 v15, s16, v15
	v_mul_lo_u32 v24, v15, 6
	v_lshl_add_u64 v[26:27], v[24:25], 4, s[10:11]
	global_load_dwordx4 v[58:61], v[26:27], off
	global_load_dwordx4 v[62:65], v[26:27], off offset:16
	v_add_u32_e32 v22, 2, v24
	v_lshl_add_u64 v[26:27], v[22:23], 4, s[10:11]
	v_add_u32_e32 v22, -3, v20
	global_load_dwordx4 v[66:69], v[26:27], off
	global_load_dwordx4 v[70:73], v[26:27], off offset:16
	v_lshl_add_u64 v[26:27], v[22:23], 4, s[8:9]
	v_add_u32_e32 v22, -2, v20
	v_lshl_add_u64 v[78:79], v[22:23], 4, s[8:9]
	v_add_u32_e32 v22, -7, v20
	global_load_dwordx4 v[74:77], v[26:27], off
	s_waitcnt vmcnt(4)
	v_fmac_f64_e32 v[18:19], v[42:43], v[58:59]
	v_fmac_f64_e32 v[12:13], v[44:45], v[58:59]
	v_fma_f64 v[80:81], -v[44:45], v[60:61], v[18:19]
	v_fmac_f64_e32 v[12:13], v[42:43], v[60:61]
	v_lshl_add_u64 v[18:19], v[22:23], 4, s[8:9]
	v_add_u32_e32 v22, 4, v24
	v_fmac_f64_e32 v[16:17], v[50:51], v[58:59]
	v_fmac_f64_e32 v[10:11], v[52:53], v[58:59]
	global_load_dwordx4 v[42:45], v[78:79], off
	global_load_dwordx4 v[24:27], v[18:19], off
	v_fma_f64 v[58:59], -v[52:53], v[60:61], v[16:17]
	v_fmac_f64_e32 v[10:11], v[50:51], v[60:61]
	v_lshl_add_u64 v[60:61], v[22:23], 4, s[10:11]
	v_add_u32_e32 v22, -1, v20
	s_waitcnt vmcnt(5)
	v_fmac_f64_e32 v[12:13], v[40:41], v[62:63]
	v_fmac_f64_e32 v[80:81], v[38:39], v[62:63]
	v_fmac_f64_e32 v[12:13], v[38:39], v[64:65]
	v_lshl_add_u64 v[38:39], v[22:23], 4, s[8:9]
	global_load_dwordx4 v[50:53], v[60:61], off offset:16
	global_load_dwordx4 v[16:19], v[60:61], off
	v_fma_f64 v[60:61], -v[40:41], v[64:65], v[80:81]
	v_add_u32_e32 v22, -6, v20
	global_load_dwordx4 v[38:41], v[38:39], off
	v_fmac_f64_e32 v[10:11], v[56:57], v[62:63]
	v_fmac_f64_e32 v[58:59], v[54:55], v[62:63]
	;; [unrolled: 1-line block ×3, first 2 shown]
	v_lshl_add_u64 v[54:55], v[22:23], 4, s[8:9]
	v_fma_f64 v[58:59], -v[56:57], v[64:65], v[58:59]
	global_load_dwordx4 v[54:57], v[54:55], off
	s_waitcnt vmcnt(8)
	v_fmac_f64_e32 v[60:61], v[34:35], v[66:67]
	v_fmac_f64_e32 v[12:13], v[36:37], v[66:67]
	s_waitcnt vmcnt(6)
	v_fmac_f64_e32 v[58:59], v[74:75], v[66:67]
	v_fmac_f64_e32 v[10:11], v[76:77], v[66:67]
	v_fma_f64 v[36:37], -v[36:37], v[68:69], v[60:61]
	v_fmac_f64_e32 v[12:13], v[34:35], v[68:69]
	v_fma_f64 v[34:35], -v[76:77], v[68:69], v[58:59]
	v_fmac_f64_e32 v[10:11], v[74:75], v[68:69]
	v_fmac_f64_e32 v[36:37], v[30:31], v[70:71]
	;; [unrolled: 1-line block ×3, first 2 shown]
	v_fma_f64 v[32:33], -v[32:33], v[72:73], v[36:37]
	v_fmac_f64_e32 v[12:13], v[30:31], v[72:73]
	v_add_u32_e32 v20, 0xc0, v20
	s_waitcnt vmcnt(5)
	v_fmac_f64_e32 v[34:35], v[42:43], v[70:71]
	v_fmac_f64_e32 v[10:11], v[44:45], v[70:71]
	v_fma_f64 v[30:31], -v[44:45], v[72:73], v[34:35]
	v_fmac_f64_e32 v[10:11], v[42:43], v[72:73]
	s_waitcnt vmcnt(2)
	v_fmac_f64_e32 v[32:33], v[24:25], v[16:17]
	v_fmac_f64_e32 v[12:13], v[26:27], v[16:17]
	v_fmac_f64_e32 v[12:13], v[24:25], v[18:19]
	s_waitcnt vmcnt(1)
	v_fmac_f64_e32 v[30:31], v[38:39], v[16:17]
	v_fmac_f64_e32 v[10:11], v[40:41], v[16:17]
	v_fma_f64 v[16:17], -v[26:27], v[18:19], v[32:33]
	v_fma_f64 v[24:25], -v[40:41], v[18:19], v[30:31]
	v_fmac_f64_e32 v[10:11], v[38:39], v[18:19]
	v_fmac_f64_e32 v[24:25], v[46:47], v[50:51]
	s_waitcnt vmcnt(0)
	v_fmac_f64_e32 v[16:17], v[54:55], v[50:51]
	v_fmac_f64_e32 v[12:13], v[56:57], v[50:51]
	;; [unrolled: 1-line block ×3, first 2 shown]
	v_fma_f64 v[18:19], -v[56:57], v[52:53], v[16:17]
	v_fmac_f64_e32 v[12:13], v[54:55], v[52:53]
	v_fma_f64 v[16:17], -v[48:49], v[52:53], v[24:25]
	v_fmac_f64_e32 v[10:11], v[46:47], v[52:53]
	s_andn2_b64 exec, exec, s[0:1]
	s_cbranch_execnz .LBB250_17
; %bb.18:
	s_or_b64 exec, exec, s[0:1]
.LBB250_19:
	s_or_b64 exec, exec, s[4:5]
.LBB250_20:
	v_mov_b32_dpp v22, v16 row_shr:1 row_mask:0xf bank_mask:0xf
	v_mov_b32_dpp v23, v17 row_shr:1 row_mask:0xf bank_mask:0xf
	v_add_f64 v[16:17], v[16:17], v[22:23]
	v_mov_b32_dpp v14, v18 row_shr:1 row_mask:0xf bank_mask:0xf
	v_mov_b32_dpp v15, v19 row_shr:1 row_mask:0xf bank_mask:0xf
	v_mov_b32_dpp v22, v16 row_shr:2 row_mask:0xf bank_mask:0xf
	v_mov_b32_dpp v23, v17 row_shr:2 row_mask:0xf bank_mask:0xf
	v_add_f64 v[16:17], v[16:17], v[22:23]
	v_mov_b32_dpp v20, v12 row_shr:1 row_mask:0xf bank_mask:0xf
	v_mov_b32_dpp v21, v13 row_shr:1 row_mask:0xf bank_mask:0xf
	;; [unrolled: 5-line block ×3, first 2 shown]
	v_add_f64 v[14:15], v[18:19], v[14:15]
	v_add_f64 v[12:13], v[12:13], v[20:21]
	v_add_f64 v[10:11], v[10:11], v[16:17]
	v_mov_b32_dpp v18, v14 row_shr:2 row_mask:0xf bank_mask:0xf
	v_mov_b32_dpp v19, v15 row_shr:2 row_mask:0xf bank_mask:0xf
	v_mov_b32_dpp v20, v12 row_shr:2 row_mask:0xf bank_mask:0xf
	v_mov_b32_dpp v21, v13 row_shr:2 row_mask:0xf bank_mask:0xf
	v_mov_b32_dpp v16, v10 row_shr:2 row_mask:0xf bank_mask:0xf
	v_mov_b32_dpp v17, v11 row_shr:2 row_mask:0xf bank_mask:0xf
	v_add_f64 v[14:15], v[14:15], v[18:19]
	v_add_f64 v[12:13], v[12:13], v[20:21]
	v_add_f64 v[10:11], v[10:11], v[16:17]
	v_mov_b32_dpp v18, v14 row_shr:4 row_mask:0xf bank_mask:0xe
	v_mov_b32_dpp v19, v15 row_shr:4 row_mask:0xf bank_mask:0xe
	v_mov_b32_dpp v20, v12 row_shr:4 row_mask:0xf bank_mask:0xe
	v_mov_b32_dpp v21, v13 row_shr:4 row_mask:0xf bank_mask:0xe
	v_mov_b32_dpp v16, v10 row_shr:4 row_mask:0xf bank_mask:0xe
	v_mov_b32_dpp v17, v11 row_shr:4 row_mask:0xf bank_mask:0xe
	;; [unrolled: 9-line block ×3, first 2 shown]
	v_mov_b32_dpp v28, v26 row_shr:8 row_mask:0xf bank_mask:0xc
	v_mov_b32_dpp v29, v27 row_shr:8 row_mask:0xf bank_mask:0xc
	v_cmp_eq_u32_e32 vcc, 15, v9
	s_and_b64 exec, exec, vcc
	s_cbranch_execz .LBB250_25
; %bb.21:
	s_load_dwordx2 s[2:3], s[2:3], 0x48
	v_cmp_eq_f64_e32 vcc, 0, v[4:5]
	v_cmp_eq_f64_e64 s[0:1], 0, v[6:7]
	v_add_f64 v[14:15], v[14:15], v[18:19]
	v_add_f64 v[16:17], v[12:13], v[20:21]
	;; [unrolled: 1-line block ×4, first 2 shown]
	s_and_b64 s[0:1], vcc, s[0:1]
	s_and_saveexec_b64 s[4:5], s[0:1]
	s_xor_b64 s[0:1], exec, s[4:5]
	s_cbranch_execz .LBB250_23
; %bb.22:
	v_lshlrev_b32_e32 v8, 1, v8
	v_mul_f64 v[4:5], v[16:17], -v[2:3]
	v_mul_f64 v[6:7], v[0:1], v[16:17]
	v_ashrrev_i32_e32 v9, 31, v8
	v_fmac_f64_e32 v[4:5], v[0:1], v[14:15]
	v_fmac_f64_e32 v[6:7], v[2:3], v[14:15]
	s_waitcnt lgkmcnt(0)
	v_lshl_add_u64 v[8:9], v[8:9], 4, s[2:3]
	global_store_dwordx4 v[8:9], v[4:7], off
                                        ; implicit-def: $vgpr14_vgpr15
                                        ; implicit-def: $vgpr16_vgpr17
	s_nop 1
	v_mul_f64 v[4:5], v[12:13], -v[2:3]
	v_mul_f64 v[6:7], v[0:1], v[12:13]
	v_fmac_f64_e32 v[4:5], v[0:1], v[10:11]
	v_fmac_f64_e32 v[6:7], v[2:3], v[10:11]
	global_store_dwordx4 v[8:9], v[4:7], off offset:16
                                        ; implicit-def: $vgpr0_vgpr1
                                        ; implicit-def: $vgpr2_vgpr3
                                        ; implicit-def: $vgpr4_vgpr5
                                        ; implicit-def: $vgpr6_vgpr7
                                        ; implicit-def: $vgpr8
                                        ; implicit-def: $vgpr10_vgpr11
                                        ; implicit-def: $vgpr12_vgpr13
.LBB250_23:
	s_andn2_saveexec_b64 s[0:1], s[0:1]
	s_cbranch_execz .LBB250_25
; %bb.24:
	v_lshlrev_b32_e32 v8, 1, v8
	v_ashrrev_i32_e32 v9, 31, v8
	s_waitcnt lgkmcnt(0)
	v_lshl_add_u64 v[26:27], v[8:9], 4, s[2:3]
	global_load_dwordx4 v[18:21], v[26:27], off
	global_load_dwordx4 v[22:25], v[26:27], off offset:16
	v_mul_f64 v[28:29], v[16:17], -v[2:3]
	v_mul_f64 v[16:17], v[0:1], v[16:17]
	v_mul_f64 v[30:31], v[12:13], -v[2:3]
	v_mul_f64 v[8:9], v[0:1], v[12:13]
	v_fmac_f64_e32 v[28:29], v[0:1], v[14:15]
	v_fmac_f64_e32 v[16:17], v[2:3], v[14:15]
	v_fmac_f64_e32 v[30:31], v[0:1], v[10:11]
	v_fmac_f64_e32 v[8:9], v[2:3], v[10:11]
	s_waitcnt vmcnt(1)
	v_fmac_f64_e32 v[28:29], v[4:5], v[18:19]
	v_fmac_f64_e32 v[16:17], v[6:7], v[18:19]
	s_waitcnt vmcnt(0)
	v_fmac_f64_e32 v[30:31], v[4:5], v[22:23]
	v_fmac_f64_e32 v[8:9], v[6:7], v[22:23]
	v_fma_f64 v[14:15], -v[6:7], v[20:21], v[28:29]
	v_fmac_f64_e32 v[16:17], v[4:5], v[20:21]
	v_fma_f64 v[6:7], -v[6:7], v[24:25], v[30:31]
	v_fmac_f64_e32 v[8:9], v[4:5], v[24:25]
	global_store_dwordx4 v[26:27], v[14:17], off
	global_store_dwordx4 v[26:27], v[6:9], off offset:16
.LBB250_25:
	s_endpgm
	.section	.rodata,"a",@progbits
	.p2align	6, 0x0
	.amdhsa_kernel _ZN9rocsparseL19gebsrmvn_2xn_kernelILj128ELj6ELj16E21rocsparse_complex_numIdEEEvi20rocsparse_direction_NS_24const_host_device_scalarIT2_EEPKiS8_PKS5_SA_S6_PS5_21rocsparse_index_base_b
		.amdhsa_group_segment_fixed_size 2048
		.amdhsa_private_segment_fixed_size 0
		.amdhsa_kernarg_size 88
		.amdhsa_user_sgpr_count 4
		.amdhsa_user_sgpr_dispatch_ptr 1
		.amdhsa_user_sgpr_queue_ptr 0
		.amdhsa_user_sgpr_kernarg_segment_ptr 1
		.amdhsa_user_sgpr_dispatch_id 0
		.amdhsa_user_sgpr_kernarg_preload_length 0
		.amdhsa_user_sgpr_kernarg_preload_offset 0
		.amdhsa_user_sgpr_private_segment_size 0
		.amdhsa_uses_dynamic_stack 0
		.amdhsa_enable_private_segment 0
		.amdhsa_system_sgpr_workgroup_id_x 1
		.amdhsa_system_sgpr_workgroup_id_y 0
		.amdhsa_system_sgpr_workgroup_id_z 0
		.amdhsa_system_sgpr_workgroup_info 0
		.amdhsa_system_vgpr_workitem_id 2
		.amdhsa_next_free_vgpr 92
		.amdhsa_next_free_sgpr 20
		.amdhsa_accum_offset 92
		.amdhsa_reserve_vcc 1
		.amdhsa_float_round_mode_32 0
		.amdhsa_float_round_mode_16_64 0
		.amdhsa_float_denorm_mode_32 3
		.amdhsa_float_denorm_mode_16_64 3
		.amdhsa_dx10_clamp 1
		.amdhsa_ieee_mode 1
		.amdhsa_fp16_overflow 0
		.amdhsa_tg_split 0
		.amdhsa_exception_fp_ieee_invalid_op 0
		.amdhsa_exception_fp_denorm_src 0
		.amdhsa_exception_fp_ieee_div_zero 0
		.amdhsa_exception_fp_ieee_overflow 0
		.amdhsa_exception_fp_ieee_underflow 0
		.amdhsa_exception_fp_ieee_inexact 0
		.amdhsa_exception_int_div_zero 0
	.end_amdhsa_kernel
	.section	.text._ZN9rocsparseL19gebsrmvn_2xn_kernelILj128ELj6ELj16E21rocsparse_complex_numIdEEEvi20rocsparse_direction_NS_24const_host_device_scalarIT2_EEPKiS8_PKS5_SA_S6_PS5_21rocsparse_index_base_b,"axG",@progbits,_ZN9rocsparseL19gebsrmvn_2xn_kernelILj128ELj6ELj16E21rocsparse_complex_numIdEEEvi20rocsparse_direction_NS_24const_host_device_scalarIT2_EEPKiS8_PKS5_SA_S6_PS5_21rocsparse_index_base_b,comdat
.Lfunc_end250:
	.size	_ZN9rocsparseL19gebsrmvn_2xn_kernelILj128ELj6ELj16E21rocsparse_complex_numIdEEEvi20rocsparse_direction_NS_24const_host_device_scalarIT2_EEPKiS8_PKS5_SA_S6_PS5_21rocsparse_index_base_b, .Lfunc_end250-_ZN9rocsparseL19gebsrmvn_2xn_kernelILj128ELj6ELj16E21rocsparse_complex_numIdEEEvi20rocsparse_direction_NS_24const_host_device_scalarIT2_EEPKiS8_PKS5_SA_S6_PS5_21rocsparse_index_base_b
                                        ; -- End function
	.section	.AMDGPU.csdata,"",@progbits
; Kernel info:
; codeLenInByte = 2424
; NumSgprs: 26
; NumVgprs: 92
; NumAgprs: 0
; TotalNumVgprs: 92
; ScratchSize: 0
; MemoryBound: 0
; FloatMode: 240
; IeeeMode: 1
; LDSByteSize: 2048 bytes/workgroup (compile time only)
; SGPRBlocks: 3
; VGPRBlocks: 11
; NumSGPRsForWavesPerEU: 26
; NumVGPRsForWavesPerEU: 92
; AccumOffset: 92
; Occupancy: 5
; WaveLimiterHint : 1
; COMPUTE_PGM_RSRC2:SCRATCH_EN: 0
; COMPUTE_PGM_RSRC2:USER_SGPR: 4
; COMPUTE_PGM_RSRC2:TRAP_HANDLER: 0
; COMPUTE_PGM_RSRC2:TGID_X_EN: 1
; COMPUTE_PGM_RSRC2:TGID_Y_EN: 0
; COMPUTE_PGM_RSRC2:TGID_Z_EN: 0
; COMPUTE_PGM_RSRC2:TIDIG_COMP_CNT: 2
; COMPUTE_PGM_RSRC3_GFX90A:ACCUM_OFFSET: 22
; COMPUTE_PGM_RSRC3_GFX90A:TG_SPLIT: 0
	.section	.text._ZN9rocsparseL19gebsrmvn_2xn_kernelILj128ELj6ELj32E21rocsparse_complex_numIdEEEvi20rocsparse_direction_NS_24const_host_device_scalarIT2_EEPKiS8_PKS5_SA_S6_PS5_21rocsparse_index_base_b,"axG",@progbits,_ZN9rocsparseL19gebsrmvn_2xn_kernelILj128ELj6ELj32E21rocsparse_complex_numIdEEEvi20rocsparse_direction_NS_24const_host_device_scalarIT2_EEPKiS8_PKS5_SA_S6_PS5_21rocsparse_index_base_b,comdat
	.globl	_ZN9rocsparseL19gebsrmvn_2xn_kernelILj128ELj6ELj32E21rocsparse_complex_numIdEEEvi20rocsparse_direction_NS_24const_host_device_scalarIT2_EEPKiS8_PKS5_SA_S6_PS5_21rocsparse_index_base_b ; -- Begin function _ZN9rocsparseL19gebsrmvn_2xn_kernelILj128ELj6ELj32E21rocsparse_complex_numIdEEEvi20rocsparse_direction_NS_24const_host_device_scalarIT2_EEPKiS8_PKS5_SA_S6_PS5_21rocsparse_index_base_b
	.p2align	8
	.type	_ZN9rocsparseL19gebsrmvn_2xn_kernelILj128ELj6ELj32E21rocsparse_complex_numIdEEEvi20rocsparse_direction_NS_24const_host_device_scalarIT2_EEPKiS8_PKS5_SA_S6_PS5_21rocsparse_index_base_b,@function
_ZN9rocsparseL19gebsrmvn_2xn_kernelILj128ELj6ELj32E21rocsparse_complex_numIdEEEvi20rocsparse_direction_NS_24const_host_device_scalarIT2_EEPKiS8_PKS5_SA_S6_PS5_21rocsparse_index_base_b: ; @_ZN9rocsparseL19gebsrmvn_2xn_kernelILj128ELj6ELj32E21rocsparse_complex_numIdEEEvi20rocsparse_direction_NS_24const_host_device_scalarIT2_EEPKiS8_PKS5_SA_S6_PS5_21rocsparse_index_base_b
; %bb.0:
	s_load_dwordx2 s[16:17], s[2:3], 0x50
	s_load_dwordx4 s[12:15], s[2:3], 0x8
	s_load_dwordx4 s[8:11], s[2:3], 0x38
	s_load_dwordx2 s[18:19], s[0:1], 0x4
	s_mov_b64 s[6:7], src_shared_base
	s_waitcnt lgkmcnt(0)
	s_bitcmp1_b32 s17, 0
	s_cselect_b64 s[0:1], -1, 0
	s_and_b64 vcc, s[0:1], exec
	s_cselect_b32 s5, s7, s13
	s_lshr_b32 s6, s18, 16
	v_bfe_u32 v1, v0, 10, 10
	v_and_b32_e32 v10, 0x3ff, v0
	s_mul_i32 s6, s6, s19
	v_mul_u32_u24_e32 v1, s19, v1
	v_mad_u32_u24 v1, s6, v10, v1
	v_bfe_u32 v0, v0, 20, 10
	v_add_lshl_u32 v4, v1, v0, 3
	v_mov_b32_e32 v5, s12
	v_add_u32_e32 v6, 0x400, v4
	v_mov_b64_e32 v[0:1], s[12:13]
	v_mov_b64_e32 v[2:3], s[8:9]
	ds_write2st64_b64 v4, v[2:3], v[0:1] offset1:2
	v_cndmask_b32_e64 v0, v5, v6, s[0:1]
	v_mov_b32_e32 v1, s5
	flat_load_dwordx2 v[0:1], v[0:1]
	s_xor_b64 s[18:19], s[0:1], -1
	v_mov_b64_e32 v[2:3], s[14:15]
	s_cbranch_vccnz .LBB251_2
; %bb.1:
	v_mov_b64_e32 v[2:3], s[12:13]
	flat_load_dwordx2 v[2:3], v[2:3] offset:8
.LBB251_2:
	s_and_b64 s[12:13], s[0:1], exec
	s_cselect_b32 s5, s7, s9
	v_mov_b32_e32 v5, s8
	v_cndmask_b32_e64 v4, v5, v4, s[0:1]
	v_mov_b32_e32 v5, s5
	flat_load_dwordx2 v[4:5], v[4:5]
	s_andn2_b64 vcc, exec, s[18:19]
	v_mov_b64_e32 v[6:7], s[10:11]
	s_cbranch_vccnz .LBB251_4
; %bb.3:
	v_mov_b64_e32 v[6:7], s[8:9]
	flat_load_dwordx2 v[6:7], v[6:7] offset:8
.LBB251_4:
	s_waitcnt vmcnt(0) lgkmcnt(0)
	v_cmp_eq_f64_e32 vcc, 0, v[0:1]
	v_cmp_eq_f64_e64 s[0:1], 0, v[2:3]
	s_and_b64 s[8:9], vcc, s[0:1]
	s_mov_b64 s[0:1], -1
	s_and_saveexec_b64 s[6:7], s[8:9]
; %bb.5:
	v_cmp_neq_f64_e32 vcc, 1.0, v[4:5]
	v_cmp_neq_f64_e64 s[0:1], 0, v[6:7]
	s_or_b64 s[0:1], vcc, s[0:1]
	s_orn2_b64 s[0:1], s[0:1], exec
; %bb.6:
	s_or_b64 exec, exec, s[6:7]
	s_and_saveexec_b64 s[6:7], s[0:1]
	s_cbranch_execz .LBB251_25
; %bb.7:
	s_load_dwordx2 s[0:1], s[2:3], 0x0
	v_lshrrev_b32_e32 v8, 5, v10
	v_lshl_or_b32 v8, s4, 2, v8
	s_waitcnt lgkmcnt(0)
	v_cmp_gt_i32_e32 vcc, s0, v8
	s_and_b64 exec, exec, vcc
	s_cbranch_execz .LBB251_25
; %bb.8:
	s_load_dwordx8 s[4:11], s[2:3], 0x18
	v_ashrrev_i32_e32 v9, 31, v8
	s_cmp_lg_u32 s1, 0
	s_waitcnt lgkmcnt(0)
	v_lshl_add_u64 v[12:13], v[8:9], 2, s[4:5]
	global_load_dwordx2 v[12:13], v[12:13], off
	v_and_b32_e32 v9, 31, v10
	s_waitcnt vmcnt(0)
	v_subrev_u32_e32 v10, s16, v12
	v_subrev_u32_e32 v28, s16, v13
	v_add_u32_e32 v14, v10, v9
	v_cmp_lt_i32_e64 s[0:1], v14, v28
	s_cbranch_scc0 .LBB251_14
; %bb.9:
	v_mov_b64_e32 v[12:13], 0
	s_mov_b64 s[4:5], 0
	v_mov_b64_e32 v[18:19], v[12:13]
	v_mov_b64_e32 v[16:17], v[12:13]
	;; [unrolled: 1-line block ×3, first 2 shown]
	s_and_saveexec_b64 s[12:13], s[0:1]
	s_cbranch_execz .LBB251_13
; %bb.10:
	v_mad_u64_u32 v[20:21], s[14:15], v14, 12, 10
	v_mov_b64_e32 v[12:13], 0
	s_mov_b64 s[14:15], 0
	v_mov_b32_e32 v23, 0
	v_mov_b32_e32 v24, v14
	v_mov_b64_e32 v[18:19], v[12:13]
	v_mov_b64_e32 v[16:17], v[12:13]
	;; [unrolled: 1-line block ×3, first 2 shown]
.LBB251_11:                             ; =>This Inner Loop Header: Depth=1
	v_ashrrev_i32_e32 v25, 31, v24
	v_add_u32_e32 v22, -10, v20
	v_lshl_add_u64 v[46:47], v[24:25], 2, s[6:7]
	v_lshl_add_u64 v[48:49], v[22:23], 4, s[8:9]
	global_load_dword v15, v[46:47], off
	global_load_dwordx4 v[30:33], v[48:49], off offset:48
	global_load_dwordx4 v[34:37], v[48:49], off offset:32
	;; [unrolled: 1-line block ×3, first 2 shown]
	global_load_dwordx4 v[42:45], v[48:49], off
	v_mov_b32_e32 v27, v23
	v_mov_b32_e32 v21, v23
	v_add_u32_e32 v22, -6, v20
	v_lshl_add_u64 v[62:63], v[20:21], 4, s[8:9]
	v_lshl_add_u64 v[64:65], v[22:23], 4, s[8:9]
	global_load_dwordx4 v[46:49], v[62:63], off
	global_load_dwordx4 v[50:53], v[62:63], off offset:16
	global_load_dwordx4 v[54:57], v[64:65], off offset:16
	global_load_dwordx4 v[58:61], v[64:65], off
	v_add_u32_e32 v24, 32, v24
	v_cmp_ge_i32_e32 vcc, v24, v28
	s_or_b64 s[14:15], vcc, s[14:15]
	s_waitcnt vmcnt(8)
	v_subrev_u32_e32 v15, s16, v15
	v_mul_lo_u32 v26, v15, 6
	v_lshl_add_u64 v[70:71], v[26:27], 4, s[10:11]
	global_load_dwordx4 v[62:65], v[70:71], off
	global_load_dwordx4 v[66:69], v[70:71], off offset:16
	v_add_u32_e32 v22, 2, v26
	v_lshl_add_u64 v[78:79], v[22:23], 4, s[10:11]
	v_add_u32_e32 v22, -4, v20
	global_load_dwordx4 v[70:73], v[78:79], off
	global_load_dwordx4 v[74:77], v[78:79], off offset:16
	v_lshl_add_u64 v[86:87], v[22:23], 4, s[8:9]
	v_add_u32_e32 v22, -2, v20
	global_load_dwordx4 v[78:81], v[86:87], off offset:16
	global_load_dwordx4 v[82:85], v[86:87], off
	v_lshl_add_u64 v[90:91], v[22:23], 4, s[8:9]
	v_add_u32_e32 v22, 4, v26
	v_add_u32_e32 v20, 0x180, v20
	s_waitcnt vmcnt(5)
	v_fmac_f64_e32 v[18:19], v[42:43], v[62:63]
	v_fmac_f64_e32 v[12:13], v[44:45], v[62:63]
	;; [unrolled: 1-line block ×4, first 2 shown]
	v_fma_f64 v[26:27], -v[44:45], v[64:65], v[18:19]
	v_fmac_f64_e32 v[12:13], v[42:43], v[64:65]
	global_load_dwordx4 v[42:45], v[90:91], off offset:16
	global_load_dwordx4 v[86:89], v[90:91], off
	v_fma_f64 v[62:63], -v[40:41], v[64:65], v[16:17]
	v_fmac_f64_e32 v[10:11], v[38:39], v[64:65]
	v_lshl_add_u64 v[64:65], v[22:23], 4, s[10:11]
	global_load_dwordx4 v[16:19], v[64:65], off
	global_load_dwordx4 v[38:41], v[64:65], off offset:16
	s_waitcnt vmcnt(8)
	v_fmac_f64_e32 v[26:27], v[34:35], v[66:67]
	v_fmac_f64_e32 v[12:13], v[36:37], v[66:67]
	v_fmac_f64_e32 v[62:63], v[30:31], v[66:67]
	v_fmac_f64_e32 v[10:11], v[32:33], v[66:67]
	v_fma_f64 v[26:27], -v[36:37], v[68:69], v[26:27]
	v_fmac_f64_e32 v[12:13], v[34:35], v[68:69]
	v_fma_f64 v[32:33], -v[32:33], v[68:69], v[62:63]
	v_fmac_f64_e32 v[10:11], v[30:31], v[68:69]
	s_waitcnt vmcnt(7)
	v_fmac_f64_e32 v[26:27], v[58:59], v[70:71]
	v_fmac_f64_e32 v[12:13], v[60:61], v[70:71]
	v_fmac_f64_e32 v[32:33], v[54:55], v[70:71]
	v_fmac_f64_e32 v[10:11], v[56:57], v[70:71]
	v_fma_f64 v[26:27], -v[60:61], v[72:73], v[26:27]
	v_fmac_f64_e32 v[12:13], v[58:59], v[72:73]
	v_fma_f64 v[30:31], -v[56:57], v[72:73], v[32:33]
	v_fmac_f64_e32 v[10:11], v[54:55], v[72:73]
	s_waitcnt vmcnt(4)
	v_fmac_f64_e32 v[26:27], v[82:83], v[74:75]
	v_fmac_f64_e32 v[12:13], v[84:85], v[74:75]
	v_fmac_f64_e32 v[30:31], v[78:79], v[74:75]
	v_fmac_f64_e32 v[10:11], v[80:81], v[74:75]
	v_fma_f64 v[26:27], -v[84:85], v[76:77], v[26:27]
	v_fmac_f64_e32 v[12:13], v[82:83], v[76:77]
	v_fma_f64 v[30:31], -v[80:81], v[76:77], v[30:31]
	v_fmac_f64_e32 v[10:11], v[78:79], v[76:77]
	s_waitcnt vmcnt(1)
	v_fmac_f64_e32 v[26:27], v[86:87], v[16:17]
	v_fmac_f64_e32 v[12:13], v[88:89], v[16:17]
	v_fmac_f64_e32 v[30:31], v[42:43], v[16:17]
	v_fmac_f64_e32 v[10:11], v[44:45], v[16:17]
	v_fma_f64 v[16:17], -v[88:89], v[18:19], v[26:27]
	v_fmac_f64_e32 v[12:13], v[86:87], v[18:19]
	v_fma_f64 v[26:27], -v[44:45], v[18:19], v[30:31]
	v_fmac_f64_e32 v[10:11], v[42:43], v[18:19]
	s_waitcnt vmcnt(0)
	v_fmac_f64_e32 v[16:17], v[46:47], v[38:39]
	v_fmac_f64_e32 v[12:13], v[48:49], v[38:39]
	v_fmac_f64_e32 v[26:27], v[50:51], v[38:39]
	v_fmac_f64_e32 v[10:11], v[52:53], v[38:39]
	v_fma_f64 v[18:19], -v[48:49], v[40:41], v[16:17]
	v_fmac_f64_e32 v[12:13], v[46:47], v[40:41]
	v_fma_f64 v[16:17], -v[52:53], v[40:41], v[26:27]
	v_fmac_f64_e32 v[10:11], v[50:51], v[40:41]
	s_andn2_b64 exec, exec, s[14:15]
	s_cbranch_execnz .LBB251_11
; %bb.12:
	s_or_b64 exec, exec, s[14:15]
.LBB251_13:
	s_or_b64 exec, exec, s[12:13]
	s_andn2_b64 vcc, exec, s[4:5]
	s_cbranch_vccz .LBB251_15
	s_branch .LBB251_20
.LBB251_14:
                                        ; implicit-def: $vgpr12_vgpr13
                                        ; implicit-def: $vgpr18_vgpr19
                                        ; implicit-def: $vgpr16_vgpr17
                                        ; implicit-def: $vgpr10_vgpr11
.LBB251_15:
	v_mov_b64_e32 v[12:13], 0
	v_mov_b64_e32 v[18:19], v[12:13]
	;; [unrolled: 1-line block ×4, first 2 shown]
	s_and_saveexec_b64 s[4:5], s[0:1]
	s_cbranch_execz .LBB251_19
; %bb.16:
	v_mad_u64_u32 v[20:21], s[0:1], v14, 12, 11
	v_mov_b64_e32 v[12:13], 0
	s_mov_b64 s[0:1], 0
	v_mov_b32_e32 v23, 0
	v_mov_b64_e32 v[18:19], v[12:13]
	v_mov_b64_e32 v[16:17], v[12:13]
	;; [unrolled: 1-line block ×3, first 2 shown]
.LBB251_17:                             ; =>This Inner Loop Header: Depth=1
	v_ashrrev_i32_e32 v15, 31, v14
	v_add_u32_e32 v22, -11, v20
	v_lshl_add_u64 v[46:47], v[14:15], 2, s[6:7]
	v_lshl_add_u64 v[48:49], v[22:23], 4, s[8:9]
	global_load_dword v15, v[46:47], off
	global_load_dwordx4 v[30:33], v[48:49], off offset:48
	global_load_dwordx4 v[34:37], v[48:49], off offset:32
	;; [unrolled: 1-line block ×3, first 2 shown]
	global_load_dwordx4 v[42:45], v[48:49], off
	v_add_u32_e32 v26, -5, v20
	v_mov_b32_e32 v27, v23
	v_mov_b32_e32 v21, v23
	v_mov_b32_e32 v25, v23
	v_lshl_add_u64 v[26:27], v[26:27], 4, s[8:9]
	v_add_u32_e32 v22, -4, v20
	v_lshl_add_u64 v[58:59], v[20:21], 4, s[8:9]
	v_lshl_add_u64 v[60:61], v[22:23], 4, s[8:9]
	global_load_dwordx4 v[46:49], v[58:59], off
	global_load_dwordx4 v[50:53], v[26:27], off
	;; [unrolled: 1-line block ×3, first 2 shown]
	v_add_u32_e32 v14, 32, v14
	v_cmp_ge_i32_e32 vcc, v14, v28
	s_or_b64 s[0:1], vcc, s[0:1]
	s_waitcnt vmcnt(7)
	v_subrev_u32_e32 v15, s16, v15
	v_mul_lo_u32 v24, v15, 6
	v_lshl_add_u64 v[26:27], v[24:25], 4, s[10:11]
	global_load_dwordx4 v[58:61], v[26:27], off
	global_load_dwordx4 v[62:65], v[26:27], off offset:16
	v_add_u32_e32 v22, 2, v24
	v_lshl_add_u64 v[26:27], v[22:23], 4, s[10:11]
	v_add_u32_e32 v22, -3, v20
	global_load_dwordx4 v[66:69], v[26:27], off
	global_load_dwordx4 v[70:73], v[26:27], off offset:16
	v_lshl_add_u64 v[26:27], v[22:23], 4, s[8:9]
	v_add_u32_e32 v22, -2, v20
	v_lshl_add_u64 v[78:79], v[22:23], 4, s[8:9]
	v_add_u32_e32 v22, -7, v20
	global_load_dwordx4 v[74:77], v[26:27], off
	s_waitcnt vmcnt(4)
	v_fmac_f64_e32 v[18:19], v[42:43], v[58:59]
	v_fmac_f64_e32 v[12:13], v[44:45], v[58:59]
	v_fma_f64 v[80:81], -v[44:45], v[60:61], v[18:19]
	v_fmac_f64_e32 v[12:13], v[42:43], v[60:61]
	v_lshl_add_u64 v[18:19], v[22:23], 4, s[8:9]
	v_add_u32_e32 v22, 4, v24
	v_fmac_f64_e32 v[16:17], v[50:51], v[58:59]
	v_fmac_f64_e32 v[10:11], v[52:53], v[58:59]
	global_load_dwordx4 v[42:45], v[78:79], off
	global_load_dwordx4 v[24:27], v[18:19], off
	v_fma_f64 v[58:59], -v[52:53], v[60:61], v[16:17]
	v_fmac_f64_e32 v[10:11], v[50:51], v[60:61]
	v_lshl_add_u64 v[60:61], v[22:23], 4, s[10:11]
	v_add_u32_e32 v22, -1, v20
	s_waitcnt vmcnt(5)
	v_fmac_f64_e32 v[12:13], v[40:41], v[62:63]
	v_fmac_f64_e32 v[80:81], v[38:39], v[62:63]
	;; [unrolled: 1-line block ×3, first 2 shown]
	v_lshl_add_u64 v[38:39], v[22:23], 4, s[8:9]
	global_load_dwordx4 v[50:53], v[60:61], off offset:16
	global_load_dwordx4 v[16:19], v[60:61], off
	v_fma_f64 v[60:61], -v[40:41], v[64:65], v[80:81]
	v_add_u32_e32 v22, -6, v20
	global_load_dwordx4 v[38:41], v[38:39], off
	v_fmac_f64_e32 v[10:11], v[56:57], v[62:63]
	v_fmac_f64_e32 v[58:59], v[54:55], v[62:63]
	;; [unrolled: 1-line block ×3, first 2 shown]
	v_lshl_add_u64 v[54:55], v[22:23], 4, s[8:9]
	v_fma_f64 v[58:59], -v[56:57], v[64:65], v[58:59]
	global_load_dwordx4 v[54:57], v[54:55], off
	s_waitcnt vmcnt(8)
	v_fmac_f64_e32 v[60:61], v[34:35], v[66:67]
	v_fmac_f64_e32 v[12:13], v[36:37], v[66:67]
	s_waitcnt vmcnt(6)
	v_fmac_f64_e32 v[58:59], v[74:75], v[66:67]
	v_fmac_f64_e32 v[10:11], v[76:77], v[66:67]
	v_fma_f64 v[36:37], -v[36:37], v[68:69], v[60:61]
	v_fmac_f64_e32 v[12:13], v[34:35], v[68:69]
	v_fma_f64 v[34:35], -v[76:77], v[68:69], v[58:59]
	v_fmac_f64_e32 v[10:11], v[74:75], v[68:69]
	v_fmac_f64_e32 v[36:37], v[30:31], v[70:71]
	;; [unrolled: 1-line block ×3, first 2 shown]
	v_fma_f64 v[32:33], -v[32:33], v[72:73], v[36:37]
	v_fmac_f64_e32 v[12:13], v[30:31], v[72:73]
	v_add_u32_e32 v20, 0x180, v20
	s_waitcnt vmcnt(5)
	v_fmac_f64_e32 v[34:35], v[42:43], v[70:71]
	v_fmac_f64_e32 v[10:11], v[44:45], v[70:71]
	v_fma_f64 v[30:31], -v[44:45], v[72:73], v[34:35]
	v_fmac_f64_e32 v[10:11], v[42:43], v[72:73]
	s_waitcnt vmcnt(2)
	v_fmac_f64_e32 v[32:33], v[24:25], v[16:17]
	v_fmac_f64_e32 v[12:13], v[26:27], v[16:17]
	;; [unrolled: 1-line block ×3, first 2 shown]
	s_waitcnt vmcnt(1)
	v_fmac_f64_e32 v[30:31], v[38:39], v[16:17]
	v_fmac_f64_e32 v[10:11], v[40:41], v[16:17]
	v_fma_f64 v[16:17], -v[26:27], v[18:19], v[32:33]
	v_fma_f64 v[24:25], -v[40:41], v[18:19], v[30:31]
	v_fmac_f64_e32 v[10:11], v[38:39], v[18:19]
	v_fmac_f64_e32 v[24:25], v[46:47], v[50:51]
	s_waitcnt vmcnt(0)
	v_fmac_f64_e32 v[16:17], v[54:55], v[50:51]
	v_fmac_f64_e32 v[12:13], v[56:57], v[50:51]
	;; [unrolled: 1-line block ×3, first 2 shown]
	v_fma_f64 v[18:19], -v[56:57], v[52:53], v[16:17]
	v_fmac_f64_e32 v[12:13], v[54:55], v[52:53]
	v_fma_f64 v[16:17], -v[48:49], v[52:53], v[24:25]
	v_fmac_f64_e32 v[10:11], v[46:47], v[52:53]
	s_andn2_b64 exec, exec, s[0:1]
	s_cbranch_execnz .LBB251_17
; %bb.18:
	s_or_b64 exec, exec, s[0:1]
.LBB251_19:
	s_or_b64 exec, exec, s[4:5]
.LBB251_20:
	v_mov_b32_dpp v22, v16 row_shr:1 row_mask:0xf bank_mask:0xf
	v_mov_b32_dpp v23, v17 row_shr:1 row_mask:0xf bank_mask:0xf
	v_add_f64 v[16:17], v[16:17], v[22:23]
	v_mov_b32_dpp v14, v18 row_shr:1 row_mask:0xf bank_mask:0xf
	v_mov_b32_dpp v15, v19 row_shr:1 row_mask:0xf bank_mask:0xf
	;; [unrolled: 1-line block ×4, first 2 shown]
	v_add_f64 v[16:17], v[16:17], v[22:23]
	v_mov_b32_dpp v20, v12 row_shr:1 row_mask:0xf bank_mask:0xf
	v_mov_b32_dpp v21, v13 row_shr:1 row_mask:0xf bank_mask:0xf
	;; [unrolled: 1-line block ×4, first 2 shown]
	v_add_f64 v[16:17], v[16:17], v[22:23]
	v_add_f64 v[14:15], v[18:19], v[14:15]
	;; [unrolled: 1-line block ×3, first 2 shown]
	v_mov_b32_dpp v22, v16 row_shr:8 row_mask:0xf bank_mask:0xc
	v_mov_b32_dpp v23, v17 row_shr:8 row_mask:0xf bank_mask:0xc
	v_add_f64 v[22:23], v[16:17], v[22:23]
	v_mov_b32_dpp v16, v10 row_shr:1 row_mask:0xf bank_mask:0xf
	v_mov_b32_dpp v17, v11 row_shr:1 row_mask:0xf bank_mask:0xf
	v_add_f64 v[10:11], v[10:11], v[16:17]
	v_mov_b32_dpp v18, v14 row_shr:2 row_mask:0xf bank_mask:0xf
	v_mov_b32_dpp v19, v15 row_shr:2 row_mask:0xf bank_mask:0xf
	v_mov_b32_dpp v20, v12 row_shr:2 row_mask:0xf bank_mask:0xf
	v_mov_b32_dpp v21, v13 row_shr:2 row_mask:0xf bank_mask:0xf
	v_mov_b32_dpp v16, v10 row_shr:2 row_mask:0xf bank_mask:0xf
	v_mov_b32_dpp v17, v11 row_shr:2 row_mask:0xf bank_mask:0xf
	v_add_f64 v[14:15], v[14:15], v[18:19]
	v_add_f64 v[12:13], v[12:13], v[20:21]
	v_add_f64 v[10:11], v[10:11], v[16:17]
	v_mov_b32_dpp v18, v14 row_shr:4 row_mask:0xf bank_mask:0xe
	v_mov_b32_dpp v19, v15 row_shr:4 row_mask:0xf bank_mask:0xe
	v_mov_b32_dpp v20, v12 row_shr:4 row_mask:0xf bank_mask:0xe
	v_mov_b32_dpp v21, v13 row_shr:4 row_mask:0xf bank_mask:0xe
	v_mov_b32_dpp v16, v10 row_shr:4 row_mask:0xf bank_mask:0xe
	v_mov_b32_dpp v17, v11 row_shr:4 row_mask:0xf bank_mask:0xe
	v_add_f64 v[14:15], v[14:15], v[18:19]
	v_add_f64 v[12:13], v[12:13], v[20:21]
	;; [unrolled: 9-line block ×3, first 2 shown]
	v_add_f64 v[26:27], v[10:11], v[16:17]
	v_mov_b32_dpp v18, v14 row_bcast:15 row_mask:0xa bank_mask:0xf
	v_mov_b32_dpp v19, v15 row_bcast:15 row_mask:0xa bank_mask:0xf
	;; [unrolled: 1-line block ×8, first 2 shown]
	v_cmp_eq_u32_e32 vcc, 31, v9
	s_and_b64 exec, exec, vcc
	s_cbranch_execz .LBB251_25
; %bb.21:
	s_load_dwordx2 s[2:3], s[2:3], 0x48
	v_cmp_eq_f64_e32 vcc, 0, v[4:5]
	v_cmp_eq_f64_e64 s[0:1], 0, v[6:7]
	v_add_f64 v[14:15], v[14:15], v[18:19]
	v_add_f64 v[16:17], v[12:13], v[20:21]
	;; [unrolled: 1-line block ×4, first 2 shown]
	s_and_b64 s[0:1], vcc, s[0:1]
	s_and_saveexec_b64 s[4:5], s[0:1]
	s_xor_b64 s[0:1], exec, s[4:5]
	s_cbranch_execz .LBB251_23
; %bb.22:
	v_lshlrev_b32_e32 v8, 1, v8
	v_mul_f64 v[4:5], v[16:17], -v[2:3]
	v_mul_f64 v[6:7], v[0:1], v[16:17]
	v_ashrrev_i32_e32 v9, 31, v8
	v_fmac_f64_e32 v[4:5], v[0:1], v[14:15]
	v_fmac_f64_e32 v[6:7], v[2:3], v[14:15]
	s_waitcnt lgkmcnt(0)
	v_lshl_add_u64 v[8:9], v[8:9], 4, s[2:3]
	global_store_dwordx4 v[8:9], v[4:7], off
                                        ; implicit-def: $vgpr14_vgpr15
                                        ; implicit-def: $vgpr16_vgpr17
	s_nop 1
	v_mul_f64 v[4:5], v[12:13], -v[2:3]
	v_mul_f64 v[6:7], v[0:1], v[12:13]
	v_fmac_f64_e32 v[4:5], v[0:1], v[10:11]
	v_fmac_f64_e32 v[6:7], v[2:3], v[10:11]
	global_store_dwordx4 v[8:9], v[4:7], off offset:16
                                        ; implicit-def: $vgpr0_vgpr1
                                        ; implicit-def: $vgpr2_vgpr3
                                        ; implicit-def: $vgpr4_vgpr5
                                        ; implicit-def: $vgpr6_vgpr7
                                        ; implicit-def: $vgpr8
                                        ; implicit-def: $vgpr10_vgpr11
                                        ; implicit-def: $vgpr12_vgpr13
.LBB251_23:
	s_andn2_saveexec_b64 s[0:1], s[0:1]
	s_cbranch_execz .LBB251_25
; %bb.24:
	v_lshlrev_b32_e32 v8, 1, v8
	v_ashrrev_i32_e32 v9, 31, v8
	s_waitcnt lgkmcnt(0)
	v_lshl_add_u64 v[26:27], v[8:9], 4, s[2:3]
	global_load_dwordx4 v[18:21], v[26:27], off
	global_load_dwordx4 v[22:25], v[26:27], off offset:16
	v_mul_f64 v[28:29], v[16:17], -v[2:3]
	v_mul_f64 v[16:17], v[0:1], v[16:17]
	v_mul_f64 v[30:31], v[12:13], -v[2:3]
	v_mul_f64 v[8:9], v[0:1], v[12:13]
	v_fmac_f64_e32 v[28:29], v[0:1], v[14:15]
	v_fmac_f64_e32 v[16:17], v[2:3], v[14:15]
	;; [unrolled: 1-line block ×4, first 2 shown]
	s_waitcnt vmcnt(1)
	v_fmac_f64_e32 v[28:29], v[4:5], v[18:19]
	v_fmac_f64_e32 v[16:17], v[6:7], v[18:19]
	s_waitcnt vmcnt(0)
	v_fmac_f64_e32 v[30:31], v[4:5], v[22:23]
	v_fmac_f64_e32 v[8:9], v[6:7], v[22:23]
	v_fma_f64 v[14:15], -v[6:7], v[20:21], v[28:29]
	v_fmac_f64_e32 v[16:17], v[4:5], v[20:21]
	v_fma_f64 v[6:7], -v[6:7], v[24:25], v[30:31]
	v_fmac_f64_e32 v[8:9], v[4:5], v[24:25]
	global_store_dwordx4 v[26:27], v[14:17], off
	global_store_dwordx4 v[26:27], v[6:9], off offset:16
.LBB251_25:
	s_endpgm
	.section	.rodata,"a",@progbits
	.p2align	6, 0x0
	.amdhsa_kernel _ZN9rocsparseL19gebsrmvn_2xn_kernelILj128ELj6ELj32E21rocsparse_complex_numIdEEEvi20rocsparse_direction_NS_24const_host_device_scalarIT2_EEPKiS8_PKS5_SA_S6_PS5_21rocsparse_index_base_b
		.amdhsa_group_segment_fixed_size 2048
		.amdhsa_private_segment_fixed_size 0
		.amdhsa_kernarg_size 88
		.amdhsa_user_sgpr_count 4
		.amdhsa_user_sgpr_dispatch_ptr 1
		.amdhsa_user_sgpr_queue_ptr 0
		.amdhsa_user_sgpr_kernarg_segment_ptr 1
		.amdhsa_user_sgpr_dispatch_id 0
		.amdhsa_user_sgpr_kernarg_preload_length 0
		.amdhsa_user_sgpr_kernarg_preload_offset 0
		.amdhsa_user_sgpr_private_segment_size 0
		.amdhsa_uses_dynamic_stack 0
		.amdhsa_enable_private_segment 0
		.amdhsa_system_sgpr_workgroup_id_x 1
		.amdhsa_system_sgpr_workgroup_id_y 0
		.amdhsa_system_sgpr_workgroup_id_z 0
		.amdhsa_system_sgpr_workgroup_info 0
		.amdhsa_system_vgpr_workitem_id 2
		.amdhsa_next_free_vgpr 92
		.amdhsa_next_free_sgpr 20
		.amdhsa_accum_offset 92
		.amdhsa_reserve_vcc 1
		.amdhsa_float_round_mode_32 0
		.amdhsa_float_round_mode_16_64 0
		.amdhsa_float_denorm_mode_32 3
		.amdhsa_float_denorm_mode_16_64 3
		.amdhsa_dx10_clamp 1
		.amdhsa_ieee_mode 1
		.amdhsa_fp16_overflow 0
		.amdhsa_tg_split 0
		.amdhsa_exception_fp_ieee_invalid_op 0
		.amdhsa_exception_fp_denorm_src 0
		.amdhsa_exception_fp_ieee_div_zero 0
		.amdhsa_exception_fp_ieee_overflow 0
		.amdhsa_exception_fp_ieee_underflow 0
		.amdhsa_exception_fp_ieee_inexact 0
		.amdhsa_exception_int_div_zero 0
	.end_amdhsa_kernel
	.section	.text._ZN9rocsparseL19gebsrmvn_2xn_kernelILj128ELj6ELj32E21rocsparse_complex_numIdEEEvi20rocsparse_direction_NS_24const_host_device_scalarIT2_EEPKiS8_PKS5_SA_S6_PS5_21rocsparse_index_base_b,"axG",@progbits,_ZN9rocsparseL19gebsrmvn_2xn_kernelILj128ELj6ELj32E21rocsparse_complex_numIdEEEvi20rocsparse_direction_NS_24const_host_device_scalarIT2_EEPKiS8_PKS5_SA_S6_PS5_21rocsparse_index_base_b,comdat
.Lfunc_end251:
	.size	_ZN9rocsparseL19gebsrmvn_2xn_kernelILj128ELj6ELj32E21rocsparse_complex_numIdEEEvi20rocsparse_direction_NS_24const_host_device_scalarIT2_EEPKiS8_PKS5_SA_S6_PS5_21rocsparse_index_base_b, .Lfunc_end251-_ZN9rocsparseL19gebsrmvn_2xn_kernelILj128ELj6ELj32E21rocsparse_complex_numIdEEEvi20rocsparse_direction_NS_24const_host_device_scalarIT2_EEPKiS8_PKS5_SA_S6_PS5_21rocsparse_index_base_b
                                        ; -- End function
	.section	.AMDGPU.csdata,"",@progbits
; Kernel info:
; codeLenInByte = 2520
; NumSgprs: 26
; NumVgprs: 92
; NumAgprs: 0
; TotalNumVgprs: 92
; ScratchSize: 0
; MemoryBound: 0
; FloatMode: 240
; IeeeMode: 1
; LDSByteSize: 2048 bytes/workgroup (compile time only)
; SGPRBlocks: 3
; VGPRBlocks: 11
; NumSGPRsForWavesPerEU: 26
; NumVGPRsForWavesPerEU: 92
; AccumOffset: 92
; Occupancy: 5
; WaveLimiterHint : 1
; COMPUTE_PGM_RSRC2:SCRATCH_EN: 0
; COMPUTE_PGM_RSRC2:USER_SGPR: 4
; COMPUTE_PGM_RSRC2:TRAP_HANDLER: 0
; COMPUTE_PGM_RSRC2:TGID_X_EN: 1
; COMPUTE_PGM_RSRC2:TGID_Y_EN: 0
; COMPUTE_PGM_RSRC2:TGID_Z_EN: 0
; COMPUTE_PGM_RSRC2:TIDIG_COMP_CNT: 2
; COMPUTE_PGM_RSRC3_GFX90A:ACCUM_OFFSET: 22
; COMPUTE_PGM_RSRC3_GFX90A:TG_SPLIT: 0
	.section	.text._ZN9rocsparseL19gebsrmvn_2xn_kernelILj128ELj6ELj64E21rocsparse_complex_numIdEEEvi20rocsparse_direction_NS_24const_host_device_scalarIT2_EEPKiS8_PKS5_SA_S6_PS5_21rocsparse_index_base_b,"axG",@progbits,_ZN9rocsparseL19gebsrmvn_2xn_kernelILj128ELj6ELj64E21rocsparse_complex_numIdEEEvi20rocsparse_direction_NS_24const_host_device_scalarIT2_EEPKiS8_PKS5_SA_S6_PS5_21rocsparse_index_base_b,comdat
	.globl	_ZN9rocsparseL19gebsrmvn_2xn_kernelILj128ELj6ELj64E21rocsparse_complex_numIdEEEvi20rocsparse_direction_NS_24const_host_device_scalarIT2_EEPKiS8_PKS5_SA_S6_PS5_21rocsparse_index_base_b ; -- Begin function _ZN9rocsparseL19gebsrmvn_2xn_kernelILj128ELj6ELj64E21rocsparse_complex_numIdEEEvi20rocsparse_direction_NS_24const_host_device_scalarIT2_EEPKiS8_PKS5_SA_S6_PS5_21rocsparse_index_base_b
	.p2align	8
	.type	_ZN9rocsparseL19gebsrmvn_2xn_kernelILj128ELj6ELj64E21rocsparse_complex_numIdEEEvi20rocsparse_direction_NS_24const_host_device_scalarIT2_EEPKiS8_PKS5_SA_S6_PS5_21rocsparse_index_base_b,@function
_ZN9rocsparseL19gebsrmvn_2xn_kernelILj128ELj6ELj64E21rocsparse_complex_numIdEEEvi20rocsparse_direction_NS_24const_host_device_scalarIT2_EEPKiS8_PKS5_SA_S6_PS5_21rocsparse_index_base_b: ; @_ZN9rocsparseL19gebsrmvn_2xn_kernelILj128ELj6ELj64E21rocsparse_complex_numIdEEEvi20rocsparse_direction_NS_24const_host_device_scalarIT2_EEPKiS8_PKS5_SA_S6_PS5_21rocsparse_index_base_b
; %bb.0:
	s_load_dwordx2 s[16:17], s[2:3], 0x50
	s_load_dwordx4 s[12:15], s[2:3], 0x8
	s_load_dwordx4 s[8:11], s[2:3], 0x38
	s_load_dwordx2 s[18:19], s[0:1], 0x4
	s_mov_b64 s[6:7], src_shared_base
	s_waitcnt lgkmcnt(0)
	s_bitcmp1_b32 s17, 0
	s_cselect_b64 s[0:1], -1, 0
	s_and_b64 vcc, s[0:1], exec
	s_cselect_b32 s5, s7, s13
	s_lshr_b32 s6, s18, 16
	v_bfe_u32 v1, v0, 10, 10
	v_and_b32_e32 v10, 0x3ff, v0
	s_mul_i32 s6, s6, s19
	v_mul_u32_u24_e32 v1, s19, v1
	v_mad_u32_u24 v1, s6, v10, v1
	v_bfe_u32 v0, v0, 20, 10
	v_add_lshl_u32 v4, v1, v0, 3
	v_mov_b32_e32 v5, s12
	v_add_u32_e32 v6, 0x400, v4
	v_mov_b64_e32 v[0:1], s[12:13]
	v_mov_b64_e32 v[2:3], s[8:9]
	ds_write2st64_b64 v4, v[2:3], v[0:1] offset1:2
	v_cndmask_b32_e64 v0, v5, v6, s[0:1]
	v_mov_b32_e32 v1, s5
	flat_load_dwordx2 v[0:1], v[0:1]
	s_xor_b64 s[18:19], s[0:1], -1
	v_mov_b64_e32 v[2:3], s[14:15]
	s_cbranch_vccnz .LBB252_2
; %bb.1:
	v_mov_b64_e32 v[2:3], s[12:13]
	flat_load_dwordx2 v[2:3], v[2:3] offset:8
.LBB252_2:
	s_and_b64 s[12:13], s[0:1], exec
	s_cselect_b32 s5, s7, s9
	v_mov_b32_e32 v5, s8
	v_cndmask_b32_e64 v4, v5, v4, s[0:1]
	v_mov_b32_e32 v5, s5
	flat_load_dwordx2 v[4:5], v[4:5]
	s_andn2_b64 vcc, exec, s[18:19]
	v_mov_b64_e32 v[6:7], s[10:11]
	s_cbranch_vccnz .LBB252_4
; %bb.3:
	v_mov_b64_e32 v[6:7], s[8:9]
	flat_load_dwordx2 v[6:7], v[6:7] offset:8
.LBB252_4:
	s_waitcnt vmcnt(0) lgkmcnt(0)
	v_cmp_eq_f64_e32 vcc, 0, v[0:1]
	v_cmp_eq_f64_e64 s[0:1], 0, v[2:3]
	s_and_b64 s[8:9], vcc, s[0:1]
	s_mov_b64 s[0:1], -1
	s_and_saveexec_b64 s[6:7], s[8:9]
; %bb.5:
	v_cmp_neq_f64_e32 vcc, 1.0, v[4:5]
	v_cmp_neq_f64_e64 s[0:1], 0, v[6:7]
	s_or_b64 s[0:1], vcc, s[0:1]
	s_orn2_b64 s[0:1], s[0:1], exec
; %bb.6:
	s_or_b64 exec, exec, s[6:7]
	s_and_saveexec_b64 s[6:7], s[0:1]
	s_cbranch_execz .LBB252_25
; %bb.7:
	s_load_dwordx2 s[0:1], s[2:3], 0x0
	v_lshrrev_b32_e32 v8, 6, v10
	v_lshl_or_b32 v8, s4, 1, v8
	s_waitcnt lgkmcnt(0)
	v_cmp_gt_i32_e32 vcc, s0, v8
	s_and_b64 exec, exec, vcc
	s_cbranch_execz .LBB252_25
; %bb.8:
	s_load_dwordx8 s[4:11], s[2:3], 0x18
	v_ashrrev_i32_e32 v9, 31, v8
	s_cmp_lg_u32 s1, 0
	s_waitcnt lgkmcnt(0)
	v_lshl_add_u64 v[12:13], v[8:9], 2, s[4:5]
	global_load_dwordx2 v[12:13], v[12:13], off
	v_and_b32_e32 v9, 63, v10
	s_waitcnt vmcnt(0)
	v_subrev_u32_e32 v10, s16, v12
	v_subrev_u32_e32 v28, s16, v13
	v_add_u32_e32 v14, v10, v9
	v_cmp_lt_i32_e64 s[0:1], v14, v28
	s_cbranch_scc0 .LBB252_14
; %bb.9:
	v_mov_b64_e32 v[12:13], 0
	s_mov_b64 s[4:5], 0
	v_mov_b64_e32 v[18:19], v[12:13]
	v_mov_b64_e32 v[16:17], v[12:13]
	;; [unrolled: 1-line block ×3, first 2 shown]
	s_and_saveexec_b64 s[12:13], s[0:1]
	s_cbranch_execz .LBB252_13
; %bb.10:
	v_mad_u64_u32 v[20:21], s[14:15], v14, 12, 10
	v_mov_b64_e32 v[12:13], 0
	s_mov_b64 s[14:15], 0
	v_mov_b32_e32 v23, 0
	v_mov_b32_e32 v24, v14
	v_mov_b64_e32 v[18:19], v[12:13]
	v_mov_b64_e32 v[16:17], v[12:13]
	;; [unrolled: 1-line block ×3, first 2 shown]
.LBB252_11:                             ; =>This Inner Loop Header: Depth=1
	v_ashrrev_i32_e32 v25, 31, v24
	v_add_u32_e32 v22, -10, v20
	v_lshl_add_u64 v[46:47], v[24:25], 2, s[6:7]
	v_lshl_add_u64 v[48:49], v[22:23], 4, s[8:9]
	global_load_dword v15, v[46:47], off
	global_load_dwordx4 v[30:33], v[48:49], off offset:48
	global_load_dwordx4 v[34:37], v[48:49], off offset:32
	;; [unrolled: 1-line block ×3, first 2 shown]
	global_load_dwordx4 v[42:45], v[48:49], off
	v_mov_b32_e32 v27, v23
	v_mov_b32_e32 v21, v23
	v_add_u32_e32 v22, -6, v20
	v_lshl_add_u64 v[62:63], v[20:21], 4, s[8:9]
	v_lshl_add_u64 v[64:65], v[22:23], 4, s[8:9]
	global_load_dwordx4 v[46:49], v[62:63], off
	global_load_dwordx4 v[50:53], v[62:63], off offset:16
	global_load_dwordx4 v[54:57], v[64:65], off offset:16
	global_load_dwordx4 v[58:61], v[64:65], off
	v_add_u32_e32 v24, 64, v24
	v_cmp_ge_i32_e32 vcc, v24, v28
	s_or_b64 s[14:15], vcc, s[14:15]
	s_waitcnt vmcnt(8)
	v_subrev_u32_e32 v15, s16, v15
	v_mul_lo_u32 v26, v15, 6
	v_lshl_add_u64 v[70:71], v[26:27], 4, s[10:11]
	global_load_dwordx4 v[62:65], v[70:71], off
	global_load_dwordx4 v[66:69], v[70:71], off offset:16
	v_add_u32_e32 v22, 2, v26
	v_lshl_add_u64 v[78:79], v[22:23], 4, s[10:11]
	v_add_u32_e32 v22, -4, v20
	global_load_dwordx4 v[70:73], v[78:79], off
	global_load_dwordx4 v[74:77], v[78:79], off offset:16
	v_lshl_add_u64 v[86:87], v[22:23], 4, s[8:9]
	v_add_u32_e32 v22, -2, v20
	global_load_dwordx4 v[78:81], v[86:87], off offset:16
	global_load_dwordx4 v[82:85], v[86:87], off
	v_lshl_add_u64 v[90:91], v[22:23], 4, s[8:9]
	v_add_u32_e32 v22, 4, v26
	v_add_u32_e32 v20, 0x300, v20
	s_waitcnt vmcnt(5)
	v_fmac_f64_e32 v[18:19], v[42:43], v[62:63]
	v_fmac_f64_e32 v[12:13], v[44:45], v[62:63]
	;; [unrolled: 1-line block ×4, first 2 shown]
	v_fma_f64 v[26:27], -v[44:45], v[64:65], v[18:19]
	v_fmac_f64_e32 v[12:13], v[42:43], v[64:65]
	global_load_dwordx4 v[42:45], v[90:91], off offset:16
	global_load_dwordx4 v[86:89], v[90:91], off
	v_fma_f64 v[62:63], -v[40:41], v[64:65], v[16:17]
	v_fmac_f64_e32 v[10:11], v[38:39], v[64:65]
	v_lshl_add_u64 v[64:65], v[22:23], 4, s[10:11]
	global_load_dwordx4 v[16:19], v[64:65], off
	global_load_dwordx4 v[38:41], v[64:65], off offset:16
	s_waitcnt vmcnt(8)
	v_fmac_f64_e32 v[26:27], v[34:35], v[66:67]
	v_fmac_f64_e32 v[12:13], v[36:37], v[66:67]
	v_fmac_f64_e32 v[62:63], v[30:31], v[66:67]
	v_fmac_f64_e32 v[10:11], v[32:33], v[66:67]
	v_fma_f64 v[26:27], -v[36:37], v[68:69], v[26:27]
	v_fmac_f64_e32 v[12:13], v[34:35], v[68:69]
	v_fma_f64 v[32:33], -v[32:33], v[68:69], v[62:63]
	v_fmac_f64_e32 v[10:11], v[30:31], v[68:69]
	s_waitcnt vmcnt(7)
	v_fmac_f64_e32 v[26:27], v[58:59], v[70:71]
	v_fmac_f64_e32 v[12:13], v[60:61], v[70:71]
	v_fmac_f64_e32 v[32:33], v[54:55], v[70:71]
	v_fmac_f64_e32 v[10:11], v[56:57], v[70:71]
	v_fma_f64 v[26:27], -v[60:61], v[72:73], v[26:27]
	v_fmac_f64_e32 v[12:13], v[58:59], v[72:73]
	v_fma_f64 v[30:31], -v[56:57], v[72:73], v[32:33]
	v_fmac_f64_e32 v[10:11], v[54:55], v[72:73]
	;; [unrolled: 9-line block ×5, first 2 shown]
	s_andn2_b64 exec, exec, s[14:15]
	s_cbranch_execnz .LBB252_11
; %bb.12:
	s_or_b64 exec, exec, s[14:15]
.LBB252_13:
	s_or_b64 exec, exec, s[12:13]
	s_andn2_b64 vcc, exec, s[4:5]
	s_cbranch_vccz .LBB252_15
	s_branch .LBB252_20
.LBB252_14:
                                        ; implicit-def: $vgpr12_vgpr13
                                        ; implicit-def: $vgpr18_vgpr19
                                        ; implicit-def: $vgpr16_vgpr17
                                        ; implicit-def: $vgpr10_vgpr11
.LBB252_15:
	v_mov_b64_e32 v[12:13], 0
	v_mov_b64_e32 v[18:19], v[12:13]
	;; [unrolled: 1-line block ×4, first 2 shown]
	s_and_saveexec_b64 s[4:5], s[0:1]
	s_cbranch_execz .LBB252_19
; %bb.16:
	v_mad_u64_u32 v[20:21], s[0:1], v14, 12, 11
	v_mov_b64_e32 v[12:13], 0
	s_mov_b64 s[0:1], 0
	v_mov_b32_e32 v23, 0
	v_mov_b64_e32 v[18:19], v[12:13]
	v_mov_b64_e32 v[16:17], v[12:13]
	;; [unrolled: 1-line block ×3, first 2 shown]
.LBB252_17:                             ; =>This Inner Loop Header: Depth=1
	v_ashrrev_i32_e32 v15, 31, v14
	v_add_u32_e32 v22, -11, v20
	v_lshl_add_u64 v[46:47], v[14:15], 2, s[6:7]
	v_lshl_add_u64 v[48:49], v[22:23], 4, s[8:9]
	global_load_dword v15, v[46:47], off
	global_load_dwordx4 v[30:33], v[48:49], off offset:48
	global_load_dwordx4 v[34:37], v[48:49], off offset:32
	;; [unrolled: 1-line block ×3, first 2 shown]
	global_load_dwordx4 v[42:45], v[48:49], off
	v_add_u32_e32 v26, -5, v20
	v_mov_b32_e32 v27, v23
	v_mov_b32_e32 v21, v23
	;; [unrolled: 1-line block ×3, first 2 shown]
	v_lshl_add_u64 v[26:27], v[26:27], 4, s[8:9]
	v_add_u32_e32 v22, -4, v20
	v_lshl_add_u64 v[58:59], v[20:21], 4, s[8:9]
	v_lshl_add_u64 v[60:61], v[22:23], 4, s[8:9]
	global_load_dwordx4 v[46:49], v[58:59], off
	global_load_dwordx4 v[50:53], v[26:27], off
	;; [unrolled: 1-line block ×3, first 2 shown]
	v_add_u32_e32 v14, 64, v14
	v_cmp_ge_i32_e32 vcc, v14, v28
	s_or_b64 s[0:1], vcc, s[0:1]
	s_waitcnt vmcnt(7)
	v_subrev_u32_e32 v15, s16, v15
	v_mul_lo_u32 v24, v15, 6
	v_lshl_add_u64 v[26:27], v[24:25], 4, s[10:11]
	global_load_dwordx4 v[58:61], v[26:27], off
	global_load_dwordx4 v[62:65], v[26:27], off offset:16
	v_add_u32_e32 v22, 2, v24
	v_lshl_add_u64 v[26:27], v[22:23], 4, s[10:11]
	v_add_u32_e32 v22, -3, v20
	global_load_dwordx4 v[66:69], v[26:27], off
	global_load_dwordx4 v[70:73], v[26:27], off offset:16
	v_lshl_add_u64 v[26:27], v[22:23], 4, s[8:9]
	v_add_u32_e32 v22, -2, v20
	v_lshl_add_u64 v[78:79], v[22:23], 4, s[8:9]
	v_add_u32_e32 v22, -7, v20
	global_load_dwordx4 v[74:77], v[26:27], off
	s_waitcnt vmcnt(4)
	v_fmac_f64_e32 v[18:19], v[42:43], v[58:59]
	v_fmac_f64_e32 v[12:13], v[44:45], v[58:59]
	v_fma_f64 v[80:81], -v[44:45], v[60:61], v[18:19]
	v_fmac_f64_e32 v[12:13], v[42:43], v[60:61]
	v_lshl_add_u64 v[18:19], v[22:23], 4, s[8:9]
	v_add_u32_e32 v22, 4, v24
	v_fmac_f64_e32 v[16:17], v[50:51], v[58:59]
	v_fmac_f64_e32 v[10:11], v[52:53], v[58:59]
	global_load_dwordx4 v[42:45], v[78:79], off
	global_load_dwordx4 v[24:27], v[18:19], off
	v_fma_f64 v[58:59], -v[52:53], v[60:61], v[16:17]
	v_fmac_f64_e32 v[10:11], v[50:51], v[60:61]
	v_lshl_add_u64 v[60:61], v[22:23], 4, s[10:11]
	v_add_u32_e32 v22, -1, v20
	s_waitcnt vmcnt(5)
	v_fmac_f64_e32 v[12:13], v[40:41], v[62:63]
	v_fmac_f64_e32 v[80:81], v[38:39], v[62:63]
	;; [unrolled: 1-line block ×3, first 2 shown]
	v_lshl_add_u64 v[38:39], v[22:23], 4, s[8:9]
	global_load_dwordx4 v[50:53], v[60:61], off offset:16
	global_load_dwordx4 v[16:19], v[60:61], off
	v_fma_f64 v[60:61], -v[40:41], v[64:65], v[80:81]
	v_add_u32_e32 v22, -6, v20
	global_load_dwordx4 v[38:41], v[38:39], off
	v_fmac_f64_e32 v[10:11], v[56:57], v[62:63]
	v_fmac_f64_e32 v[58:59], v[54:55], v[62:63]
	;; [unrolled: 1-line block ×3, first 2 shown]
	v_lshl_add_u64 v[54:55], v[22:23], 4, s[8:9]
	v_fma_f64 v[58:59], -v[56:57], v[64:65], v[58:59]
	global_load_dwordx4 v[54:57], v[54:55], off
	s_waitcnt vmcnt(8)
	v_fmac_f64_e32 v[60:61], v[34:35], v[66:67]
	v_fmac_f64_e32 v[12:13], v[36:37], v[66:67]
	s_waitcnt vmcnt(6)
	v_fmac_f64_e32 v[58:59], v[74:75], v[66:67]
	v_fmac_f64_e32 v[10:11], v[76:77], v[66:67]
	v_fma_f64 v[36:37], -v[36:37], v[68:69], v[60:61]
	v_fmac_f64_e32 v[12:13], v[34:35], v[68:69]
	v_fma_f64 v[34:35], -v[76:77], v[68:69], v[58:59]
	v_fmac_f64_e32 v[10:11], v[74:75], v[68:69]
	v_fmac_f64_e32 v[36:37], v[30:31], v[70:71]
	;; [unrolled: 1-line block ×3, first 2 shown]
	v_fma_f64 v[32:33], -v[32:33], v[72:73], v[36:37]
	v_fmac_f64_e32 v[12:13], v[30:31], v[72:73]
	v_add_u32_e32 v20, 0x300, v20
	s_waitcnt vmcnt(5)
	v_fmac_f64_e32 v[34:35], v[42:43], v[70:71]
	v_fmac_f64_e32 v[10:11], v[44:45], v[70:71]
	v_fma_f64 v[30:31], -v[44:45], v[72:73], v[34:35]
	v_fmac_f64_e32 v[10:11], v[42:43], v[72:73]
	s_waitcnt vmcnt(2)
	v_fmac_f64_e32 v[32:33], v[24:25], v[16:17]
	v_fmac_f64_e32 v[12:13], v[26:27], v[16:17]
	;; [unrolled: 1-line block ×3, first 2 shown]
	s_waitcnt vmcnt(1)
	v_fmac_f64_e32 v[30:31], v[38:39], v[16:17]
	v_fmac_f64_e32 v[10:11], v[40:41], v[16:17]
	v_fma_f64 v[16:17], -v[26:27], v[18:19], v[32:33]
	v_fma_f64 v[24:25], -v[40:41], v[18:19], v[30:31]
	v_fmac_f64_e32 v[10:11], v[38:39], v[18:19]
	v_fmac_f64_e32 v[24:25], v[46:47], v[50:51]
	s_waitcnt vmcnt(0)
	v_fmac_f64_e32 v[16:17], v[54:55], v[50:51]
	v_fmac_f64_e32 v[12:13], v[56:57], v[50:51]
	;; [unrolled: 1-line block ×3, first 2 shown]
	v_fma_f64 v[18:19], -v[56:57], v[52:53], v[16:17]
	v_fmac_f64_e32 v[12:13], v[54:55], v[52:53]
	v_fma_f64 v[16:17], -v[48:49], v[52:53], v[24:25]
	v_fmac_f64_e32 v[10:11], v[46:47], v[52:53]
	s_andn2_b64 exec, exec, s[0:1]
	s_cbranch_execnz .LBB252_17
; %bb.18:
	s_or_b64 exec, exec, s[0:1]
.LBB252_19:
	s_or_b64 exec, exec, s[4:5]
.LBB252_20:
	v_mov_b32_dpp v22, v16 row_shr:1 row_mask:0xf bank_mask:0xf
	v_mov_b32_dpp v23, v17 row_shr:1 row_mask:0xf bank_mask:0xf
	v_add_f64 v[16:17], v[16:17], v[22:23]
	v_mov_b32_dpp v14, v18 row_shr:1 row_mask:0xf bank_mask:0xf
	v_mov_b32_dpp v15, v19 row_shr:1 row_mask:0xf bank_mask:0xf
	;; [unrolled: 1-line block ×4, first 2 shown]
	v_add_f64 v[16:17], v[16:17], v[22:23]
	v_mov_b32_dpp v20, v12 row_shr:1 row_mask:0xf bank_mask:0xf
	v_mov_b32_dpp v21, v13 row_shr:1 row_mask:0xf bank_mask:0xf
	;; [unrolled: 1-line block ×4, first 2 shown]
	v_add_f64 v[16:17], v[16:17], v[22:23]
	v_add_f64 v[14:15], v[18:19], v[14:15]
	;; [unrolled: 1-line block ×3, first 2 shown]
	v_mov_b32_dpp v22, v16 row_shr:8 row_mask:0xf bank_mask:0xc
	v_mov_b32_dpp v23, v17 row_shr:8 row_mask:0xf bank_mask:0xc
	v_add_f64 v[16:17], v[16:17], v[22:23]
	v_mov_b32_dpp v18, v14 row_shr:2 row_mask:0xf bank_mask:0xf
	v_mov_b32_dpp v19, v15 row_shr:2 row_mask:0xf bank_mask:0xf
	v_mov_b32_dpp v22, v16 row_bcast:15 row_mask:0xa bank_mask:0xf
	v_mov_b32_dpp v23, v17 row_bcast:15 row_mask:0xa bank_mask:0xf
	v_add_f64 v[22:23], v[16:17], v[22:23]
	v_mov_b32_dpp v16, v10 row_shr:1 row_mask:0xf bank_mask:0xf
	v_mov_b32_dpp v17, v11 row_shr:1 row_mask:0xf bank_mask:0xf
	v_add_f64 v[10:11], v[10:11], v[16:17]
	v_mov_b32_dpp v20, v12 row_shr:2 row_mask:0xf bank_mask:0xf
	v_mov_b32_dpp v21, v13 row_shr:2 row_mask:0xf bank_mask:0xf
	;; [unrolled: 1-line block ×4, first 2 shown]
	v_add_f64 v[14:15], v[14:15], v[18:19]
	v_add_f64 v[12:13], v[12:13], v[20:21]
	;; [unrolled: 1-line block ×3, first 2 shown]
	v_mov_b32_dpp v18, v14 row_shr:4 row_mask:0xf bank_mask:0xe
	v_mov_b32_dpp v19, v15 row_shr:4 row_mask:0xf bank_mask:0xe
	;; [unrolled: 1-line block ×6, first 2 shown]
	v_add_f64 v[14:15], v[14:15], v[18:19]
	v_add_f64 v[12:13], v[12:13], v[20:21]
	;; [unrolled: 1-line block ×3, first 2 shown]
	v_mov_b32_dpp v18, v14 row_shr:8 row_mask:0xf bank_mask:0xc
	v_mov_b32_dpp v19, v15 row_shr:8 row_mask:0xf bank_mask:0xc
	;; [unrolled: 1-line block ×6, first 2 shown]
	v_add_f64 v[14:15], v[14:15], v[18:19]
	v_add_f64 v[12:13], v[12:13], v[20:21]
	v_add_f64 v[10:11], v[10:11], v[16:17]
	v_mov_b32_dpp v18, v14 row_bcast:15 row_mask:0xa bank_mask:0xf
	v_mov_b32_dpp v19, v15 row_bcast:15 row_mask:0xa bank_mask:0xf
	;; [unrolled: 1-line block ×6, first 2 shown]
	v_add_f64 v[14:15], v[14:15], v[18:19]
	v_add_f64 v[12:13], v[12:13], v[20:21]
	;; [unrolled: 1-line block ×3, first 2 shown]
	v_mov_b32_dpp v18, v14 row_bcast:31 row_mask:0xc bank_mask:0xf
	v_mov_b32_dpp v19, v15 row_bcast:31 row_mask:0xc bank_mask:0xf
	;; [unrolled: 1-line block ×8, first 2 shown]
	v_cmp_eq_u32_e32 vcc, 63, v9
	s_and_b64 exec, exec, vcc
	s_cbranch_execz .LBB252_25
; %bb.21:
	s_load_dwordx2 s[2:3], s[2:3], 0x48
	v_cmp_eq_f64_e32 vcc, 0, v[4:5]
	v_cmp_eq_f64_e64 s[0:1], 0, v[6:7]
	v_add_f64 v[14:15], v[14:15], v[18:19]
	v_add_f64 v[16:17], v[12:13], v[20:21]
	;; [unrolled: 1-line block ×4, first 2 shown]
	s_and_b64 s[0:1], vcc, s[0:1]
	s_and_saveexec_b64 s[4:5], s[0:1]
	s_xor_b64 s[0:1], exec, s[4:5]
	s_cbranch_execz .LBB252_23
; %bb.22:
	v_lshlrev_b32_e32 v8, 1, v8
	v_mul_f64 v[4:5], v[16:17], -v[2:3]
	v_mul_f64 v[6:7], v[0:1], v[16:17]
	v_ashrrev_i32_e32 v9, 31, v8
	v_fmac_f64_e32 v[4:5], v[0:1], v[14:15]
	v_fmac_f64_e32 v[6:7], v[2:3], v[14:15]
	s_waitcnt lgkmcnt(0)
	v_lshl_add_u64 v[8:9], v[8:9], 4, s[2:3]
	global_store_dwordx4 v[8:9], v[4:7], off
                                        ; implicit-def: $vgpr14_vgpr15
                                        ; implicit-def: $vgpr16_vgpr17
	s_nop 1
	v_mul_f64 v[4:5], v[12:13], -v[2:3]
	v_mul_f64 v[6:7], v[0:1], v[12:13]
	v_fmac_f64_e32 v[4:5], v[0:1], v[10:11]
	v_fmac_f64_e32 v[6:7], v[2:3], v[10:11]
	global_store_dwordx4 v[8:9], v[4:7], off offset:16
                                        ; implicit-def: $vgpr0_vgpr1
                                        ; implicit-def: $vgpr2_vgpr3
                                        ; implicit-def: $vgpr4_vgpr5
                                        ; implicit-def: $vgpr6_vgpr7
                                        ; implicit-def: $vgpr8
                                        ; implicit-def: $vgpr10_vgpr11
                                        ; implicit-def: $vgpr12_vgpr13
.LBB252_23:
	s_andn2_saveexec_b64 s[0:1], s[0:1]
	s_cbranch_execz .LBB252_25
; %bb.24:
	v_lshlrev_b32_e32 v8, 1, v8
	v_ashrrev_i32_e32 v9, 31, v8
	s_waitcnt lgkmcnt(0)
	v_lshl_add_u64 v[26:27], v[8:9], 4, s[2:3]
	global_load_dwordx4 v[18:21], v[26:27], off
	global_load_dwordx4 v[22:25], v[26:27], off offset:16
	v_mul_f64 v[28:29], v[16:17], -v[2:3]
	v_mul_f64 v[16:17], v[0:1], v[16:17]
	v_mul_f64 v[30:31], v[12:13], -v[2:3]
	v_mul_f64 v[8:9], v[0:1], v[12:13]
	v_fmac_f64_e32 v[28:29], v[0:1], v[14:15]
	v_fmac_f64_e32 v[16:17], v[2:3], v[14:15]
	;; [unrolled: 1-line block ×4, first 2 shown]
	s_waitcnt vmcnt(1)
	v_fmac_f64_e32 v[28:29], v[4:5], v[18:19]
	v_fmac_f64_e32 v[16:17], v[6:7], v[18:19]
	s_waitcnt vmcnt(0)
	v_fmac_f64_e32 v[30:31], v[4:5], v[22:23]
	v_fmac_f64_e32 v[8:9], v[6:7], v[22:23]
	v_fma_f64 v[14:15], -v[6:7], v[20:21], v[28:29]
	v_fmac_f64_e32 v[16:17], v[4:5], v[20:21]
	v_fma_f64 v[6:7], -v[6:7], v[24:25], v[30:31]
	v_fmac_f64_e32 v[8:9], v[4:5], v[24:25]
	global_store_dwordx4 v[26:27], v[14:17], off
	global_store_dwordx4 v[26:27], v[6:9], off offset:16
.LBB252_25:
	s_endpgm
	.section	.rodata,"a",@progbits
	.p2align	6, 0x0
	.amdhsa_kernel _ZN9rocsparseL19gebsrmvn_2xn_kernelILj128ELj6ELj64E21rocsparse_complex_numIdEEEvi20rocsparse_direction_NS_24const_host_device_scalarIT2_EEPKiS8_PKS5_SA_S6_PS5_21rocsparse_index_base_b
		.amdhsa_group_segment_fixed_size 2048
		.amdhsa_private_segment_fixed_size 0
		.amdhsa_kernarg_size 88
		.amdhsa_user_sgpr_count 4
		.amdhsa_user_sgpr_dispatch_ptr 1
		.amdhsa_user_sgpr_queue_ptr 0
		.amdhsa_user_sgpr_kernarg_segment_ptr 1
		.amdhsa_user_sgpr_dispatch_id 0
		.amdhsa_user_sgpr_kernarg_preload_length 0
		.amdhsa_user_sgpr_kernarg_preload_offset 0
		.amdhsa_user_sgpr_private_segment_size 0
		.amdhsa_uses_dynamic_stack 0
		.amdhsa_enable_private_segment 0
		.amdhsa_system_sgpr_workgroup_id_x 1
		.amdhsa_system_sgpr_workgroup_id_y 0
		.amdhsa_system_sgpr_workgroup_id_z 0
		.amdhsa_system_sgpr_workgroup_info 0
		.amdhsa_system_vgpr_workitem_id 2
		.amdhsa_next_free_vgpr 92
		.amdhsa_next_free_sgpr 20
		.amdhsa_accum_offset 92
		.amdhsa_reserve_vcc 1
		.amdhsa_float_round_mode_32 0
		.amdhsa_float_round_mode_16_64 0
		.amdhsa_float_denorm_mode_32 3
		.amdhsa_float_denorm_mode_16_64 3
		.amdhsa_dx10_clamp 1
		.amdhsa_ieee_mode 1
		.amdhsa_fp16_overflow 0
		.amdhsa_tg_split 0
		.amdhsa_exception_fp_ieee_invalid_op 0
		.amdhsa_exception_fp_denorm_src 0
		.amdhsa_exception_fp_ieee_div_zero 0
		.amdhsa_exception_fp_ieee_overflow 0
		.amdhsa_exception_fp_ieee_underflow 0
		.amdhsa_exception_fp_ieee_inexact 0
		.amdhsa_exception_int_div_zero 0
	.end_amdhsa_kernel
	.section	.text._ZN9rocsparseL19gebsrmvn_2xn_kernelILj128ELj6ELj64E21rocsparse_complex_numIdEEEvi20rocsparse_direction_NS_24const_host_device_scalarIT2_EEPKiS8_PKS5_SA_S6_PS5_21rocsparse_index_base_b,"axG",@progbits,_ZN9rocsparseL19gebsrmvn_2xn_kernelILj128ELj6ELj64E21rocsparse_complex_numIdEEEvi20rocsparse_direction_NS_24const_host_device_scalarIT2_EEPKiS8_PKS5_SA_S6_PS5_21rocsparse_index_base_b,comdat
.Lfunc_end252:
	.size	_ZN9rocsparseL19gebsrmvn_2xn_kernelILj128ELj6ELj64E21rocsparse_complex_numIdEEEvi20rocsparse_direction_NS_24const_host_device_scalarIT2_EEPKiS8_PKS5_SA_S6_PS5_21rocsparse_index_base_b, .Lfunc_end252-_ZN9rocsparseL19gebsrmvn_2xn_kernelILj128ELj6ELj64E21rocsparse_complex_numIdEEEvi20rocsparse_direction_NS_24const_host_device_scalarIT2_EEPKiS8_PKS5_SA_S6_PS5_21rocsparse_index_base_b
                                        ; -- End function
	.section	.AMDGPU.csdata,"",@progbits
; Kernel info:
; codeLenInByte = 2616
; NumSgprs: 26
; NumVgprs: 92
; NumAgprs: 0
; TotalNumVgprs: 92
; ScratchSize: 0
; MemoryBound: 0
; FloatMode: 240
; IeeeMode: 1
; LDSByteSize: 2048 bytes/workgroup (compile time only)
; SGPRBlocks: 3
; VGPRBlocks: 11
; NumSGPRsForWavesPerEU: 26
; NumVGPRsForWavesPerEU: 92
; AccumOffset: 92
; Occupancy: 5
; WaveLimiterHint : 1
; COMPUTE_PGM_RSRC2:SCRATCH_EN: 0
; COMPUTE_PGM_RSRC2:USER_SGPR: 4
; COMPUTE_PGM_RSRC2:TRAP_HANDLER: 0
; COMPUTE_PGM_RSRC2:TGID_X_EN: 1
; COMPUTE_PGM_RSRC2:TGID_Y_EN: 0
; COMPUTE_PGM_RSRC2:TGID_Z_EN: 0
; COMPUTE_PGM_RSRC2:TIDIG_COMP_CNT: 2
; COMPUTE_PGM_RSRC3_GFX90A:ACCUM_OFFSET: 22
; COMPUTE_PGM_RSRC3_GFX90A:TG_SPLIT: 0
	.section	.text._ZN9rocsparseL19gebsrmvn_2xn_kernelILj128ELj7ELj4E21rocsparse_complex_numIdEEEvi20rocsparse_direction_NS_24const_host_device_scalarIT2_EEPKiS8_PKS5_SA_S6_PS5_21rocsparse_index_base_b,"axG",@progbits,_ZN9rocsparseL19gebsrmvn_2xn_kernelILj128ELj7ELj4E21rocsparse_complex_numIdEEEvi20rocsparse_direction_NS_24const_host_device_scalarIT2_EEPKiS8_PKS5_SA_S6_PS5_21rocsparse_index_base_b,comdat
	.globl	_ZN9rocsparseL19gebsrmvn_2xn_kernelILj128ELj7ELj4E21rocsparse_complex_numIdEEEvi20rocsparse_direction_NS_24const_host_device_scalarIT2_EEPKiS8_PKS5_SA_S6_PS5_21rocsparse_index_base_b ; -- Begin function _ZN9rocsparseL19gebsrmvn_2xn_kernelILj128ELj7ELj4E21rocsparse_complex_numIdEEEvi20rocsparse_direction_NS_24const_host_device_scalarIT2_EEPKiS8_PKS5_SA_S6_PS5_21rocsparse_index_base_b
	.p2align	8
	.type	_ZN9rocsparseL19gebsrmvn_2xn_kernelILj128ELj7ELj4E21rocsparse_complex_numIdEEEvi20rocsparse_direction_NS_24const_host_device_scalarIT2_EEPKiS8_PKS5_SA_S6_PS5_21rocsparse_index_base_b,@function
_ZN9rocsparseL19gebsrmvn_2xn_kernelILj128ELj7ELj4E21rocsparse_complex_numIdEEEvi20rocsparse_direction_NS_24const_host_device_scalarIT2_EEPKiS8_PKS5_SA_S6_PS5_21rocsparse_index_base_b: ; @_ZN9rocsparseL19gebsrmvn_2xn_kernelILj128ELj7ELj4E21rocsparse_complex_numIdEEEvi20rocsparse_direction_NS_24const_host_device_scalarIT2_EEPKiS8_PKS5_SA_S6_PS5_21rocsparse_index_base_b
; %bb.0:
	s_load_dwordx2 s[16:17], s[2:3], 0x50
	s_load_dwordx4 s[12:15], s[2:3], 0x8
	s_load_dwordx4 s[8:11], s[2:3], 0x38
	s_load_dwordx2 s[18:19], s[0:1], 0x4
	s_mov_b64 s[6:7], src_shared_base
	s_waitcnt lgkmcnt(0)
	s_bitcmp1_b32 s17, 0
	s_cselect_b64 s[0:1], -1, 0
	s_and_b64 vcc, s[0:1], exec
	s_cselect_b32 s5, s7, s13
	s_lshr_b32 s6, s18, 16
	v_bfe_u32 v1, v0, 10, 10
	v_and_b32_e32 v10, 0x3ff, v0
	s_mul_i32 s6, s6, s19
	v_mul_u32_u24_e32 v1, s19, v1
	v_mad_u32_u24 v1, s6, v10, v1
	v_bfe_u32 v0, v0, 20, 10
	v_add_lshl_u32 v4, v1, v0, 3
	v_mov_b32_e32 v5, s12
	v_add_u32_e32 v6, 0x400, v4
	v_mov_b64_e32 v[0:1], s[12:13]
	v_mov_b64_e32 v[2:3], s[8:9]
	ds_write2st64_b64 v4, v[2:3], v[0:1] offset1:2
	v_cndmask_b32_e64 v0, v5, v6, s[0:1]
	v_mov_b32_e32 v1, s5
	flat_load_dwordx2 v[0:1], v[0:1]
	s_xor_b64 s[18:19], s[0:1], -1
	v_mov_b64_e32 v[2:3], s[14:15]
	s_cbranch_vccnz .LBB253_2
; %bb.1:
	v_mov_b64_e32 v[2:3], s[12:13]
	flat_load_dwordx2 v[2:3], v[2:3] offset:8
.LBB253_2:
	s_and_b64 s[12:13], s[0:1], exec
	s_cselect_b32 s5, s7, s9
	v_mov_b32_e32 v5, s8
	v_cndmask_b32_e64 v4, v5, v4, s[0:1]
	v_mov_b32_e32 v5, s5
	flat_load_dwordx2 v[4:5], v[4:5]
	s_andn2_b64 vcc, exec, s[18:19]
	v_mov_b64_e32 v[6:7], s[10:11]
	s_cbranch_vccnz .LBB253_4
; %bb.3:
	v_mov_b64_e32 v[6:7], s[8:9]
	flat_load_dwordx2 v[6:7], v[6:7] offset:8
.LBB253_4:
	s_waitcnt vmcnt(0) lgkmcnt(0)
	v_cmp_eq_f64_e32 vcc, 0, v[0:1]
	v_cmp_eq_f64_e64 s[0:1], 0, v[2:3]
	s_and_b64 s[8:9], vcc, s[0:1]
	s_mov_b64 s[0:1], -1
	s_and_saveexec_b64 s[6:7], s[8:9]
; %bb.5:
	v_cmp_neq_f64_e32 vcc, 1.0, v[4:5]
	v_cmp_neq_f64_e64 s[0:1], 0, v[6:7]
	s_or_b64 s[0:1], vcc, s[0:1]
	s_orn2_b64 s[0:1], s[0:1], exec
; %bb.6:
	s_or_b64 exec, exec, s[6:7]
	s_and_saveexec_b64 s[6:7], s[0:1]
	s_cbranch_execz .LBB253_25
; %bb.7:
	s_load_dwordx2 s[0:1], s[2:3], 0x0
	v_lshrrev_b32_e32 v8, 2, v10
	v_lshl_or_b32 v8, s4, 5, v8
	s_waitcnt lgkmcnt(0)
	v_cmp_gt_i32_e32 vcc, s0, v8
	s_and_b64 exec, exec, vcc
	s_cbranch_execz .LBB253_25
; %bb.8:
	s_load_dwordx8 s[4:11], s[2:3], 0x18
	v_ashrrev_i32_e32 v9, 31, v8
	s_cmp_lg_u32 s1, 0
	s_waitcnt lgkmcnt(0)
	v_lshl_add_u64 v[12:13], v[8:9], 2, s[4:5]
	global_load_dwordx2 v[12:13], v[12:13], off
	v_and_b32_e32 v9, 3, v10
	s_waitcnt vmcnt(0)
	v_subrev_u32_e32 v10, s16, v12
	v_subrev_u32_e32 v28, s16, v13
	v_add_u32_e32 v14, v10, v9
	v_cmp_lt_i32_e64 s[0:1], v14, v28
	s_cbranch_scc0 .LBB253_14
; %bb.9:
	v_mov_b64_e32 v[10:11], 0
	s_mov_b64 s[4:5], 0
	v_mov_b64_e32 v[18:19], v[10:11]
	v_mov_b64_e32 v[16:17], v[10:11]
	;; [unrolled: 1-line block ×3, first 2 shown]
	s_and_saveexec_b64 s[12:13], s[0:1]
	s_cbranch_execz .LBB253_13
; %bb.10:
	v_mad_u64_u32 v[20:21], s[14:15], v14, 14, 12
	v_mov_b64_e32 v[10:11], 0
	s_mov_b64 s[14:15], 0
	v_mov_b32_e32 v23, 0
	v_mov_b32_e32 v24, v14
	v_mov_b64_e32 v[18:19], v[10:11]
	v_mov_b64_e32 v[16:17], v[10:11]
	v_mov_b64_e32 v[12:13], v[10:11]
.LBB253_11:                             ; =>This Inner Loop Header: Depth=1
	v_ashrrev_i32_e32 v25, 31, v24
	v_add_u32_e32 v22, -12, v20
	v_lshl_add_u64 v[38:39], v[24:25], 2, s[6:7]
	v_lshl_add_u64 v[40:41], v[22:23], 4, s[8:9]
	global_load_dword v15, v[38:39], off
	global_load_dwordx4 v[30:33], v[40:41], off offset:16
	global_load_dwordx4 v[34:37], v[40:41], off
	v_mov_b32_e32 v21, v23
	v_mov_b32_e32 v27, v23
	v_add_u32_e32 v22, -10, v20
	v_lshl_add_u64 v[54:55], v[20:21], 4, s[8:9]
	v_lshl_add_u64 v[56:57], v[22:23], 4, s[8:9]
	global_load_dwordx4 v[38:41], v[54:55], off offset:16
	global_load_dwordx4 v[42:45], v[54:55], off
	global_load_dwordx4 v[46:49], v[56:57], off offset:16
	global_load_dwordx4 v[50:53], v[56:57], off
	v_add_u32_e32 v24, 4, v24
	v_cmp_ge_i32_e32 vcc, v24, v28
	s_or_b64 s[14:15], vcc, s[14:15]
	s_waitcnt vmcnt(6)
	v_subrev_u32_e32 v15, s16, v15
	v_mul_lo_u32 v26, v15, 7
	v_lshl_add_u64 v[54:55], v[26:27], 4, s[10:11]
	v_add_u32_e32 v22, 1, v26
	global_load_dwordx4 v[54:57], v[54:55], off
	v_lshl_add_u64 v[58:59], v[22:23], 4, s[10:11]
	global_load_dwordx4 v[58:61], v[58:59], off
	v_add_u32_e32 v22, -8, v20
	v_lshl_add_u64 v[70:71], v[22:23], 4, s[8:9]
	v_add_u32_e32 v22, 2, v26
	global_load_dwordx4 v[62:65], v[70:71], off offset:16
	global_load_dwordx4 v[66:69], v[70:71], off
	v_lshl_add_u64 v[70:71], v[22:23], 4, s[10:11]
	v_add_u32_e32 v22, -6, v20
	global_load_dwordx4 v[70:73], v[70:71], off
	v_lshl_add_u64 v[82:83], v[22:23], 4, s[8:9]
	v_add_u32_e32 v22, 3, v26
	global_load_dwordx4 v[74:77], v[82:83], off offset:16
	global_load_dwordx4 v[78:81], v[82:83], off
	v_lshl_add_u64 v[82:83], v[22:23], 4, s[10:11]
	v_add_u32_e32 v22, -4, v20
	global_load_dwordx4 v[82:85], v[82:83], off
	v_lshl_add_u64 v[86:87], v[22:23], 4, s[8:9]
	v_add_u32_e32 v22, 4, v26
	s_waitcnt vmcnt(7)
	v_fmac_f64_e32 v[18:19], v[34:35], v[54:55]
	v_fmac_f64_e32 v[16:17], v[30:31], v[54:55]
	;; [unrolled: 1-line block ×4, first 2 shown]
	v_fma_f64 v[88:89], -v[36:37], v[56:57], v[18:19]
	v_fma_f64 v[54:55], -v[32:33], v[56:57], v[16:17]
	v_fmac_f64_e32 v[12:13], v[30:31], v[56:57]
	v_lshl_add_u64 v[30:31], v[22:23], 4, s[10:11]
	v_add_u32_e32 v22, -2, v20
	v_fmac_f64_e32 v[10:11], v[34:35], v[56:57]
	global_load_dwordx4 v[34:37], v[86:87], off offset:16
	global_load_dwordx4 v[16:19], v[86:87], off
	v_lshl_add_u64 v[56:57], v[22:23], 4, s[8:9]
	global_load_dwordx4 v[30:33], v[30:31], off
	v_add_u32_e32 v22, 5, v26
	s_waitcnt vmcnt(9)
	v_fmac_f64_e32 v[88:89], v[50:51], v[58:59]
	v_fmac_f64_e32 v[54:55], v[46:47], v[58:59]
	;; [unrolled: 1-line block ×3, first 2 shown]
	v_fma_f64 v[86:87], -v[52:53], v[60:61], v[88:89]
	v_fmac_f64_e32 v[12:13], v[48:49], v[58:59]
	v_fma_f64 v[88:89], -v[48:49], v[60:61], v[54:55]
	v_lshl_add_u64 v[54:55], v[22:23], 4, s[10:11]
	v_fmac_f64_e32 v[10:11], v[50:51], v[60:61]
	global_load_dwordx4 v[50:53], v[56:57], off offset:16
	v_fmac_f64_e32 v[12:13], v[46:47], v[60:61]
	global_load_dwordx4 v[46:49], v[56:57], off
	v_add_u32_e32 v22, 6, v26
	global_load_dwordx4 v[54:57], v[54:55], off
	v_lshl_add_u64 v[26:27], v[22:23], 4, s[10:11]
	global_load_dwordx4 v[58:61], v[26:27], off
	s_waitcnt vmcnt(10)
	v_fmac_f64_e32 v[86:87], v[66:67], v[70:71]
	v_fmac_f64_e32 v[10:11], v[68:69], v[70:71]
	;; [unrolled: 1-line block ×4, first 2 shown]
	v_fma_f64 v[26:27], -v[68:69], v[72:73], v[86:87]
	v_fmac_f64_e32 v[10:11], v[66:67], v[72:73]
	v_fma_f64 v[64:65], -v[64:65], v[72:73], v[88:89]
	v_fmac_f64_e32 v[12:13], v[62:63], v[72:73]
	s_waitcnt vmcnt(7)
	v_fmac_f64_e32 v[26:27], v[78:79], v[82:83]
	v_fmac_f64_e32 v[10:11], v[80:81], v[82:83]
	;; [unrolled: 1-line block ×4, first 2 shown]
	v_fma_f64 v[26:27], -v[80:81], v[84:85], v[26:27]
	v_fmac_f64_e32 v[10:11], v[78:79], v[84:85]
	v_fma_f64 v[62:63], -v[76:77], v[84:85], v[64:65]
	v_fmac_f64_e32 v[12:13], v[74:75], v[84:85]
	v_add_u32_e32 v20, 56, v20
	s_waitcnt vmcnt(4)
	v_fmac_f64_e32 v[26:27], v[16:17], v[30:31]
	v_fmac_f64_e32 v[10:11], v[18:19], v[30:31]
	v_fmac_f64_e32 v[62:63], v[34:35], v[30:31]
	v_fmac_f64_e32 v[12:13], v[36:37], v[30:31]
	v_fma_f64 v[18:19], -v[18:19], v[32:33], v[26:27]
	v_fmac_f64_e32 v[10:11], v[16:17], v[32:33]
	v_fma_f64 v[16:17], -v[36:37], v[32:33], v[62:63]
	v_fmac_f64_e32 v[12:13], v[34:35], v[32:33]
	s_waitcnt vmcnt(1)
	v_fmac_f64_e32 v[18:19], v[46:47], v[54:55]
	v_fmac_f64_e32 v[10:11], v[48:49], v[54:55]
	v_fmac_f64_e32 v[16:17], v[50:51], v[54:55]
	v_fmac_f64_e32 v[12:13], v[52:53], v[54:55]
	v_fma_f64 v[18:19], -v[48:49], v[56:57], v[18:19]
	v_fmac_f64_e32 v[10:11], v[46:47], v[56:57]
	v_fma_f64 v[16:17], -v[52:53], v[56:57], v[16:17]
	v_fmac_f64_e32 v[12:13], v[50:51], v[56:57]
	;; [unrolled: 9-line block ×3, first 2 shown]
	s_andn2_b64 exec, exec, s[14:15]
	s_cbranch_execnz .LBB253_11
; %bb.12:
	s_or_b64 exec, exec, s[14:15]
.LBB253_13:
	s_or_b64 exec, exec, s[12:13]
	s_andn2_b64 vcc, exec, s[4:5]
	s_cbranch_vccz .LBB253_15
	s_branch .LBB253_20
.LBB253_14:
                                        ; implicit-def: $vgpr10_vgpr11
                                        ; implicit-def: $vgpr18_vgpr19
                                        ; implicit-def: $vgpr16_vgpr17
                                        ; implicit-def: $vgpr12_vgpr13
.LBB253_15:
	v_mov_b64_e32 v[10:11], 0
	v_mov_b64_e32 v[18:19], v[10:11]
	;; [unrolled: 1-line block ×4, first 2 shown]
	s_and_saveexec_b64 s[4:5], s[0:1]
	s_cbranch_execz .LBB253_19
; %bb.16:
	v_mad_u64_u32 v[20:21], s[0:1], v14, 14, 13
	v_mov_b64_e32 v[10:11], 0
	s_mov_b64 s[0:1], 0
	v_mov_b32_e32 v23, 0
	v_mov_b64_e32 v[18:19], v[10:11]
	v_mov_b64_e32 v[16:17], v[10:11]
	;; [unrolled: 1-line block ×3, first 2 shown]
.LBB253_17:                             ; =>This Inner Loop Header: Depth=1
	v_ashrrev_i32_e32 v15, 31, v14
	v_add_u32_e32 v22, -13, v20
	v_add_u32_e32 v26, -6, v20
	v_mov_b32_e32 v27, v23
	v_mov_b32_e32 v21, v23
	v_lshl_add_u64 v[46:47], v[14:15], 2, s[6:7]
	v_lshl_add_u64 v[48:49], v[22:23], 4, s[8:9]
	;; [unrolled: 1-line block ×4, first 2 shown]
	global_load_dword v15, v[46:47], off
	global_load_dwordx4 v[30:33], v[48:49], off offset:16
	global_load_dwordx4 v[34:37], v[48:49], off
	global_load_dwordx4 v[38:41], v[26:27], off
	global_load_dwordx4 v[42:45], v[50:51], off
	v_mov_b32_e32 v25, v23
	v_add_u32_e32 v14, 4, v14
	v_cmp_ge_i32_e32 vcc, v14, v28
	s_or_b64 s[0:1], vcc, s[0:1]
	s_waitcnt vmcnt(4)
	v_subrev_u32_e32 v15, s16, v15
	v_mul_lo_u32 v24, v15, 7
	v_lshl_add_u64 v[26:27], v[24:25], 4, s[10:11]
	global_load_dwordx4 v[46:49], v[26:27], off
	v_add_u32_e32 v22, 1, v24
	v_lshl_add_u64 v[26:27], v[22:23], 4, s[10:11]
	v_add_u32_e32 v22, -5, v20
	global_load_dwordx4 v[50:53], v[26:27], off
	v_lshl_add_u64 v[26:27], v[22:23], 4, s[8:9]
	v_add_u32_e32 v22, -11, v20
	global_load_dwordx4 v[54:57], v[26:27], off
	v_lshl_add_u64 v[26:27], v[22:23], 4, s[8:9]
	v_add_u32_e32 v22, 2, v24
	global_load_dwordx4 v[58:61], v[26:27], off
	v_lshl_add_u64 v[26:27], v[22:23], 4, s[10:11]
	global_load_dwordx4 v[62:65], v[26:27], off
	v_add_u32_e32 v22, -4, v20
	v_lshl_add_u64 v[26:27], v[22:23], 4, s[8:9]
	v_add_u32_e32 v22, -10, v20
	global_load_dwordx4 v[66:69], v[26:27], off
	v_lshl_add_u64 v[26:27], v[22:23], 4, s[8:9]
	v_add_u32_e32 v22, 3, v24
	global_load_dwordx4 v[70:73], v[26:27], off
	v_lshl_add_u64 v[26:27], v[22:23], 4, s[10:11]
	v_add_u32_e32 v22, -3, v20
	global_load_dwordx4 v[74:77], v[26:27], off
	v_lshl_add_u64 v[26:27], v[22:23], 4, s[8:9]
	v_add_u32_e32 v22, -9, v20
	s_waitcnt vmcnt(7)
	v_fmac_f64_e32 v[18:19], v[34:35], v[46:47]
	v_fmac_f64_e32 v[10:11], v[36:37], v[46:47]
	v_fma_f64 v[78:79], -v[36:37], v[48:49], v[18:19]
	v_lshl_add_u64 v[18:19], v[22:23], 4, s[8:9]
	v_add_u32_e32 v22, 4, v24
	v_fmac_f64_e32 v[12:13], v[40:41], v[46:47]
	v_fmac_f64_e32 v[10:11], v[34:35], v[48:49]
	;; [unrolled: 1-line block ×4, first 2 shown]
	v_lshl_add_u64 v[38:39], v[22:23], 4, s[10:11]
	v_add_u32_e32 v22, -2, v20
	v_lshl_add_u64 v[46:47], v[22:23], 4, s[8:9]
	s_waitcnt vmcnt(6)
	v_fmac_f64_e32 v[78:79], v[30:31], v[50:51]
	v_fmac_f64_e32 v[10:11], v[32:33], v[50:51]
	global_load_dwordx4 v[34:37], v[26:27], off
	v_add_u32_e32 v22, -8, v20
	v_fma_f64 v[78:79], -v[32:33], v[52:53], v[78:79]
	v_fmac_f64_e32 v[10:11], v[30:31], v[52:53]
	global_load_dwordx4 v[30:33], v[46:47], off
	v_fma_f64 v[26:27], -v[40:41], v[48:49], v[16:17]
	v_lshl_add_u64 v[48:49], v[22:23], 4, s[8:9]
	v_add_u32_e32 v22, 5, v24
	s_waitcnt vmcnt(7)
	v_fmac_f64_e32 v[26:27], v[54:55], v[50:51]
	global_load_dwordx4 v[16:19], v[18:19], off
	v_fma_f64 v[80:81], -v[56:57], v[52:53], v[26:27]
	global_load_dwordx4 v[38:41], v[38:39], off
	v_lshl_add_u64 v[26:27], v[22:23], 4, s[10:11]
	v_add_u32_e32 v22, -1, v20
	v_lshl_add_u64 v[82:83], v[22:23], 4, s[8:9]
	v_add_u32_e32 v22, -7, v20
	v_fmac_f64_e32 v[12:13], v[56:57], v[50:51]
	global_load_dwordx4 v[46:49], v[48:49], off
	v_lshl_add_u64 v[84:85], v[22:23], 4, s[8:9]
	v_add_u32_e32 v22, 6, v24
	global_load_dwordx4 v[24:27], v[26:27], off
	s_waitcnt vmcnt(9)
	v_fmac_f64_e32 v[10:11], v[60:61], v[62:63]
	v_fmac_f64_e32 v[12:13], v[54:55], v[52:53]
	;; [unrolled: 1-line block ×4, first 2 shown]
	global_load_dwordx4 v[50:53], v[82:83], off
	global_load_dwordx4 v[54:57], v[84:85], off
	v_lshl_add_u64 v[58:59], v[22:23], 4, s[10:11]
	v_fma_f64 v[78:79], -v[60:61], v[64:65], v[78:79]
	global_load_dwordx4 v[58:61], v[58:59], off
	s_waitcnt vmcnt(11)
	v_fmac_f64_e32 v[80:81], v[66:67], v[62:63]
	v_fmac_f64_e32 v[12:13], v[68:69], v[62:63]
	v_fma_f64 v[62:63], -v[68:69], v[64:65], v[80:81]
	v_fmac_f64_e32 v[12:13], v[66:67], v[64:65]
	s_waitcnt vmcnt(9)
	v_fmac_f64_e32 v[78:79], v[70:71], v[74:75]
	v_fmac_f64_e32 v[10:11], v[72:73], v[74:75]
	v_fma_f64 v[64:65], -v[72:73], v[76:77], v[78:79]
	v_fmac_f64_e32 v[10:11], v[70:71], v[76:77]
	v_add_u32_e32 v20, 56, v20
	s_waitcnt vmcnt(8)
	v_fmac_f64_e32 v[62:63], v[34:35], v[74:75]
	v_fmac_f64_e32 v[12:13], v[36:37], v[74:75]
	v_fma_f64 v[36:37], -v[36:37], v[76:77], v[62:63]
	v_fmac_f64_e32 v[12:13], v[34:35], v[76:77]
	s_waitcnt vmcnt(5)
	v_fmac_f64_e32 v[64:65], v[16:17], v[38:39]
	v_fmac_f64_e32 v[10:11], v[18:19], v[38:39]
	v_fmac_f64_e32 v[36:37], v[30:31], v[38:39]
	v_fmac_f64_e32 v[12:13], v[32:33], v[38:39]
	v_fma_f64 v[18:19], -v[18:19], v[40:41], v[64:65]
	v_fmac_f64_e32 v[10:11], v[16:17], v[40:41]
	v_fma_f64 v[16:17], -v[32:33], v[40:41], v[36:37]
	v_fmac_f64_e32 v[12:13], v[30:31], v[40:41]
	s_waitcnt vmcnt(3)
	v_fmac_f64_e32 v[18:19], v[46:47], v[24:25]
	v_fmac_f64_e32 v[10:11], v[48:49], v[24:25]
	v_fma_f64 v[18:19], -v[48:49], v[26:27], v[18:19]
	v_fmac_f64_e32 v[10:11], v[46:47], v[26:27]
	s_waitcnt vmcnt(2)
	v_fmac_f64_e32 v[16:17], v[50:51], v[24:25]
	;; [unrolled: 5-line block ×3, first 2 shown]
	v_fmac_f64_e32 v[10:11], v[56:57], v[58:59]
	v_fmac_f64_e32 v[16:17], v[42:43], v[58:59]
	;; [unrolled: 1-line block ×3, first 2 shown]
	v_fma_f64 v[18:19], -v[56:57], v[60:61], v[18:19]
	v_fmac_f64_e32 v[10:11], v[54:55], v[60:61]
	v_fma_f64 v[16:17], -v[44:45], v[60:61], v[16:17]
	v_fmac_f64_e32 v[12:13], v[42:43], v[60:61]
	s_andn2_b64 exec, exec, s[0:1]
	s_cbranch_execnz .LBB253_17
; %bb.18:
	s_or_b64 exec, exec, s[0:1]
.LBB253_19:
	s_or_b64 exec, exec, s[4:5]
.LBB253_20:
	v_mov_b32_dpp v22, v16 row_shr:1 row_mask:0xf bank_mask:0xf
	v_mov_b32_dpp v23, v17 row_shr:1 row_mask:0xf bank_mask:0xf
	;; [unrolled: 1-line block ×6, first 2 shown]
	v_add_f64 v[22:23], v[16:17], v[22:23]
	v_mov_b32_dpp v16, v12 row_shr:1 row_mask:0xf bank_mask:0xf
	v_mov_b32_dpp v17, v13 row_shr:1 row_mask:0xf bank_mask:0xf
	v_add_f64 v[14:15], v[18:19], v[14:15]
	v_add_f64 v[10:11], v[10:11], v[20:21]
	;; [unrolled: 1-line block ×3, first 2 shown]
	v_mov_b32_dpp v18, v14 row_shr:2 row_mask:0xf bank_mask:0xf
	v_mov_b32_dpp v19, v15 row_shr:2 row_mask:0xf bank_mask:0xf
	;; [unrolled: 1-line block ×8, first 2 shown]
	v_cmp_eq_u32_e32 vcc, 3, v9
	s_and_b64 exec, exec, vcc
	s_cbranch_execz .LBB253_25
; %bb.21:
	s_load_dwordx2 s[2:3], s[2:3], 0x48
	v_cmp_eq_f64_e32 vcc, 0, v[4:5]
	v_cmp_eq_f64_e64 s[0:1], 0, v[6:7]
	v_add_f64 v[14:15], v[14:15], v[18:19]
	v_add_f64 v[16:17], v[10:11], v[20:21]
	;; [unrolled: 1-line block ×4, first 2 shown]
	s_and_b64 s[0:1], vcc, s[0:1]
	s_and_saveexec_b64 s[4:5], s[0:1]
	s_xor_b64 s[0:1], exec, s[4:5]
	s_cbranch_execz .LBB253_23
; %bb.22:
	v_lshlrev_b32_e32 v8, 1, v8
	v_mul_f64 v[4:5], v[16:17], -v[2:3]
	v_mul_f64 v[6:7], v[0:1], v[16:17]
	v_ashrrev_i32_e32 v9, 31, v8
	v_fmac_f64_e32 v[4:5], v[0:1], v[14:15]
	v_fmac_f64_e32 v[6:7], v[2:3], v[14:15]
	s_waitcnt lgkmcnt(0)
	v_lshl_add_u64 v[8:9], v[8:9], 4, s[2:3]
	global_store_dwordx4 v[8:9], v[4:7], off
                                        ; implicit-def: $vgpr14_vgpr15
                                        ; implicit-def: $vgpr16_vgpr17
	s_nop 1
	v_mul_f64 v[4:5], v[12:13], -v[2:3]
	v_mul_f64 v[6:7], v[0:1], v[12:13]
	v_fmac_f64_e32 v[4:5], v[0:1], v[10:11]
	v_fmac_f64_e32 v[6:7], v[2:3], v[10:11]
	global_store_dwordx4 v[8:9], v[4:7], off offset:16
                                        ; implicit-def: $vgpr0_vgpr1
                                        ; implicit-def: $vgpr2_vgpr3
                                        ; implicit-def: $vgpr4_vgpr5
                                        ; implicit-def: $vgpr6_vgpr7
                                        ; implicit-def: $vgpr8
                                        ; implicit-def: $vgpr10_vgpr11
                                        ; implicit-def: $vgpr12_vgpr13
.LBB253_23:
	s_andn2_saveexec_b64 s[0:1], s[0:1]
	s_cbranch_execz .LBB253_25
; %bb.24:
	v_lshlrev_b32_e32 v8, 1, v8
	v_ashrrev_i32_e32 v9, 31, v8
	s_waitcnt lgkmcnt(0)
	v_lshl_add_u64 v[26:27], v[8:9], 4, s[2:3]
	global_load_dwordx4 v[18:21], v[26:27], off
	global_load_dwordx4 v[22:25], v[26:27], off offset:16
	v_mul_f64 v[28:29], v[16:17], -v[2:3]
	v_mul_f64 v[16:17], v[0:1], v[16:17]
	v_mul_f64 v[30:31], v[12:13], -v[2:3]
	v_mul_f64 v[8:9], v[0:1], v[12:13]
	v_fmac_f64_e32 v[28:29], v[0:1], v[14:15]
	v_fmac_f64_e32 v[16:17], v[2:3], v[14:15]
	;; [unrolled: 1-line block ×4, first 2 shown]
	s_waitcnt vmcnt(1)
	v_fmac_f64_e32 v[28:29], v[4:5], v[18:19]
	v_fmac_f64_e32 v[16:17], v[6:7], v[18:19]
	s_waitcnt vmcnt(0)
	v_fmac_f64_e32 v[30:31], v[4:5], v[22:23]
	v_fmac_f64_e32 v[8:9], v[6:7], v[22:23]
	v_fma_f64 v[14:15], -v[6:7], v[20:21], v[28:29]
	v_fmac_f64_e32 v[16:17], v[4:5], v[20:21]
	v_fma_f64 v[6:7], -v[6:7], v[24:25], v[30:31]
	v_fmac_f64_e32 v[8:9], v[4:5], v[24:25]
	global_store_dwordx4 v[26:27], v[14:17], off
	global_store_dwordx4 v[26:27], v[6:9], off offset:16
.LBB253_25:
	s_endpgm
	.section	.rodata,"a",@progbits
	.p2align	6, 0x0
	.amdhsa_kernel _ZN9rocsparseL19gebsrmvn_2xn_kernelILj128ELj7ELj4E21rocsparse_complex_numIdEEEvi20rocsparse_direction_NS_24const_host_device_scalarIT2_EEPKiS8_PKS5_SA_S6_PS5_21rocsparse_index_base_b
		.amdhsa_group_segment_fixed_size 2048
		.amdhsa_private_segment_fixed_size 0
		.amdhsa_kernarg_size 88
		.amdhsa_user_sgpr_count 4
		.amdhsa_user_sgpr_dispatch_ptr 1
		.amdhsa_user_sgpr_queue_ptr 0
		.amdhsa_user_sgpr_kernarg_segment_ptr 1
		.amdhsa_user_sgpr_dispatch_id 0
		.amdhsa_user_sgpr_kernarg_preload_length 0
		.amdhsa_user_sgpr_kernarg_preload_offset 0
		.amdhsa_user_sgpr_private_segment_size 0
		.amdhsa_uses_dynamic_stack 0
		.amdhsa_enable_private_segment 0
		.amdhsa_system_sgpr_workgroup_id_x 1
		.amdhsa_system_sgpr_workgroup_id_y 0
		.amdhsa_system_sgpr_workgroup_id_z 0
		.amdhsa_system_sgpr_workgroup_info 0
		.amdhsa_system_vgpr_workitem_id 2
		.amdhsa_next_free_vgpr 90
		.amdhsa_next_free_sgpr 20
		.amdhsa_accum_offset 92
		.amdhsa_reserve_vcc 1
		.amdhsa_float_round_mode_32 0
		.amdhsa_float_round_mode_16_64 0
		.amdhsa_float_denorm_mode_32 3
		.amdhsa_float_denorm_mode_16_64 3
		.amdhsa_dx10_clamp 1
		.amdhsa_ieee_mode 1
		.amdhsa_fp16_overflow 0
		.amdhsa_tg_split 0
		.amdhsa_exception_fp_ieee_invalid_op 0
		.amdhsa_exception_fp_denorm_src 0
		.amdhsa_exception_fp_ieee_div_zero 0
		.amdhsa_exception_fp_ieee_overflow 0
		.amdhsa_exception_fp_ieee_underflow 0
		.amdhsa_exception_fp_ieee_inexact 0
		.amdhsa_exception_int_div_zero 0
	.end_amdhsa_kernel
	.section	.text._ZN9rocsparseL19gebsrmvn_2xn_kernelILj128ELj7ELj4E21rocsparse_complex_numIdEEEvi20rocsparse_direction_NS_24const_host_device_scalarIT2_EEPKiS8_PKS5_SA_S6_PS5_21rocsparse_index_base_b,"axG",@progbits,_ZN9rocsparseL19gebsrmvn_2xn_kernelILj128ELj7ELj4E21rocsparse_complex_numIdEEEvi20rocsparse_direction_NS_24const_host_device_scalarIT2_EEPKiS8_PKS5_SA_S6_PS5_21rocsparse_index_base_b,comdat
.Lfunc_end253:
	.size	_ZN9rocsparseL19gebsrmvn_2xn_kernelILj128ELj7ELj4E21rocsparse_complex_numIdEEEvi20rocsparse_direction_NS_24const_host_device_scalarIT2_EEPKiS8_PKS5_SA_S6_PS5_21rocsparse_index_base_b, .Lfunc_end253-_ZN9rocsparseL19gebsrmvn_2xn_kernelILj128ELj7ELj4E21rocsparse_complex_numIdEEEvi20rocsparse_direction_NS_24const_host_device_scalarIT2_EEPKiS8_PKS5_SA_S6_PS5_21rocsparse_index_base_b
                                        ; -- End function
	.section	.AMDGPU.csdata,"",@progbits
; Kernel info:
; codeLenInByte = 2536
; NumSgprs: 26
; NumVgprs: 90
; NumAgprs: 0
; TotalNumVgprs: 90
; ScratchSize: 0
; MemoryBound: 0
; FloatMode: 240
; IeeeMode: 1
; LDSByteSize: 2048 bytes/workgroup (compile time only)
; SGPRBlocks: 3
; VGPRBlocks: 11
; NumSGPRsForWavesPerEU: 26
; NumVGPRsForWavesPerEU: 90
; AccumOffset: 92
; Occupancy: 5
; WaveLimiterHint : 1
; COMPUTE_PGM_RSRC2:SCRATCH_EN: 0
; COMPUTE_PGM_RSRC2:USER_SGPR: 4
; COMPUTE_PGM_RSRC2:TRAP_HANDLER: 0
; COMPUTE_PGM_RSRC2:TGID_X_EN: 1
; COMPUTE_PGM_RSRC2:TGID_Y_EN: 0
; COMPUTE_PGM_RSRC2:TGID_Z_EN: 0
; COMPUTE_PGM_RSRC2:TIDIG_COMP_CNT: 2
; COMPUTE_PGM_RSRC3_GFX90A:ACCUM_OFFSET: 22
; COMPUTE_PGM_RSRC3_GFX90A:TG_SPLIT: 0
	.section	.text._ZN9rocsparseL19gebsrmvn_2xn_kernelILj128ELj7ELj8E21rocsparse_complex_numIdEEEvi20rocsparse_direction_NS_24const_host_device_scalarIT2_EEPKiS8_PKS5_SA_S6_PS5_21rocsparse_index_base_b,"axG",@progbits,_ZN9rocsparseL19gebsrmvn_2xn_kernelILj128ELj7ELj8E21rocsparse_complex_numIdEEEvi20rocsparse_direction_NS_24const_host_device_scalarIT2_EEPKiS8_PKS5_SA_S6_PS5_21rocsparse_index_base_b,comdat
	.globl	_ZN9rocsparseL19gebsrmvn_2xn_kernelILj128ELj7ELj8E21rocsparse_complex_numIdEEEvi20rocsparse_direction_NS_24const_host_device_scalarIT2_EEPKiS8_PKS5_SA_S6_PS5_21rocsparse_index_base_b ; -- Begin function _ZN9rocsparseL19gebsrmvn_2xn_kernelILj128ELj7ELj8E21rocsparse_complex_numIdEEEvi20rocsparse_direction_NS_24const_host_device_scalarIT2_EEPKiS8_PKS5_SA_S6_PS5_21rocsparse_index_base_b
	.p2align	8
	.type	_ZN9rocsparseL19gebsrmvn_2xn_kernelILj128ELj7ELj8E21rocsparse_complex_numIdEEEvi20rocsparse_direction_NS_24const_host_device_scalarIT2_EEPKiS8_PKS5_SA_S6_PS5_21rocsparse_index_base_b,@function
_ZN9rocsparseL19gebsrmvn_2xn_kernelILj128ELj7ELj8E21rocsparse_complex_numIdEEEvi20rocsparse_direction_NS_24const_host_device_scalarIT2_EEPKiS8_PKS5_SA_S6_PS5_21rocsparse_index_base_b: ; @_ZN9rocsparseL19gebsrmvn_2xn_kernelILj128ELj7ELj8E21rocsparse_complex_numIdEEEvi20rocsparse_direction_NS_24const_host_device_scalarIT2_EEPKiS8_PKS5_SA_S6_PS5_21rocsparse_index_base_b
; %bb.0:
	s_load_dwordx2 s[16:17], s[2:3], 0x50
	s_load_dwordx4 s[12:15], s[2:3], 0x8
	s_load_dwordx4 s[8:11], s[2:3], 0x38
	s_load_dwordx2 s[18:19], s[0:1], 0x4
	s_mov_b64 s[6:7], src_shared_base
	s_waitcnt lgkmcnt(0)
	s_bitcmp1_b32 s17, 0
	s_cselect_b64 s[0:1], -1, 0
	s_and_b64 vcc, s[0:1], exec
	s_cselect_b32 s5, s7, s13
	s_lshr_b32 s6, s18, 16
	v_bfe_u32 v1, v0, 10, 10
	v_and_b32_e32 v10, 0x3ff, v0
	s_mul_i32 s6, s6, s19
	v_mul_u32_u24_e32 v1, s19, v1
	v_mad_u32_u24 v1, s6, v10, v1
	v_bfe_u32 v0, v0, 20, 10
	v_add_lshl_u32 v4, v1, v0, 3
	v_mov_b32_e32 v5, s12
	v_add_u32_e32 v6, 0x400, v4
	v_mov_b64_e32 v[0:1], s[12:13]
	v_mov_b64_e32 v[2:3], s[8:9]
	ds_write2st64_b64 v4, v[2:3], v[0:1] offset1:2
	v_cndmask_b32_e64 v0, v5, v6, s[0:1]
	v_mov_b32_e32 v1, s5
	flat_load_dwordx2 v[0:1], v[0:1]
	s_xor_b64 s[18:19], s[0:1], -1
	v_mov_b64_e32 v[2:3], s[14:15]
	s_cbranch_vccnz .LBB254_2
; %bb.1:
	v_mov_b64_e32 v[2:3], s[12:13]
	flat_load_dwordx2 v[2:3], v[2:3] offset:8
.LBB254_2:
	s_and_b64 s[12:13], s[0:1], exec
	s_cselect_b32 s5, s7, s9
	v_mov_b32_e32 v5, s8
	v_cndmask_b32_e64 v4, v5, v4, s[0:1]
	v_mov_b32_e32 v5, s5
	flat_load_dwordx2 v[4:5], v[4:5]
	s_andn2_b64 vcc, exec, s[18:19]
	v_mov_b64_e32 v[6:7], s[10:11]
	s_cbranch_vccnz .LBB254_4
; %bb.3:
	v_mov_b64_e32 v[6:7], s[8:9]
	flat_load_dwordx2 v[6:7], v[6:7] offset:8
.LBB254_4:
	s_waitcnt vmcnt(0) lgkmcnt(0)
	v_cmp_eq_f64_e32 vcc, 0, v[0:1]
	v_cmp_eq_f64_e64 s[0:1], 0, v[2:3]
	s_and_b64 s[8:9], vcc, s[0:1]
	s_mov_b64 s[0:1], -1
	s_and_saveexec_b64 s[6:7], s[8:9]
; %bb.5:
	v_cmp_neq_f64_e32 vcc, 1.0, v[4:5]
	v_cmp_neq_f64_e64 s[0:1], 0, v[6:7]
	s_or_b64 s[0:1], vcc, s[0:1]
	s_orn2_b64 s[0:1], s[0:1], exec
; %bb.6:
	s_or_b64 exec, exec, s[6:7]
	s_and_saveexec_b64 s[6:7], s[0:1]
	s_cbranch_execz .LBB254_25
; %bb.7:
	s_load_dwordx2 s[0:1], s[2:3], 0x0
	v_lshrrev_b32_e32 v8, 3, v10
	v_lshl_or_b32 v8, s4, 4, v8
	s_waitcnt lgkmcnt(0)
	v_cmp_gt_i32_e32 vcc, s0, v8
	s_and_b64 exec, exec, vcc
	s_cbranch_execz .LBB254_25
; %bb.8:
	s_load_dwordx8 s[4:11], s[2:3], 0x18
	v_ashrrev_i32_e32 v9, 31, v8
	s_cmp_lg_u32 s1, 0
	s_waitcnt lgkmcnt(0)
	v_lshl_add_u64 v[12:13], v[8:9], 2, s[4:5]
	global_load_dwordx2 v[12:13], v[12:13], off
	v_and_b32_e32 v9, 7, v10
	s_waitcnt vmcnt(0)
	v_subrev_u32_e32 v10, s16, v12
	v_subrev_u32_e32 v28, s16, v13
	v_add_u32_e32 v14, v10, v9
	v_cmp_lt_i32_e64 s[0:1], v14, v28
	s_cbranch_scc0 .LBB254_14
; %bb.9:
	v_mov_b64_e32 v[10:11], 0
	s_mov_b64 s[4:5], 0
	v_mov_b64_e32 v[18:19], v[10:11]
	v_mov_b64_e32 v[16:17], v[10:11]
	;; [unrolled: 1-line block ×3, first 2 shown]
	s_and_saveexec_b64 s[12:13], s[0:1]
	s_cbranch_execz .LBB254_13
; %bb.10:
	v_mad_u64_u32 v[20:21], s[14:15], v14, 14, 12
	v_mov_b64_e32 v[10:11], 0
	s_mov_b64 s[14:15], 0
	v_mov_b32_e32 v23, 0
	v_mov_b32_e32 v24, v14
	v_mov_b64_e32 v[18:19], v[10:11]
	v_mov_b64_e32 v[16:17], v[10:11]
	;; [unrolled: 1-line block ×3, first 2 shown]
.LBB254_11:                             ; =>This Inner Loop Header: Depth=1
	v_ashrrev_i32_e32 v25, 31, v24
	v_add_u32_e32 v22, -12, v20
	v_lshl_add_u64 v[38:39], v[24:25], 2, s[6:7]
	v_lshl_add_u64 v[40:41], v[22:23], 4, s[8:9]
	global_load_dword v15, v[38:39], off
	global_load_dwordx4 v[30:33], v[40:41], off offset:16
	global_load_dwordx4 v[34:37], v[40:41], off
	v_mov_b32_e32 v21, v23
	v_mov_b32_e32 v27, v23
	v_add_u32_e32 v22, -10, v20
	v_lshl_add_u64 v[54:55], v[20:21], 4, s[8:9]
	v_lshl_add_u64 v[56:57], v[22:23], 4, s[8:9]
	global_load_dwordx4 v[38:41], v[54:55], off offset:16
	global_load_dwordx4 v[42:45], v[54:55], off
	global_load_dwordx4 v[46:49], v[56:57], off offset:16
	global_load_dwordx4 v[50:53], v[56:57], off
	v_add_u32_e32 v24, 8, v24
	v_cmp_ge_i32_e32 vcc, v24, v28
	s_or_b64 s[14:15], vcc, s[14:15]
	s_waitcnt vmcnt(6)
	v_subrev_u32_e32 v15, s16, v15
	v_mul_lo_u32 v26, v15, 7
	v_lshl_add_u64 v[54:55], v[26:27], 4, s[10:11]
	v_add_u32_e32 v22, 1, v26
	global_load_dwordx4 v[54:57], v[54:55], off
	v_lshl_add_u64 v[58:59], v[22:23], 4, s[10:11]
	global_load_dwordx4 v[58:61], v[58:59], off
	v_add_u32_e32 v22, -8, v20
	v_lshl_add_u64 v[70:71], v[22:23], 4, s[8:9]
	v_add_u32_e32 v22, 2, v26
	global_load_dwordx4 v[62:65], v[70:71], off offset:16
	global_load_dwordx4 v[66:69], v[70:71], off
	v_lshl_add_u64 v[70:71], v[22:23], 4, s[10:11]
	v_add_u32_e32 v22, -6, v20
	global_load_dwordx4 v[70:73], v[70:71], off
	v_lshl_add_u64 v[82:83], v[22:23], 4, s[8:9]
	v_add_u32_e32 v22, 3, v26
	global_load_dwordx4 v[74:77], v[82:83], off offset:16
	global_load_dwordx4 v[78:81], v[82:83], off
	v_lshl_add_u64 v[82:83], v[22:23], 4, s[10:11]
	v_add_u32_e32 v22, -4, v20
	global_load_dwordx4 v[82:85], v[82:83], off
	v_lshl_add_u64 v[86:87], v[22:23], 4, s[8:9]
	v_add_u32_e32 v22, 4, v26
	s_waitcnt vmcnt(7)
	v_fmac_f64_e32 v[18:19], v[34:35], v[54:55]
	v_fmac_f64_e32 v[16:17], v[30:31], v[54:55]
	;; [unrolled: 1-line block ×4, first 2 shown]
	v_fma_f64 v[88:89], -v[36:37], v[56:57], v[18:19]
	v_fma_f64 v[54:55], -v[32:33], v[56:57], v[16:17]
	v_fmac_f64_e32 v[12:13], v[30:31], v[56:57]
	v_lshl_add_u64 v[30:31], v[22:23], 4, s[10:11]
	v_add_u32_e32 v22, -2, v20
	v_fmac_f64_e32 v[10:11], v[34:35], v[56:57]
	global_load_dwordx4 v[34:37], v[86:87], off offset:16
	global_load_dwordx4 v[16:19], v[86:87], off
	v_lshl_add_u64 v[56:57], v[22:23], 4, s[8:9]
	global_load_dwordx4 v[30:33], v[30:31], off
	v_add_u32_e32 v22, 5, v26
	s_waitcnt vmcnt(9)
	v_fmac_f64_e32 v[88:89], v[50:51], v[58:59]
	v_fmac_f64_e32 v[54:55], v[46:47], v[58:59]
	;; [unrolled: 1-line block ×3, first 2 shown]
	v_fma_f64 v[86:87], -v[52:53], v[60:61], v[88:89]
	v_fmac_f64_e32 v[12:13], v[48:49], v[58:59]
	v_fma_f64 v[88:89], -v[48:49], v[60:61], v[54:55]
	v_lshl_add_u64 v[54:55], v[22:23], 4, s[10:11]
	v_fmac_f64_e32 v[10:11], v[50:51], v[60:61]
	global_load_dwordx4 v[50:53], v[56:57], off offset:16
	v_fmac_f64_e32 v[12:13], v[46:47], v[60:61]
	global_load_dwordx4 v[46:49], v[56:57], off
	v_add_u32_e32 v22, 6, v26
	global_load_dwordx4 v[54:57], v[54:55], off
	v_lshl_add_u64 v[26:27], v[22:23], 4, s[10:11]
	global_load_dwordx4 v[58:61], v[26:27], off
	s_waitcnt vmcnt(10)
	v_fmac_f64_e32 v[86:87], v[66:67], v[70:71]
	v_fmac_f64_e32 v[10:11], v[68:69], v[70:71]
	;; [unrolled: 1-line block ×4, first 2 shown]
	v_fma_f64 v[26:27], -v[68:69], v[72:73], v[86:87]
	v_fmac_f64_e32 v[10:11], v[66:67], v[72:73]
	v_fma_f64 v[64:65], -v[64:65], v[72:73], v[88:89]
	v_fmac_f64_e32 v[12:13], v[62:63], v[72:73]
	s_waitcnt vmcnt(7)
	v_fmac_f64_e32 v[26:27], v[78:79], v[82:83]
	v_fmac_f64_e32 v[10:11], v[80:81], v[82:83]
	;; [unrolled: 1-line block ×4, first 2 shown]
	v_fma_f64 v[26:27], -v[80:81], v[84:85], v[26:27]
	v_fmac_f64_e32 v[10:11], v[78:79], v[84:85]
	v_fma_f64 v[62:63], -v[76:77], v[84:85], v[64:65]
	v_fmac_f64_e32 v[12:13], v[74:75], v[84:85]
	v_add_u32_e32 v20, 0x70, v20
	s_waitcnt vmcnt(4)
	v_fmac_f64_e32 v[26:27], v[16:17], v[30:31]
	v_fmac_f64_e32 v[10:11], v[18:19], v[30:31]
	v_fmac_f64_e32 v[62:63], v[34:35], v[30:31]
	v_fmac_f64_e32 v[12:13], v[36:37], v[30:31]
	v_fma_f64 v[18:19], -v[18:19], v[32:33], v[26:27]
	v_fmac_f64_e32 v[10:11], v[16:17], v[32:33]
	v_fma_f64 v[16:17], -v[36:37], v[32:33], v[62:63]
	v_fmac_f64_e32 v[12:13], v[34:35], v[32:33]
	s_waitcnt vmcnt(1)
	v_fmac_f64_e32 v[18:19], v[46:47], v[54:55]
	v_fmac_f64_e32 v[10:11], v[48:49], v[54:55]
	v_fmac_f64_e32 v[16:17], v[50:51], v[54:55]
	v_fmac_f64_e32 v[12:13], v[52:53], v[54:55]
	v_fma_f64 v[18:19], -v[48:49], v[56:57], v[18:19]
	v_fmac_f64_e32 v[10:11], v[46:47], v[56:57]
	v_fma_f64 v[16:17], -v[52:53], v[56:57], v[16:17]
	v_fmac_f64_e32 v[12:13], v[50:51], v[56:57]
	;; [unrolled: 9-line block ×3, first 2 shown]
	s_andn2_b64 exec, exec, s[14:15]
	s_cbranch_execnz .LBB254_11
; %bb.12:
	s_or_b64 exec, exec, s[14:15]
.LBB254_13:
	s_or_b64 exec, exec, s[12:13]
	s_andn2_b64 vcc, exec, s[4:5]
	s_cbranch_vccz .LBB254_15
	s_branch .LBB254_20
.LBB254_14:
                                        ; implicit-def: $vgpr10_vgpr11
                                        ; implicit-def: $vgpr18_vgpr19
                                        ; implicit-def: $vgpr16_vgpr17
                                        ; implicit-def: $vgpr12_vgpr13
.LBB254_15:
	v_mov_b64_e32 v[10:11], 0
	v_mov_b64_e32 v[18:19], v[10:11]
	;; [unrolled: 1-line block ×4, first 2 shown]
	s_and_saveexec_b64 s[4:5], s[0:1]
	s_cbranch_execz .LBB254_19
; %bb.16:
	v_mad_u64_u32 v[20:21], s[0:1], v14, 14, 13
	v_mov_b64_e32 v[10:11], 0
	s_mov_b64 s[0:1], 0
	v_mov_b32_e32 v23, 0
	v_mov_b64_e32 v[18:19], v[10:11]
	v_mov_b64_e32 v[16:17], v[10:11]
	;; [unrolled: 1-line block ×3, first 2 shown]
.LBB254_17:                             ; =>This Inner Loop Header: Depth=1
	v_ashrrev_i32_e32 v15, 31, v14
	v_add_u32_e32 v22, -13, v20
	v_add_u32_e32 v26, -6, v20
	v_mov_b32_e32 v27, v23
	v_mov_b32_e32 v21, v23
	v_lshl_add_u64 v[46:47], v[14:15], 2, s[6:7]
	v_lshl_add_u64 v[48:49], v[22:23], 4, s[8:9]
	;; [unrolled: 1-line block ×4, first 2 shown]
	global_load_dword v15, v[46:47], off
	global_load_dwordx4 v[30:33], v[48:49], off offset:16
	global_load_dwordx4 v[34:37], v[48:49], off
	global_load_dwordx4 v[38:41], v[26:27], off
	;; [unrolled: 1-line block ×3, first 2 shown]
	v_mov_b32_e32 v25, v23
	v_add_u32_e32 v14, 8, v14
	v_cmp_ge_i32_e32 vcc, v14, v28
	s_or_b64 s[0:1], vcc, s[0:1]
	s_waitcnt vmcnt(4)
	v_subrev_u32_e32 v15, s16, v15
	v_mul_lo_u32 v24, v15, 7
	v_lshl_add_u64 v[26:27], v[24:25], 4, s[10:11]
	global_load_dwordx4 v[46:49], v[26:27], off
	v_add_u32_e32 v22, 1, v24
	v_lshl_add_u64 v[26:27], v[22:23], 4, s[10:11]
	v_add_u32_e32 v22, -5, v20
	global_load_dwordx4 v[50:53], v[26:27], off
	v_lshl_add_u64 v[26:27], v[22:23], 4, s[8:9]
	v_add_u32_e32 v22, -11, v20
	global_load_dwordx4 v[54:57], v[26:27], off
	v_lshl_add_u64 v[26:27], v[22:23], 4, s[8:9]
	v_add_u32_e32 v22, 2, v24
	global_load_dwordx4 v[58:61], v[26:27], off
	v_lshl_add_u64 v[26:27], v[22:23], 4, s[10:11]
	global_load_dwordx4 v[62:65], v[26:27], off
	v_add_u32_e32 v22, -4, v20
	v_lshl_add_u64 v[26:27], v[22:23], 4, s[8:9]
	v_add_u32_e32 v22, -10, v20
	global_load_dwordx4 v[66:69], v[26:27], off
	v_lshl_add_u64 v[26:27], v[22:23], 4, s[8:9]
	v_add_u32_e32 v22, 3, v24
	global_load_dwordx4 v[70:73], v[26:27], off
	v_lshl_add_u64 v[26:27], v[22:23], 4, s[10:11]
	v_add_u32_e32 v22, -3, v20
	global_load_dwordx4 v[74:77], v[26:27], off
	v_lshl_add_u64 v[26:27], v[22:23], 4, s[8:9]
	v_add_u32_e32 v22, -9, v20
	s_waitcnt vmcnt(7)
	v_fmac_f64_e32 v[18:19], v[34:35], v[46:47]
	v_fmac_f64_e32 v[10:11], v[36:37], v[46:47]
	v_fma_f64 v[78:79], -v[36:37], v[48:49], v[18:19]
	v_lshl_add_u64 v[18:19], v[22:23], 4, s[8:9]
	v_add_u32_e32 v22, 4, v24
	v_fmac_f64_e32 v[12:13], v[40:41], v[46:47]
	v_fmac_f64_e32 v[10:11], v[34:35], v[48:49]
	;; [unrolled: 1-line block ×4, first 2 shown]
	v_lshl_add_u64 v[38:39], v[22:23], 4, s[10:11]
	v_add_u32_e32 v22, -2, v20
	v_lshl_add_u64 v[46:47], v[22:23], 4, s[8:9]
	s_waitcnt vmcnt(6)
	v_fmac_f64_e32 v[78:79], v[30:31], v[50:51]
	v_fmac_f64_e32 v[10:11], v[32:33], v[50:51]
	global_load_dwordx4 v[34:37], v[26:27], off
	v_add_u32_e32 v22, -8, v20
	v_fma_f64 v[78:79], -v[32:33], v[52:53], v[78:79]
	v_fmac_f64_e32 v[10:11], v[30:31], v[52:53]
	global_load_dwordx4 v[30:33], v[46:47], off
	v_fma_f64 v[26:27], -v[40:41], v[48:49], v[16:17]
	v_lshl_add_u64 v[48:49], v[22:23], 4, s[8:9]
	v_add_u32_e32 v22, 5, v24
	s_waitcnt vmcnt(7)
	v_fmac_f64_e32 v[26:27], v[54:55], v[50:51]
	global_load_dwordx4 v[16:19], v[18:19], off
	v_fma_f64 v[80:81], -v[56:57], v[52:53], v[26:27]
	global_load_dwordx4 v[38:41], v[38:39], off
	v_lshl_add_u64 v[26:27], v[22:23], 4, s[10:11]
	v_add_u32_e32 v22, -1, v20
	v_lshl_add_u64 v[82:83], v[22:23], 4, s[8:9]
	v_add_u32_e32 v22, -7, v20
	v_fmac_f64_e32 v[12:13], v[56:57], v[50:51]
	global_load_dwordx4 v[46:49], v[48:49], off
	v_lshl_add_u64 v[84:85], v[22:23], 4, s[8:9]
	v_add_u32_e32 v22, 6, v24
	global_load_dwordx4 v[24:27], v[26:27], off
	s_waitcnt vmcnt(9)
	v_fmac_f64_e32 v[10:11], v[60:61], v[62:63]
	v_fmac_f64_e32 v[12:13], v[54:55], v[52:53]
	;; [unrolled: 1-line block ×4, first 2 shown]
	global_load_dwordx4 v[50:53], v[82:83], off
	global_load_dwordx4 v[54:57], v[84:85], off
	v_lshl_add_u64 v[58:59], v[22:23], 4, s[10:11]
	v_fma_f64 v[78:79], -v[60:61], v[64:65], v[78:79]
	global_load_dwordx4 v[58:61], v[58:59], off
	s_waitcnt vmcnt(11)
	v_fmac_f64_e32 v[80:81], v[66:67], v[62:63]
	v_fmac_f64_e32 v[12:13], v[68:69], v[62:63]
	v_fma_f64 v[62:63], -v[68:69], v[64:65], v[80:81]
	v_fmac_f64_e32 v[12:13], v[66:67], v[64:65]
	s_waitcnt vmcnt(9)
	v_fmac_f64_e32 v[78:79], v[70:71], v[74:75]
	v_fmac_f64_e32 v[10:11], v[72:73], v[74:75]
	v_fma_f64 v[64:65], -v[72:73], v[76:77], v[78:79]
	v_fmac_f64_e32 v[10:11], v[70:71], v[76:77]
	v_add_u32_e32 v20, 0x70, v20
	s_waitcnt vmcnt(8)
	v_fmac_f64_e32 v[62:63], v[34:35], v[74:75]
	v_fmac_f64_e32 v[12:13], v[36:37], v[74:75]
	v_fma_f64 v[36:37], -v[36:37], v[76:77], v[62:63]
	v_fmac_f64_e32 v[12:13], v[34:35], v[76:77]
	s_waitcnt vmcnt(5)
	v_fmac_f64_e32 v[64:65], v[16:17], v[38:39]
	v_fmac_f64_e32 v[10:11], v[18:19], v[38:39]
	;; [unrolled: 1-line block ×4, first 2 shown]
	v_fma_f64 v[18:19], -v[18:19], v[40:41], v[64:65]
	v_fmac_f64_e32 v[10:11], v[16:17], v[40:41]
	v_fma_f64 v[16:17], -v[32:33], v[40:41], v[36:37]
	v_fmac_f64_e32 v[12:13], v[30:31], v[40:41]
	s_waitcnt vmcnt(3)
	v_fmac_f64_e32 v[18:19], v[46:47], v[24:25]
	v_fmac_f64_e32 v[10:11], v[48:49], v[24:25]
	v_fma_f64 v[18:19], -v[48:49], v[26:27], v[18:19]
	v_fmac_f64_e32 v[10:11], v[46:47], v[26:27]
	s_waitcnt vmcnt(2)
	v_fmac_f64_e32 v[16:17], v[50:51], v[24:25]
	;; [unrolled: 5-line block ×3, first 2 shown]
	v_fmac_f64_e32 v[10:11], v[56:57], v[58:59]
	v_fmac_f64_e32 v[16:17], v[42:43], v[58:59]
	;; [unrolled: 1-line block ×3, first 2 shown]
	v_fma_f64 v[18:19], -v[56:57], v[60:61], v[18:19]
	v_fmac_f64_e32 v[10:11], v[54:55], v[60:61]
	v_fma_f64 v[16:17], -v[44:45], v[60:61], v[16:17]
	v_fmac_f64_e32 v[12:13], v[42:43], v[60:61]
	s_andn2_b64 exec, exec, s[0:1]
	s_cbranch_execnz .LBB254_17
; %bb.18:
	s_or_b64 exec, exec, s[0:1]
.LBB254_19:
	s_or_b64 exec, exec, s[4:5]
.LBB254_20:
	v_mov_b32_dpp v22, v16 row_shr:1 row_mask:0xf bank_mask:0xf
	v_mov_b32_dpp v23, v17 row_shr:1 row_mask:0xf bank_mask:0xf
	v_add_f64 v[16:17], v[16:17], v[22:23]
	v_mov_b32_dpp v14, v18 row_shr:1 row_mask:0xf bank_mask:0xf
	v_mov_b32_dpp v15, v19 row_shr:1 row_mask:0xf bank_mask:0xf
	;; [unrolled: 1-line block ×6, first 2 shown]
	v_add_f64 v[22:23], v[16:17], v[22:23]
	v_mov_b32_dpp v16, v12 row_shr:1 row_mask:0xf bank_mask:0xf
	v_mov_b32_dpp v17, v13 row_shr:1 row_mask:0xf bank_mask:0xf
	v_add_f64 v[14:15], v[18:19], v[14:15]
	v_add_f64 v[10:11], v[10:11], v[20:21]
	;; [unrolled: 1-line block ×3, first 2 shown]
	v_mov_b32_dpp v18, v14 row_shr:2 row_mask:0xf bank_mask:0xf
	v_mov_b32_dpp v19, v15 row_shr:2 row_mask:0xf bank_mask:0xf
	v_mov_b32_dpp v20, v10 row_shr:2 row_mask:0xf bank_mask:0xf
	v_mov_b32_dpp v21, v11 row_shr:2 row_mask:0xf bank_mask:0xf
	v_mov_b32_dpp v16, v12 row_shr:2 row_mask:0xf bank_mask:0xf
	v_mov_b32_dpp v17, v13 row_shr:2 row_mask:0xf bank_mask:0xf
	v_add_f64 v[14:15], v[14:15], v[18:19]
	v_add_f64 v[10:11], v[10:11], v[20:21]
	;; [unrolled: 1-line block ×3, first 2 shown]
	v_mov_b32_dpp v18, v14 row_shr:4 row_mask:0xf bank_mask:0xe
	v_mov_b32_dpp v19, v15 row_shr:4 row_mask:0xf bank_mask:0xe
	;; [unrolled: 1-line block ×8, first 2 shown]
	v_cmp_eq_u32_e32 vcc, 7, v9
	s_and_b64 exec, exec, vcc
	s_cbranch_execz .LBB254_25
; %bb.21:
	s_load_dwordx2 s[2:3], s[2:3], 0x48
	v_cmp_eq_f64_e32 vcc, 0, v[4:5]
	v_cmp_eq_f64_e64 s[0:1], 0, v[6:7]
	v_add_f64 v[14:15], v[14:15], v[18:19]
	v_add_f64 v[16:17], v[10:11], v[20:21]
	;; [unrolled: 1-line block ×4, first 2 shown]
	s_and_b64 s[0:1], vcc, s[0:1]
	s_and_saveexec_b64 s[4:5], s[0:1]
	s_xor_b64 s[0:1], exec, s[4:5]
	s_cbranch_execz .LBB254_23
; %bb.22:
	v_lshlrev_b32_e32 v8, 1, v8
	v_mul_f64 v[4:5], v[16:17], -v[2:3]
	v_mul_f64 v[6:7], v[0:1], v[16:17]
	v_ashrrev_i32_e32 v9, 31, v8
	v_fmac_f64_e32 v[4:5], v[0:1], v[14:15]
	v_fmac_f64_e32 v[6:7], v[2:3], v[14:15]
	s_waitcnt lgkmcnt(0)
	v_lshl_add_u64 v[8:9], v[8:9], 4, s[2:3]
	global_store_dwordx4 v[8:9], v[4:7], off
                                        ; implicit-def: $vgpr14_vgpr15
                                        ; implicit-def: $vgpr16_vgpr17
	s_nop 1
	v_mul_f64 v[4:5], v[12:13], -v[2:3]
	v_mul_f64 v[6:7], v[0:1], v[12:13]
	v_fmac_f64_e32 v[4:5], v[0:1], v[10:11]
	v_fmac_f64_e32 v[6:7], v[2:3], v[10:11]
	global_store_dwordx4 v[8:9], v[4:7], off offset:16
                                        ; implicit-def: $vgpr0_vgpr1
                                        ; implicit-def: $vgpr2_vgpr3
                                        ; implicit-def: $vgpr4_vgpr5
                                        ; implicit-def: $vgpr6_vgpr7
                                        ; implicit-def: $vgpr8
                                        ; implicit-def: $vgpr10_vgpr11
                                        ; implicit-def: $vgpr12_vgpr13
.LBB254_23:
	s_andn2_saveexec_b64 s[0:1], s[0:1]
	s_cbranch_execz .LBB254_25
; %bb.24:
	v_lshlrev_b32_e32 v8, 1, v8
	v_ashrrev_i32_e32 v9, 31, v8
	s_waitcnt lgkmcnt(0)
	v_lshl_add_u64 v[26:27], v[8:9], 4, s[2:3]
	global_load_dwordx4 v[18:21], v[26:27], off
	global_load_dwordx4 v[22:25], v[26:27], off offset:16
	v_mul_f64 v[28:29], v[16:17], -v[2:3]
	v_mul_f64 v[16:17], v[0:1], v[16:17]
	v_mul_f64 v[30:31], v[12:13], -v[2:3]
	v_mul_f64 v[8:9], v[0:1], v[12:13]
	v_fmac_f64_e32 v[28:29], v[0:1], v[14:15]
	v_fmac_f64_e32 v[16:17], v[2:3], v[14:15]
	;; [unrolled: 1-line block ×4, first 2 shown]
	s_waitcnt vmcnt(1)
	v_fmac_f64_e32 v[28:29], v[4:5], v[18:19]
	v_fmac_f64_e32 v[16:17], v[6:7], v[18:19]
	s_waitcnt vmcnt(0)
	v_fmac_f64_e32 v[30:31], v[4:5], v[22:23]
	v_fmac_f64_e32 v[8:9], v[6:7], v[22:23]
	v_fma_f64 v[14:15], -v[6:7], v[20:21], v[28:29]
	v_fmac_f64_e32 v[16:17], v[4:5], v[20:21]
	v_fma_f64 v[6:7], -v[6:7], v[24:25], v[30:31]
	v_fmac_f64_e32 v[8:9], v[4:5], v[24:25]
	global_store_dwordx4 v[26:27], v[14:17], off
	global_store_dwordx4 v[26:27], v[6:9], off offset:16
.LBB254_25:
	s_endpgm
	.section	.rodata,"a",@progbits
	.p2align	6, 0x0
	.amdhsa_kernel _ZN9rocsparseL19gebsrmvn_2xn_kernelILj128ELj7ELj8E21rocsparse_complex_numIdEEEvi20rocsparse_direction_NS_24const_host_device_scalarIT2_EEPKiS8_PKS5_SA_S6_PS5_21rocsparse_index_base_b
		.amdhsa_group_segment_fixed_size 2048
		.amdhsa_private_segment_fixed_size 0
		.amdhsa_kernarg_size 88
		.amdhsa_user_sgpr_count 4
		.amdhsa_user_sgpr_dispatch_ptr 1
		.amdhsa_user_sgpr_queue_ptr 0
		.amdhsa_user_sgpr_kernarg_segment_ptr 1
		.amdhsa_user_sgpr_dispatch_id 0
		.amdhsa_user_sgpr_kernarg_preload_length 0
		.amdhsa_user_sgpr_kernarg_preload_offset 0
		.amdhsa_user_sgpr_private_segment_size 0
		.amdhsa_uses_dynamic_stack 0
		.amdhsa_enable_private_segment 0
		.amdhsa_system_sgpr_workgroup_id_x 1
		.amdhsa_system_sgpr_workgroup_id_y 0
		.amdhsa_system_sgpr_workgroup_id_z 0
		.amdhsa_system_sgpr_workgroup_info 0
		.amdhsa_system_vgpr_workitem_id 2
		.amdhsa_next_free_vgpr 90
		.amdhsa_next_free_sgpr 20
		.amdhsa_accum_offset 92
		.amdhsa_reserve_vcc 1
		.amdhsa_float_round_mode_32 0
		.amdhsa_float_round_mode_16_64 0
		.amdhsa_float_denorm_mode_32 3
		.amdhsa_float_denorm_mode_16_64 3
		.amdhsa_dx10_clamp 1
		.amdhsa_ieee_mode 1
		.amdhsa_fp16_overflow 0
		.amdhsa_tg_split 0
		.amdhsa_exception_fp_ieee_invalid_op 0
		.amdhsa_exception_fp_denorm_src 0
		.amdhsa_exception_fp_ieee_div_zero 0
		.amdhsa_exception_fp_ieee_overflow 0
		.amdhsa_exception_fp_ieee_underflow 0
		.amdhsa_exception_fp_ieee_inexact 0
		.amdhsa_exception_int_div_zero 0
	.end_amdhsa_kernel
	.section	.text._ZN9rocsparseL19gebsrmvn_2xn_kernelILj128ELj7ELj8E21rocsparse_complex_numIdEEEvi20rocsparse_direction_NS_24const_host_device_scalarIT2_EEPKiS8_PKS5_SA_S6_PS5_21rocsparse_index_base_b,"axG",@progbits,_ZN9rocsparseL19gebsrmvn_2xn_kernelILj128ELj7ELj8E21rocsparse_complex_numIdEEEvi20rocsparse_direction_NS_24const_host_device_scalarIT2_EEPKiS8_PKS5_SA_S6_PS5_21rocsparse_index_base_b,comdat
.Lfunc_end254:
	.size	_ZN9rocsparseL19gebsrmvn_2xn_kernelILj128ELj7ELj8E21rocsparse_complex_numIdEEEvi20rocsparse_direction_NS_24const_host_device_scalarIT2_EEPKiS8_PKS5_SA_S6_PS5_21rocsparse_index_base_b, .Lfunc_end254-_ZN9rocsparseL19gebsrmvn_2xn_kernelILj128ELj7ELj8E21rocsparse_complex_numIdEEEvi20rocsparse_direction_NS_24const_host_device_scalarIT2_EEPKiS8_PKS5_SA_S6_PS5_21rocsparse_index_base_b
                                        ; -- End function
	.section	.AMDGPU.csdata,"",@progbits
; Kernel info:
; codeLenInByte = 2640
; NumSgprs: 26
; NumVgprs: 90
; NumAgprs: 0
; TotalNumVgprs: 90
; ScratchSize: 0
; MemoryBound: 0
; FloatMode: 240
; IeeeMode: 1
; LDSByteSize: 2048 bytes/workgroup (compile time only)
; SGPRBlocks: 3
; VGPRBlocks: 11
; NumSGPRsForWavesPerEU: 26
; NumVGPRsForWavesPerEU: 90
; AccumOffset: 92
; Occupancy: 5
; WaveLimiterHint : 1
; COMPUTE_PGM_RSRC2:SCRATCH_EN: 0
; COMPUTE_PGM_RSRC2:USER_SGPR: 4
; COMPUTE_PGM_RSRC2:TRAP_HANDLER: 0
; COMPUTE_PGM_RSRC2:TGID_X_EN: 1
; COMPUTE_PGM_RSRC2:TGID_Y_EN: 0
; COMPUTE_PGM_RSRC2:TGID_Z_EN: 0
; COMPUTE_PGM_RSRC2:TIDIG_COMP_CNT: 2
; COMPUTE_PGM_RSRC3_GFX90A:ACCUM_OFFSET: 22
; COMPUTE_PGM_RSRC3_GFX90A:TG_SPLIT: 0
	.section	.text._ZN9rocsparseL19gebsrmvn_2xn_kernelILj128ELj7ELj16E21rocsparse_complex_numIdEEEvi20rocsparse_direction_NS_24const_host_device_scalarIT2_EEPKiS8_PKS5_SA_S6_PS5_21rocsparse_index_base_b,"axG",@progbits,_ZN9rocsparseL19gebsrmvn_2xn_kernelILj128ELj7ELj16E21rocsparse_complex_numIdEEEvi20rocsparse_direction_NS_24const_host_device_scalarIT2_EEPKiS8_PKS5_SA_S6_PS5_21rocsparse_index_base_b,comdat
	.globl	_ZN9rocsparseL19gebsrmvn_2xn_kernelILj128ELj7ELj16E21rocsparse_complex_numIdEEEvi20rocsparse_direction_NS_24const_host_device_scalarIT2_EEPKiS8_PKS5_SA_S6_PS5_21rocsparse_index_base_b ; -- Begin function _ZN9rocsparseL19gebsrmvn_2xn_kernelILj128ELj7ELj16E21rocsparse_complex_numIdEEEvi20rocsparse_direction_NS_24const_host_device_scalarIT2_EEPKiS8_PKS5_SA_S6_PS5_21rocsparse_index_base_b
	.p2align	8
	.type	_ZN9rocsparseL19gebsrmvn_2xn_kernelILj128ELj7ELj16E21rocsparse_complex_numIdEEEvi20rocsparse_direction_NS_24const_host_device_scalarIT2_EEPKiS8_PKS5_SA_S6_PS5_21rocsparse_index_base_b,@function
_ZN9rocsparseL19gebsrmvn_2xn_kernelILj128ELj7ELj16E21rocsparse_complex_numIdEEEvi20rocsparse_direction_NS_24const_host_device_scalarIT2_EEPKiS8_PKS5_SA_S6_PS5_21rocsparse_index_base_b: ; @_ZN9rocsparseL19gebsrmvn_2xn_kernelILj128ELj7ELj16E21rocsparse_complex_numIdEEEvi20rocsparse_direction_NS_24const_host_device_scalarIT2_EEPKiS8_PKS5_SA_S6_PS5_21rocsparse_index_base_b
; %bb.0:
	s_load_dwordx2 s[16:17], s[2:3], 0x50
	s_load_dwordx4 s[12:15], s[2:3], 0x8
	s_load_dwordx4 s[8:11], s[2:3], 0x38
	s_load_dwordx2 s[18:19], s[0:1], 0x4
	s_mov_b64 s[6:7], src_shared_base
	s_waitcnt lgkmcnt(0)
	s_bitcmp1_b32 s17, 0
	s_cselect_b64 s[0:1], -1, 0
	s_and_b64 vcc, s[0:1], exec
	s_cselect_b32 s5, s7, s13
	s_lshr_b32 s6, s18, 16
	v_bfe_u32 v1, v0, 10, 10
	v_and_b32_e32 v10, 0x3ff, v0
	s_mul_i32 s6, s6, s19
	v_mul_u32_u24_e32 v1, s19, v1
	v_mad_u32_u24 v1, s6, v10, v1
	v_bfe_u32 v0, v0, 20, 10
	v_add_lshl_u32 v4, v1, v0, 3
	v_mov_b32_e32 v5, s12
	v_add_u32_e32 v6, 0x400, v4
	v_mov_b64_e32 v[0:1], s[12:13]
	v_mov_b64_e32 v[2:3], s[8:9]
	ds_write2st64_b64 v4, v[2:3], v[0:1] offset1:2
	v_cndmask_b32_e64 v0, v5, v6, s[0:1]
	v_mov_b32_e32 v1, s5
	flat_load_dwordx2 v[0:1], v[0:1]
	s_xor_b64 s[18:19], s[0:1], -1
	v_mov_b64_e32 v[2:3], s[14:15]
	s_cbranch_vccnz .LBB255_2
; %bb.1:
	v_mov_b64_e32 v[2:3], s[12:13]
	flat_load_dwordx2 v[2:3], v[2:3] offset:8
.LBB255_2:
	s_and_b64 s[12:13], s[0:1], exec
	s_cselect_b32 s5, s7, s9
	v_mov_b32_e32 v5, s8
	v_cndmask_b32_e64 v4, v5, v4, s[0:1]
	v_mov_b32_e32 v5, s5
	flat_load_dwordx2 v[4:5], v[4:5]
	s_andn2_b64 vcc, exec, s[18:19]
	v_mov_b64_e32 v[6:7], s[10:11]
	s_cbranch_vccnz .LBB255_4
; %bb.3:
	v_mov_b64_e32 v[6:7], s[8:9]
	flat_load_dwordx2 v[6:7], v[6:7] offset:8
.LBB255_4:
	s_waitcnt vmcnt(0) lgkmcnt(0)
	v_cmp_eq_f64_e32 vcc, 0, v[0:1]
	v_cmp_eq_f64_e64 s[0:1], 0, v[2:3]
	s_and_b64 s[8:9], vcc, s[0:1]
	s_mov_b64 s[0:1], -1
	s_and_saveexec_b64 s[6:7], s[8:9]
; %bb.5:
	v_cmp_neq_f64_e32 vcc, 1.0, v[4:5]
	v_cmp_neq_f64_e64 s[0:1], 0, v[6:7]
	s_or_b64 s[0:1], vcc, s[0:1]
	s_orn2_b64 s[0:1], s[0:1], exec
; %bb.6:
	s_or_b64 exec, exec, s[6:7]
	s_and_saveexec_b64 s[6:7], s[0:1]
	s_cbranch_execz .LBB255_25
; %bb.7:
	s_load_dwordx2 s[0:1], s[2:3], 0x0
	v_lshrrev_b32_e32 v8, 4, v10
	v_lshl_or_b32 v8, s4, 3, v8
	s_waitcnt lgkmcnt(0)
	v_cmp_gt_i32_e32 vcc, s0, v8
	s_and_b64 exec, exec, vcc
	s_cbranch_execz .LBB255_25
; %bb.8:
	s_load_dwordx8 s[4:11], s[2:3], 0x18
	v_ashrrev_i32_e32 v9, 31, v8
	s_cmp_lg_u32 s1, 0
	s_waitcnt lgkmcnt(0)
	v_lshl_add_u64 v[12:13], v[8:9], 2, s[4:5]
	global_load_dwordx2 v[12:13], v[12:13], off
	v_and_b32_e32 v9, 15, v10
	s_waitcnt vmcnt(0)
	v_subrev_u32_e32 v10, s16, v12
	v_subrev_u32_e32 v28, s16, v13
	v_add_u32_e32 v14, v10, v9
	v_cmp_lt_i32_e64 s[0:1], v14, v28
	s_cbranch_scc0 .LBB255_14
; %bb.9:
	v_mov_b64_e32 v[12:13], 0
	s_mov_b64 s[4:5], 0
	v_mov_b64_e32 v[18:19], v[12:13]
	v_mov_b64_e32 v[16:17], v[12:13]
	;; [unrolled: 1-line block ×3, first 2 shown]
	s_and_saveexec_b64 s[12:13], s[0:1]
	s_cbranch_execz .LBB255_13
; %bb.10:
	v_mad_u64_u32 v[20:21], s[14:15], v14, 14, 12
	v_mov_b64_e32 v[12:13], 0
	s_mov_b64 s[14:15], 0
	v_mov_b32_e32 v23, 0
	v_mov_b32_e32 v24, v14
	v_mov_b64_e32 v[18:19], v[12:13]
	v_mov_b64_e32 v[16:17], v[12:13]
	;; [unrolled: 1-line block ×3, first 2 shown]
.LBB255_11:                             ; =>This Inner Loop Header: Depth=1
	v_ashrrev_i32_e32 v25, 31, v24
	v_add_u32_e32 v22, -12, v20
	v_lshl_add_u64 v[38:39], v[24:25], 2, s[6:7]
	v_lshl_add_u64 v[40:41], v[22:23], 4, s[8:9]
	global_load_dword v15, v[38:39], off
	global_load_dwordx4 v[30:33], v[40:41], off offset:16
	global_load_dwordx4 v[34:37], v[40:41], off
	v_mov_b32_e32 v21, v23
	v_mov_b32_e32 v27, v23
	v_add_u32_e32 v22, -10, v20
	v_lshl_add_u64 v[54:55], v[20:21], 4, s[8:9]
	v_lshl_add_u64 v[56:57], v[22:23], 4, s[8:9]
	global_load_dwordx4 v[38:41], v[54:55], off offset:16
	global_load_dwordx4 v[42:45], v[54:55], off
	global_load_dwordx4 v[46:49], v[56:57], off offset:16
	global_load_dwordx4 v[50:53], v[56:57], off
	v_add_u32_e32 v24, 16, v24
	v_cmp_ge_i32_e32 vcc, v24, v28
	s_or_b64 s[14:15], vcc, s[14:15]
	s_waitcnt vmcnt(6)
	v_subrev_u32_e32 v15, s16, v15
	v_mul_lo_u32 v26, v15, 7
	v_lshl_add_u64 v[54:55], v[26:27], 4, s[10:11]
	v_add_u32_e32 v22, 1, v26
	global_load_dwordx4 v[54:57], v[54:55], off
	v_lshl_add_u64 v[58:59], v[22:23], 4, s[10:11]
	global_load_dwordx4 v[58:61], v[58:59], off
	v_add_u32_e32 v22, -8, v20
	v_lshl_add_u64 v[70:71], v[22:23], 4, s[8:9]
	v_add_u32_e32 v22, 2, v26
	global_load_dwordx4 v[62:65], v[70:71], off offset:16
	global_load_dwordx4 v[66:69], v[70:71], off
	v_lshl_add_u64 v[70:71], v[22:23], 4, s[10:11]
	v_add_u32_e32 v22, -6, v20
	global_load_dwordx4 v[70:73], v[70:71], off
	v_lshl_add_u64 v[82:83], v[22:23], 4, s[8:9]
	v_add_u32_e32 v22, 3, v26
	global_load_dwordx4 v[74:77], v[82:83], off offset:16
	global_load_dwordx4 v[78:81], v[82:83], off
	v_lshl_add_u64 v[82:83], v[22:23], 4, s[10:11]
	v_add_u32_e32 v22, -4, v20
	global_load_dwordx4 v[82:85], v[82:83], off
	v_lshl_add_u64 v[86:87], v[22:23], 4, s[8:9]
	v_add_u32_e32 v22, 4, v26
	s_waitcnt vmcnt(7)
	v_fmac_f64_e32 v[18:19], v[34:35], v[54:55]
	v_fmac_f64_e32 v[16:17], v[30:31], v[54:55]
	;; [unrolled: 1-line block ×4, first 2 shown]
	v_fma_f64 v[88:89], -v[36:37], v[56:57], v[18:19]
	v_fma_f64 v[54:55], -v[32:33], v[56:57], v[16:17]
	v_fmac_f64_e32 v[10:11], v[30:31], v[56:57]
	v_lshl_add_u64 v[30:31], v[22:23], 4, s[10:11]
	v_add_u32_e32 v22, -2, v20
	v_fmac_f64_e32 v[12:13], v[34:35], v[56:57]
	global_load_dwordx4 v[34:37], v[86:87], off offset:16
	global_load_dwordx4 v[16:19], v[86:87], off
	v_lshl_add_u64 v[56:57], v[22:23], 4, s[8:9]
	global_load_dwordx4 v[30:33], v[30:31], off
	v_add_u32_e32 v22, 5, v26
	s_waitcnt vmcnt(9)
	v_fmac_f64_e32 v[88:89], v[50:51], v[58:59]
	v_fmac_f64_e32 v[54:55], v[46:47], v[58:59]
	;; [unrolled: 1-line block ×3, first 2 shown]
	v_fma_f64 v[86:87], -v[52:53], v[60:61], v[88:89]
	v_fmac_f64_e32 v[10:11], v[48:49], v[58:59]
	v_fma_f64 v[88:89], -v[48:49], v[60:61], v[54:55]
	v_lshl_add_u64 v[54:55], v[22:23], 4, s[10:11]
	v_fmac_f64_e32 v[12:13], v[50:51], v[60:61]
	global_load_dwordx4 v[50:53], v[56:57], off offset:16
	v_fmac_f64_e32 v[10:11], v[46:47], v[60:61]
	global_load_dwordx4 v[46:49], v[56:57], off
	v_add_u32_e32 v22, 6, v26
	global_load_dwordx4 v[54:57], v[54:55], off
	v_lshl_add_u64 v[26:27], v[22:23], 4, s[10:11]
	global_load_dwordx4 v[58:61], v[26:27], off
	s_waitcnt vmcnt(10)
	v_fmac_f64_e32 v[86:87], v[66:67], v[70:71]
	v_fmac_f64_e32 v[12:13], v[68:69], v[70:71]
	;; [unrolled: 1-line block ×4, first 2 shown]
	v_fma_f64 v[26:27], -v[68:69], v[72:73], v[86:87]
	v_fmac_f64_e32 v[12:13], v[66:67], v[72:73]
	v_fma_f64 v[64:65], -v[64:65], v[72:73], v[88:89]
	v_fmac_f64_e32 v[10:11], v[62:63], v[72:73]
	s_waitcnt vmcnt(7)
	v_fmac_f64_e32 v[26:27], v[78:79], v[82:83]
	v_fmac_f64_e32 v[12:13], v[80:81], v[82:83]
	;; [unrolled: 1-line block ×4, first 2 shown]
	v_fma_f64 v[26:27], -v[80:81], v[84:85], v[26:27]
	v_fmac_f64_e32 v[12:13], v[78:79], v[84:85]
	v_fma_f64 v[62:63], -v[76:77], v[84:85], v[64:65]
	v_fmac_f64_e32 v[10:11], v[74:75], v[84:85]
	v_add_u32_e32 v20, 0xe0, v20
	s_waitcnt vmcnt(4)
	v_fmac_f64_e32 v[26:27], v[16:17], v[30:31]
	v_fmac_f64_e32 v[12:13], v[18:19], v[30:31]
	v_fmac_f64_e32 v[62:63], v[34:35], v[30:31]
	v_fmac_f64_e32 v[10:11], v[36:37], v[30:31]
	v_fma_f64 v[18:19], -v[18:19], v[32:33], v[26:27]
	v_fmac_f64_e32 v[12:13], v[16:17], v[32:33]
	v_fma_f64 v[16:17], -v[36:37], v[32:33], v[62:63]
	v_fmac_f64_e32 v[10:11], v[34:35], v[32:33]
	s_waitcnt vmcnt(1)
	v_fmac_f64_e32 v[18:19], v[46:47], v[54:55]
	v_fmac_f64_e32 v[12:13], v[48:49], v[54:55]
	v_fmac_f64_e32 v[16:17], v[50:51], v[54:55]
	v_fmac_f64_e32 v[10:11], v[52:53], v[54:55]
	v_fma_f64 v[18:19], -v[48:49], v[56:57], v[18:19]
	v_fmac_f64_e32 v[12:13], v[46:47], v[56:57]
	v_fma_f64 v[16:17], -v[52:53], v[56:57], v[16:17]
	v_fmac_f64_e32 v[10:11], v[50:51], v[56:57]
	;; [unrolled: 9-line block ×3, first 2 shown]
	s_andn2_b64 exec, exec, s[14:15]
	s_cbranch_execnz .LBB255_11
; %bb.12:
	s_or_b64 exec, exec, s[14:15]
.LBB255_13:
	s_or_b64 exec, exec, s[12:13]
	s_andn2_b64 vcc, exec, s[4:5]
	s_cbranch_vccz .LBB255_15
	s_branch .LBB255_20
.LBB255_14:
                                        ; implicit-def: $vgpr12_vgpr13
                                        ; implicit-def: $vgpr18_vgpr19
                                        ; implicit-def: $vgpr16_vgpr17
                                        ; implicit-def: $vgpr10_vgpr11
.LBB255_15:
	v_mov_b64_e32 v[12:13], 0
	v_mov_b64_e32 v[18:19], v[12:13]
	;; [unrolled: 1-line block ×4, first 2 shown]
	s_and_saveexec_b64 s[4:5], s[0:1]
	s_cbranch_execz .LBB255_19
; %bb.16:
	v_mad_u64_u32 v[20:21], s[0:1], v14, 14, 13
	v_mov_b64_e32 v[12:13], 0
	s_mov_b64 s[0:1], 0
	v_mov_b32_e32 v23, 0
	v_mov_b64_e32 v[18:19], v[12:13]
	v_mov_b64_e32 v[16:17], v[12:13]
	;; [unrolled: 1-line block ×3, first 2 shown]
.LBB255_17:                             ; =>This Inner Loop Header: Depth=1
	v_ashrrev_i32_e32 v15, 31, v14
	v_add_u32_e32 v22, -13, v20
	v_add_u32_e32 v26, -6, v20
	v_mov_b32_e32 v27, v23
	v_mov_b32_e32 v21, v23
	v_lshl_add_u64 v[46:47], v[14:15], 2, s[6:7]
	v_lshl_add_u64 v[48:49], v[22:23], 4, s[8:9]
	;; [unrolled: 1-line block ×4, first 2 shown]
	global_load_dword v15, v[46:47], off
	global_load_dwordx4 v[30:33], v[48:49], off offset:16
	global_load_dwordx4 v[34:37], v[48:49], off
	global_load_dwordx4 v[38:41], v[26:27], off
	;; [unrolled: 1-line block ×3, first 2 shown]
	v_mov_b32_e32 v25, v23
	v_add_u32_e32 v14, 16, v14
	v_cmp_ge_i32_e32 vcc, v14, v28
	s_or_b64 s[0:1], vcc, s[0:1]
	s_waitcnt vmcnt(4)
	v_subrev_u32_e32 v15, s16, v15
	v_mul_lo_u32 v24, v15, 7
	v_lshl_add_u64 v[26:27], v[24:25], 4, s[10:11]
	global_load_dwordx4 v[46:49], v[26:27], off
	v_add_u32_e32 v22, 1, v24
	v_lshl_add_u64 v[26:27], v[22:23], 4, s[10:11]
	v_add_u32_e32 v22, -5, v20
	global_load_dwordx4 v[50:53], v[26:27], off
	v_lshl_add_u64 v[26:27], v[22:23], 4, s[8:9]
	v_add_u32_e32 v22, -11, v20
	global_load_dwordx4 v[54:57], v[26:27], off
	v_lshl_add_u64 v[26:27], v[22:23], 4, s[8:9]
	v_add_u32_e32 v22, 2, v24
	global_load_dwordx4 v[58:61], v[26:27], off
	v_lshl_add_u64 v[26:27], v[22:23], 4, s[10:11]
	global_load_dwordx4 v[62:65], v[26:27], off
	v_add_u32_e32 v22, -4, v20
	v_lshl_add_u64 v[26:27], v[22:23], 4, s[8:9]
	v_add_u32_e32 v22, -10, v20
	global_load_dwordx4 v[66:69], v[26:27], off
	v_lshl_add_u64 v[26:27], v[22:23], 4, s[8:9]
	v_add_u32_e32 v22, 3, v24
	global_load_dwordx4 v[70:73], v[26:27], off
	v_lshl_add_u64 v[26:27], v[22:23], 4, s[10:11]
	v_add_u32_e32 v22, -3, v20
	global_load_dwordx4 v[74:77], v[26:27], off
	v_lshl_add_u64 v[26:27], v[22:23], 4, s[8:9]
	v_add_u32_e32 v22, -9, v20
	s_waitcnt vmcnt(7)
	v_fmac_f64_e32 v[18:19], v[34:35], v[46:47]
	v_fmac_f64_e32 v[12:13], v[36:37], v[46:47]
	v_fma_f64 v[78:79], -v[36:37], v[48:49], v[18:19]
	v_lshl_add_u64 v[18:19], v[22:23], 4, s[8:9]
	v_add_u32_e32 v22, 4, v24
	v_fmac_f64_e32 v[10:11], v[40:41], v[46:47]
	v_fmac_f64_e32 v[12:13], v[34:35], v[48:49]
	;; [unrolled: 1-line block ×4, first 2 shown]
	v_lshl_add_u64 v[38:39], v[22:23], 4, s[10:11]
	v_add_u32_e32 v22, -2, v20
	v_lshl_add_u64 v[46:47], v[22:23], 4, s[8:9]
	s_waitcnt vmcnt(6)
	v_fmac_f64_e32 v[78:79], v[30:31], v[50:51]
	v_fmac_f64_e32 v[12:13], v[32:33], v[50:51]
	global_load_dwordx4 v[34:37], v[26:27], off
	v_add_u32_e32 v22, -8, v20
	v_fma_f64 v[78:79], -v[32:33], v[52:53], v[78:79]
	v_fmac_f64_e32 v[12:13], v[30:31], v[52:53]
	global_load_dwordx4 v[30:33], v[46:47], off
	v_fma_f64 v[26:27], -v[40:41], v[48:49], v[16:17]
	v_lshl_add_u64 v[48:49], v[22:23], 4, s[8:9]
	v_add_u32_e32 v22, 5, v24
	s_waitcnt vmcnt(7)
	v_fmac_f64_e32 v[26:27], v[54:55], v[50:51]
	global_load_dwordx4 v[16:19], v[18:19], off
	v_fma_f64 v[80:81], -v[56:57], v[52:53], v[26:27]
	global_load_dwordx4 v[38:41], v[38:39], off
	v_lshl_add_u64 v[26:27], v[22:23], 4, s[10:11]
	v_add_u32_e32 v22, -1, v20
	v_lshl_add_u64 v[82:83], v[22:23], 4, s[8:9]
	v_add_u32_e32 v22, -7, v20
	v_fmac_f64_e32 v[10:11], v[56:57], v[50:51]
	global_load_dwordx4 v[46:49], v[48:49], off
	v_lshl_add_u64 v[84:85], v[22:23], 4, s[8:9]
	v_add_u32_e32 v22, 6, v24
	global_load_dwordx4 v[24:27], v[26:27], off
	s_waitcnt vmcnt(9)
	v_fmac_f64_e32 v[12:13], v[60:61], v[62:63]
	v_fmac_f64_e32 v[10:11], v[54:55], v[52:53]
	;; [unrolled: 1-line block ×4, first 2 shown]
	global_load_dwordx4 v[50:53], v[82:83], off
	global_load_dwordx4 v[54:57], v[84:85], off
	v_lshl_add_u64 v[58:59], v[22:23], 4, s[10:11]
	v_fma_f64 v[78:79], -v[60:61], v[64:65], v[78:79]
	global_load_dwordx4 v[58:61], v[58:59], off
	s_waitcnt vmcnt(11)
	v_fmac_f64_e32 v[80:81], v[66:67], v[62:63]
	v_fmac_f64_e32 v[10:11], v[68:69], v[62:63]
	v_fma_f64 v[62:63], -v[68:69], v[64:65], v[80:81]
	v_fmac_f64_e32 v[10:11], v[66:67], v[64:65]
	s_waitcnt vmcnt(9)
	v_fmac_f64_e32 v[78:79], v[70:71], v[74:75]
	v_fmac_f64_e32 v[12:13], v[72:73], v[74:75]
	v_fma_f64 v[64:65], -v[72:73], v[76:77], v[78:79]
	v_fmac_f64_e32 v[12:13], v[70:71], v[76:77]
	v_add_u32_e32 v20, 0xe0, v20
	s_waitcnt vmcnt(8)
	v_fmac_f64_e32 v[62:63], v[34:35], v[74:75]
	v_fmac_f64_e32 v[10:11], v[36:37], v[74:75]
	v_fma_f64 v[36:37], -v[36:37], v[76:77], v[62:63]
	v_fmac_f64_e32 v[10:11], v[34:35], v[76:77]
	s_waitcnt vmcnt(5)
	v_fmac_f64_e32 v[64:65], v[16:17], v[38:39]
	v_fmac_f64_e32 v[12:13], v[18:19], v[38:39]
	;; [unrolled: 1-line block ×4, first 2 shown]
	v_fma_f64 v[18:19], -v[18:19], v[40:41], v[64:65]
	v_fmac_f64_e32 v[12:13], v[16:17], v[40:41]
	v_fma_f64 v[16:17], -v[32:33], v[40:41], v[36:37]
	v_fmac_f64_e32 v[10:11], v[30:31], v[40:41]
	s_waitcnt vmcnt(3)
	v_fmac_f64_e32 v[18:19], v[46:47], v[24:25]
	v_fmac_f64_e32 v[12:13], v[48:49], v[24:25]
	v_fma_f64 v[18:19], -v[48:49], v[26:27], v[18:19]
	v_fmac_f64_e32 v[12:13], v[46:47], v[26:27]
	s_waitcnt vmcnt(2)
	v_fmac_f64_e32 v[16:17], v[50:51], v[24:25]
	;; [unrolled: 5-line block ×3, first 2 shown]
	v_fmac_f64_e32 v[12:13], v[56:57], v[58:59]
	v_fmac_f64_e32 v[16:17], v[42:43], v[58:59]
	;; [unrolled: 1-line block ×3, first 2 shown]
	v_fma_f64 v[18:19], -v[56:57], v[60:61], v[18:19]
	v_fmac_f64_e32 v[12:13], v[54:55], v[60:61]
	v_fma_f64 v[16:17], -v[44:45], v[60:61], v[16:17]
	v_fmac_f64_e32 v[10:11], v[42:43], v[60:61]
	s_andn2_b64 exec, exec, s[0:1]
	s_cbranch_execnz .LBB255_17
; %bb.18:
	s_or_b64 exec, exec, s[0:1]
.LBB255_19:
	s_or_b64 exec, exec, s[4:5]
.LBB255_20:
	v_mov_b32_dpp v22, v16 row_shr:1 row_mask:0xf bank_mask:0xf
	v_mov_b32_dpp v23, v17 row_shr:1 row_mask:0xf bank_mask:0xf
	v_add_f64 v[16:17], v[16:17], v[22:23]
	v_mov_b32_dpp v14, v18 row_shr:1 row_mask:0xf bank_mask:0xf
	v_mov_b32_dpp v15, v19 row_shr:1 row_mask:0xf bank_mask:0xf
	v_mov_b32_dpp v22, v16 row_shr:2 row_mask:0xf bank_mask:0xf
	v_mov_b32_dpp v23, v17 row_shr:2 row_mask:0xf bank_mask:0xf
	v_add_f64 v[16:17], v[16:17], v[22:23]
	v_mov_b32_dpp v20, v12 row_shr:1 row_mask:0xf bank_mask:0xf
	v_mov_b32_dpp v21, v13 row_shr:1 row_mask:0xf bank_mask:0xf
	v_mov_b32_dpp v22, v16 row_shr:4 row_mask:0xf bank_mask:0xe
	v_mov_b32_dpp v23, v17 row_shr:4 row_mask:0xf bank_mask:0xe
	v_add_f64 v[22:23], v[16:17], v[22:23]
	v_mov_b32_dpp v16, v10 row_shr:1 row_mask:0xf bank_mask:0xf
	v_mov_b32_dpp v17, v11 row_shr:1 row_mask:0xf bank_mask:0xf
	v_add_f64 v[14:15], v[18:19], v[14:15]
	v_add_f64 v[12:13], v[12:13], v[20:21]
	v_add_f64 v[10:11], v[10:11], v[16:17]
	v_mov_b32_dpp v18, v14 row_shr:2 row_mask:0xf bank_mask:0xf
	v_mov_b32_dpp v19, v15 row_shr:2 row_mask:0xf bank_mask:0xf
	v_mov_b32_dpp v20, v12 row_shr:2 row_mask:0xf bank_mask:0xf
	v_mov_b32_dpp v21, v13 row_shr:2 row_mask:0xf bank_mask:0xf
	v_mov_b32_dpp v16, v10 row_shr:2 row_mask:0xf bank_mask:0xf
	v_mov_b32_dpp v17, v11 row_shr:2 row_mask:0xf bank_mask:0xf
	v_add_f64 v[14:15], v[14:15], v[18:19]
	v_add_f64 v[12:13], v[12:13], v[20:21]
	v_add_f64 v[10:11], v[10:11], v[16:17]
	v_mov_b32_dpp v18, v14 row_shr:4 row_mask:0xf bank_mask:0xe
	v_mov_b32_dpp v19, v15 row_shr:4 row_mask:0xf bank_mask:0xe
	v_mov_b32_dpp v20, v12 row_shr:4 row_mask:0xf bank_mask:0xe
	v_mov_b32_dpp v21, v13 row_shr:4 row_mask:0xf bank_mask:0xe
	v_mov_b32_dpp v16, v10 row_shr:4 row_mask:0xf bank_mask:0xe
	v_mov_b32_dpp v17, v11 row_shr:4 row_mask:0xf bank_mask:0xe
	;; [unrolled: 9-line block ×3, first 2 shown]
	v_mov_b32_dpp v28, v26 row_shr:8 row_mask:0xf bank_mask:0xc
	v_mov_b32_dpp v29, v27 row_shr:8 row_mask:0xf bank_mask:0xc
	v_cmp_eq_u32_e32 vcc, 15, v9
	s_and_b64 exec, exec, vcc
	s_cbranch_execz .LBB255_25
; %bb.21:
	s_load_dwordx2 s[2:3], s[2:3], 0x48
	v_cmp_eq_f64_e32 vcc, 0, v[4:5]
	v_cmp_eq_f64_e64 s[0:1], 0, v[6:7]
	v_add_f64 v[14:15], v[14:15], v[18:19]
	v_add_f64 v[16:17], v[12:13], v[20:21]
	;; [unrolled: 1-line block ×4, first 2 shown]
	s_and_b64 s[0:1], vcc, s[0:1]
	s_and_saveexec_b64 s[4:5], s[0:1]
	s_xor_b64 s[0:1], exec, s[4:5]
	s_cbranch_execz .LBB255_23
; %bb.22:
	v_lshlrev_b32_e32 v8, 1, v8
	v_mul_f64 v[4:5], v[16:17], -v[2:3]
	v_mul_f64 v[6:7], v[0:1], v[16:17]
	v_ashrrev_i32_e32 v9, 31, v8
	v_fmac_f64_e32 v[4:5], v[0:1], v[14:15]
	v_fmac_f64_e32 v[6:7], v[2:3], v[14:15]
	s_waitcnt lgkmcnt(0)
	v_lshl_add_u64 v[8:9], v[8:9], 4, s[2:3]
	global_store_dwordx4 v[8:9], v[4:7], off
                                        ; implicit-def: $vgpr14_vgpr15
                                        ; implicit-def: $vgpr16_vgpr17
	s_nop 1
	v_mul_f64 v[4:5], v[12:13], -v[2:3]
	v_mul_f64 v[6:7], v[0:1], v[12:13]
	v_fmac_f64_e32 v[4:5], v[0:1], v[10:11]
	v_fmac_f64_e32 v[6:7], v[2:3], v[10:11]
	global_store_dwordx4 v[8:9], v[4:7], off offset:16
                                        ; implicit-def: $vgpr0_vgpr1
                                        ; implicit-def: $vgpr2_vgpr3
                                        ; implicit-def: $vgpr4_vgpr5
                                        ; implicit-def: $vgpr6_vgpr7
                                        ; implicit-def: $vgpr8
                                        ; implicit-def: $vgpr10_vgpr11
                                        ; implicit-def: $vgpr12_vgpr13
.LBB255_23:
	s_andn2_saveexec_b64 s[0:1], s[0:1]
	s_cbranch_execz .LBB255_25
; %bb.24:
	v_lshlrev_b32_e32 v8, 1, v8
	v_ashrrev_i32_e32 v9, 31, v8
	s_waitcnt lgkmcnt(0)
	v_lshl_add_u64 v[26:27], v[8:9], 4, s[2:3]
	global_load_dwordx4 v[18:21], v[26:27], off
	global_load_dwordx4 v[22:25], v[26:27], off offset:16
	v_mul_f64 v[28:29], v[16:17], -v[2:3]
	v_mul_f64 v[16:17], v[0:1], v[16:17]
	v_mul_f64 v[30:31], v[12:13], -v[2:3]
	v_mul_f64 v[8:9], v[0:1], v[12:13]
	v_fmac_f64_e32 v[28:29], v[0:1], v[14:15]
	v_fmac_f64_e32 v[16:17], v[2:3], v[14:15]
	;; [unrolled: 1-line block ×4, first 2 shown]
	s_waitcnt vmcnt(1)
	v_fmac_f64_e32 v[28:29], v[4:5], v[18:19]
	v_fmac_f64_e32 v[16:17], v[6:7], v[18:19]
	s_waitcnt vmcnt(0)
	v_fmac_f64_e32 v[30:31], v[4:5], v[22:23]
	v_fmac_f64_e32 v[8:9], v[6:7], v[22:23]
	v_fma_f64 v[14:15], -v[6:7], v[20:21], v[28:29]
	v_fmac_f64_e32 v[16:17], v[4:5], v[20:21]
	v_fma_f64 v[6:7], -v[6:7], v[24:25], v[30:31]
	v_fmac_f64_e32 v[8:9], v[4:5], v[24:25]
	global_store_dwordx4 v[26:27], v[14:17], off
	global_store_dwordx4 v[26:27], v[6:9], off offset:16
.LBB255_25:
	s_endpgm
	.section	.rodata,"a",@progbits
	.p2align	6, 0x0
	.amdhsa_kernel _ZN9rocsparseL19gebsrmvn_2xn_kernelILj128ELj7ELj16E21rocsparse_complex_numIdEEEvi20rocsparse_direction_NS_24const_host_device_scalarIT2_EEPKiS8_PKS5_SA_S6_PS5_21rocsparse_index_base_b
		.amdhsa_group_segment_fixed_size 2048
		.amdhsa_private_segment_fixed_size 0
		.amdhsa_kernarg_size 88
		.amdhsa_user_sgpr_count 4
		.amdhsa_user_sgpr_dispatch_ptr 1
		.amdhsa_user_sgpr_queue_ptr 0
		.amdhsa_user_sgpr_kernarg_segment_ptr 1
		.amdhsa_user_sgpr_dispatch_id 0
		.amdhsa_user_sgpr_kernarg_preload_length 0
		.amdhsa_user_sgpr_kernarg_preload_offset 0
		.amdhsa_user_sgpr_private_segment_size 0
		.amdhsa_uses_dynamic_stack 0
		.amdhsa_enable_private_segment 0
		.amdhsa_system_sgpr_workgroup_id_x 1
		.amdhsa_system_sgpr_workgroup_id_y 0
		.amdhsa_system_sgpr_workgroup_id_z 0
		.amdhsa_system_sgpr_workgroup_info 0
		.amdhsa_system_vgpr_workitem_id 2
		.amdhsa_next_free_vgpr 90
		.amdhsa_next_free_sgpr 20
		.amdhsa_accum_offset 92
		.amdhsa_reserve_vcc 1
		.amdhsa_float_round_mode_32 0
		.amdhsa_float_round_mode_16_64 0
		.amdhsa_float_denorm_mode_32 3
		.amdhsa_float_denorm_mode_16_64 3
		.amdhsa_dx10_clamp 1
		.amdhsa_ieee_mode 1
		.amdhsa_fp16_overflow 0
		.amdhsa_tg_split 0
		.amdhsa_exception_fp_ieee_invalid_op 0
		.amdhsa_exception_fp_denorm_src 0
		.amdhsa_exception_fp_ieee_div_zero 0
		.amdhsa_exception_fp_ieee_overflow 0
		.amdhsa_exception_fp_ieee_underflow 0
		.amdhsa_exception_fp_ieee_inexact 0
		.amdhsa_exception_int_div_zero 0
	.end_amdhsa_kernel
	.section	.text._ZN9rocsparseL19gebsrmvn_2xn_kernelILj128ELj7ELj16E21rocsparse_complex_numIdEEEvi20rocsparse_direction_NS_24const_host_device_scalarIT2_EEPKiS8_PKS5_SA_S6_PS5_21rocsparse_index_base_b,"axG",@progbits,_ZN9rocsparseL19gebsrmvn_2xn_kernelILj128ELj7ELj16E21rocsparse_complex_numIdEEEvi20rocsparse_direction_NS_24const_host_device_scalarIT2_EEPKiS8_PKS5_SA_S6_PS5_21rocsparse_index_base_b,comdat
.Lfunc_end255:
	.size	_ZN9rocsparseL19gebsrmvn_2xn_kernelILj128ELj7ELj16E21rocsparse_complex_numIdEEEvi20rocsparse_direction_NS_24const_host_device_scalarIT2_EEPKiS8_PKS5_SA_S6_PS5_21rocsparse_index_base_b, .Lfunc_end255-_ZN9rocsparseL19gebsrmvn_2xn_kernelILj128ELj7ELj16E21rocsparse_complex_numIdEEEvi20rocsparse_direction_NS_24const_host_device_scalarIT2_EEPKiS8_PKS5_SA_S6_PS5_21rocsparse_index_base_b
                                        ; -- End function
	.section	.AMDGPU.csdata,"",@progbits
; Kernel info:
; codeLenInByte = 2736
; NumSgprs: 26
; NumVgprs: 90
; NumAgprs: 0
; TotalNumVgprs: 90
; ScratchSize: 0
; MemoryBound: 0
; FloatMode: 240
; IeeeMode: 1
; LDSByteSize: 2048 bytes/workgroup (compile time only)
; SGPRBlocks: 3
; VGPRBlocks: 11
; NumSGPRsForWavesPerEU: 26
; NumVGPRsForWavesPerEU: 90
; AccumOffset: 92
; Occupancy: 5
; WaveLimiterHint : 1
; COMPUTE_PGM_RSRC2:SCRATCH_EN: 0
; COMPUTE_PGM_RSRC2:USER_SGPR: 4
; COMPUTE_PGM_RSRC2:TRAP_HANDLER: 0
; COMPUTE_PGM_RSRC2:TGID_X_EN: 1
; COMPUTE_PGM_RSRC2:TGID_Y_EN: 0
; COMPUTE_PGM_RSRC2:TGID_Z_EN: 0
; COMPUTE_PGM_RSRC2:TIDIG_COMP_CNT: 2
; COMPUTE_PGM_RSRC3_GFX90A:ACCUM_OFFSET: 22
; COMPUTE_PGM_RSRC3_GFX90A:TG_SPLIT: 0
	.section	.text._ZN9rocsparseL19gebsrmvn_2xn_kernelILj128ELj7ELj32E21rocsparse_complex_numIdEEEvi20rocsparse_direction_NS_24const_host_device_scalarIT2_EEPKiS8_PKS5_SA_S6_PS5_21rocsparse_index_base_b,"axG",@progbits,_ZN9rocsparseL19gebsrmvn_2xn_kernelILj128ELj7ELj32E21rocsparse_complex_numIdEEEvi20rocsparse_direction_NS_24const_host_device_scalarIT2_EEPKiS8_PKS5_SA_S6_PS5_21rocsparse_index_base_b,comdat
	.globl	_ZN9rocsparseL19gebsrmvn_2xn_kernelILj128ELj7ELj32E21rocsparse_complex_numIdEEEvi20rocsparse_direction_NS_24const_host_device_scalarIT2_EEPKiS8_PKS5_SA_S6_PS5_21rocsparse_index_base_b ; -- Begin function _ZN9rocsparseL19gebsrmvn_2xn_kernelILj128ELj7ELj32E21rocsparse_complex_numIdEEEvi20rocsparse_direction_NS_24const_host_device_scalarIT2_EEPKiS8_PKS5_SA_S6_PS5_21rocsparse_index_base_b
	.p2align	8
	.type	_ZN9rocsparseL19gebsrmvn_2xn_kernelILj128ELj7ELj32E21rocsparse_complex_numIdEEEvi20rocsparse_direction_NS_24const_host_device_scalarIT2_EEPKiS8_PKS5_SA_S6_PS5_21rocsparse_index_base_b,@function
_ZN9rocsparseL19gebsrmvn_2xn_kernelILj128ELj7ELj32E21rocsparse_complex_numIdEEEvi20rocsparse_direction_NS_24const_host_device_scalarIT2_EEPKiS8_PKS5_SA_S6_PS5_21rocsparse_index_base_b: ; @_ZN9rocsparseL19gebsrmvn_2xn_kernelILj128ELj7ELj32E21rocsparse_complex_numIdEEEvi20rocsparse_direction_NS_24const_host_device_scalarIT2_EEPKiS8_PKS5_SA_S6_PS5_21rocsparse_index_base_b
; %bb.0:
	s_load_dwordx2 s[16:17], s[2:3], 0x50
	s_load_dwordx4 s[12:15], s[2:3], 0x8
	s_load_dwordx4 s[8:11], s[2:3], 0x38
	s_load_dwordx2 s[18:19], s[0:1], 0x4
	s_mov_b64 s[6:7], src_shared_base
	s_waitcnt lgkmcnt(0)
	s_bitcmp1_b32 s17, 0
	s_cselect_b64 s[0:1], -1, 0
	s_and_b64 vcc, s[0:1], exec
	s_cselect_b32 s5, s7, s13
	s_lshr_b32 s6, s18, 16
	v_bfe_u32 v1, v0, 10, 10
	v_and_b32_e32 v10, 0x3ff, v0
	s_mul_i32 s6, s6, s19
	v_mul_u32_u24_e32 v1, s19, v1
	v_mad_u32_u24 v1, s6, v10, v1
	v_bfe_u32 v0, v0, 20, 10
	v_add_lshl_u32 v4, v1, v0, 3
	v_mov_b32_e32 v5, s12
	v_add_u32_e32 v6, 0x400, v4
	v_mov_b64_e32 v[0:1], s[12:13]
	v_mov_b64_e32 v[2:3], s[8:9]
	ds_write2st64_b64 v4, v[2:3], v[0:1] offset1:2
	v_cndmask_b32_e64 v0, v5, v6, s[0:1]
	v_mov_b32_e32 v1, s5
	flat_load_dwordx2 v[0:1], v[0:1]
	s_xor_b64 s[18:19], s[0:1], -1
	v_mov_b64_e32 v[2:3], s[14:15]
	s_cbranch_vccnz .LBB256_2
; %bb.1:
	v_mov_b64_e32 v[2:3], s[12:13]
	flat_load_dwordx2 v[2:3], v[2:3] offset:8
.LBB256_2:
	s_and_b64 s[12:13], s[0:1], exec
	s_cselect_b32 s5, s7, s9
	v_mov_b32_e32 v5, s8
	v_cndmask_b32_e64 v4, v5, v4, s[0:1]
	v_mov_b32_e32 v5, s5
	flat_load_dwordx2 v[4:5], v[4:5]
	s_andn2_b64 vcc, exec, s[18:19]
	v_mov_b64_e32 v[6:7], s[10:11]
	s_cbranch_vccnz .LBB256_4
; %bb.3:
	v_mov_b64_e32 v[6:7], s[8:9]
	flat_load_dwordx2 v[6:7], v[6:7] offset:8
.LBB256_4:
	s_waitcnt vmcnt(0) lgkmcnt(0)
	v_cmp_eq_f64_e32 vcc, 0, v[0:1]
	v_cmp_eq_f64_e64 s[0:1], 0, v[2:3]
	s_and_b64 s[8:9], vcc, s[0:1]
	s_mov_b64 s[0:1], -1
	s_and_saveexec_b64 s[6:7], s[8:9]
; %bb.5:
	v_cmp_neq_f64_e32 vcc, 1.0, v[4:5]
	v_cmp_neq_f64_e64 s[0:1], 0, v[6:7]
	s_or_b64 s[0:1], vcc, s[0:1]
	s_orn2_b64 s[0:1], s[0:1], exec
; %bb.6:
	s_or_b64 exec, exec, s[6:7]
	s_and_saveexec_b64 s[6:7], s[0:1]
	s_cbranch_execz .LBB256_25
; %bb.7:
	s_load_dwordx2 s[0:1], s[2:3], 0x0
	v_lshrrev_b32_e32 v8, 5, v10
	v_lshl_or_b32 v8, s4, 2, v8
	s_waitcnt lgkmcnt(0)
	v_cmp_gt_i32_e32 vcc, s0, v8
	s_and_b64 exec, exec, vcc
	s_cbranch_execz .LBB256_25
; %bb.8:
	s_load_dwordx8 s[4:11], s[2:3], 0x18
	v_ashrrev_i32_e32 v9, 31, v8
	s_cmp_lg_u32 s1, 0
	s_waitcnt lgkmcnt(0)
	v_lshl_add_u64 v[12:13], v[8:9], 2, s[4:5]
	global_load_dwordx2 v[12:13], v[12:13], off
	v_and_b32_e32 v9, 31, v10
	s_waitcnt vmcnt(0)
	v_subrev_u32_e32 v10, s16, v12
	v_subrev_u32_e32 v28, s16, v13
	v_add_u32_e32 v14, v10, v9
	v_cmp_lt_i32_e64 s[0:1], v14, v28
	s_cbranch_scc0 .LBB256_14
; %bb.9:
	v_mov_b64_e32 v[12:13], 0
	s_mov_b64 s[4:5], 0
	v_mov_b64_e32 v[18:19], v[12:13]
	v_mov_b64_e32 v[16:17], v[12:13]
	;; [unrolled: 1-line block ×3, first 2 shown]
	s_and_saveexec_b64 s[12:13], s[0:1]
	s_cbranch_execz .LBB256_13
; %bb.10:
	v_mad_u64_u32 v[20:21], s[14:15], v14, 14, 12
	v_mov_b64_e32 v[12:13], 0
	s_mov_b64 s[14:15], 0
	v_mov_b32_e32 v23, 0
	v_mov_b32_e32 v24, v14
	v_mov_b64_e32 v[18:19], v[12:13]
	v_mov_b64_e32 v[16:17], v[12:13]
	;; [unrolled: 1-line block ×3, first 2 shown]
.LBB256_11:                             ; =>This Inner Loop Header: Depth=1
	v_ashrrev_i32_e32 v25, 31, v24
	v_add_u32_e32 v22, -12, v20
	v_lshl_add_u64 v[38:39], v[24:25], 2, s[6:7]
	v_lshl_add_u64 v[40:41], v[22:23], 4, s[8:9]
	global_load_dword v15, v[38:39], off
	global_load_dwordx4 v[30:33], v[40:41], off offset:16
	global_load_dwordx4 v[34:37], v[40:41], off
	v_mov_b32_e32 v21, v23
	v_mov_b32_e32 v27, v23
	v_add_u32_e32 v22, -10, v20
	v_lshl_add_u64 v[54:55], v[20:21], 4, s[8:9]
	v_lshl_add_u64 v[56:57], v[22:23], 4, s[8:9]
	global_load_dwordx4 v[38:41], v[54:55], off offset:16
	global_load_dwordx4 v[42:45], v[54:55], off
	global_load_dwordx4 v[46:49], v[56:57], off offset:16
	global_load_dwordx4 v[50:53], v[56:57], off
	v_add_u32_e32 v24, 32, v24
	v_cmp_ge_i32_e32 vcc, v24, v28
	s_or_b64 s[14:15], vcc, s[14:15]
	s_waitcnt vmcnt(6)
	v_subrev_u32_e32 v15, s16, v15
	v_mul_lo_u32 v26, v15, 7
	v_lshl_add_u64 v[54:55], v[26:27], 4, s[10:11]
	v_add_u32_e32 v22, 1, v26
	global_load_dwordx4 v[54:57], v[54:55], off
	v_lshl_add_u64 v[58:59], v[22:23], 4, s[10:11]
	global_load_dwordx4 v[58:61], v[58:59], off
	v_add_u32_e32 v22, -8, v20
	v_lshl_add_u64 v[70:71], v[22:23], 4, s[8:9]
	v_add_u32_e32 v22, 2, v26
	global_load_dwordx4 v[62:65], v[70:71], off offset:16
	global_load_dwordx4 v[66:69], v[70:71], off
	v_lshl_add_u64 v[70:71], v[22:23], 4, s[10:11]
	v_add_u32_e32 v22, -6, v20
	global_load_dwordx4 v[70:73], v[70:71], off
	v_lshl_add_u64 v[82:83], v[22:23], 4, s[8:9]
	v_add_u32_e32 v22, 3, v26
	global_load_dwordx4 v[74:77], v[82:83], off offset:16
	global_load_dwordx4 v[78:81], v[82:83], off
	v_lshl_add_u64 v[82:83], v[22:23], 4, s[10:11]
	v_add_u32_e32 v22, -4, v20
	global_load_dwordx4 v[82:85], v[82:83], off
	v_lshl_add_u64 v[86:87], v[22:23], 4, s[8:9]
	v_add_u32_e32 v22, 4, v26
	s_waitcnt vmcnt(7)
	v_fmac_f64_e32 v[18:19], v[34:35], v[54:55]
	v_fmac_f64_e32 v[16:17], v[30:31], v[54:55]
	;; [unrolled: 1-line block ×4, first 2 shown]
	v_fma_f64 v[88:89], -v[36:37], v[56:57], v[18:19]
	v_fma_f64 v[54:55], -v[32:33], v[56:57], v[16:17]
	v_fmac_f64_e32 v[10:11], v[30:31], v[56:57]
	v_lshl_add_u64 v[30:31], v[22:23], 4, s[10:11]
	v_add_u32_e32 v22, -2, v20
	v_fmac_f64_e32 v[12:13], v[34:35], v[56:57]
	global_load_dwordx4 v[34:37], v[86:87], off offset:16
	global_load_dwordx4 v[16:19], v[86:87], off
	v_lshl_add_u64 v[56:57], v[22:23], 4, s[8:9]
	global_load_dwordx4 v[30:33], v[30:31], off
	v_add_u32_e32 v22, 5, v26
	s_waitcnt vmcnt(9)
	v_fmac_f64_e32 v[88:89], v[50:51], v[58:59]
	v_fmac_f64_e32 v[54:55], v[46:47], v[58:59]
	;; [unrolled: 1-line block ×3, first 2 shown]
	v_fma_f64 v[86:87], -v[52:53], v[60:61], v[88:89]
	v_fmac_f64_e32 v[10:11], v[48:49], v[58:59]
	v_fma_f64 v[88:89], -v[48:49], v[60:61], v[54:55]
	v_lshl_add_u64 v[54:55], v[22:23], 4, s[10:11]
	v_fmac_f64_e32 v[12:13], v[50:51], v[60:61]
	global_load_dwordx4 v[50:53], v[56:57], off offset:16
	v_fmac_f64_e32 v[10:11], v[46:47], v[60:61]
	global_load_dwordx4 v[46:49], v[56:57], off
	v_add_u32_e32 v22, 6, v26
	global_load_dwordx4 v[54:57], v[54:55], off
	v_lshl_add_u64 v[26:27], v[22:23], 4, s[10:11]
	global_load_dwordx4 v[58:61], v[26:27], off
	s_waitcnt vmcnt(10)
	v_fmac_f64_e32 v[86:87], v[66:67], v[70:71]
	v_fmac_f64_e32 v[12:13], v[68:69], v[70:71]
	;; [unrolled: 1-line block ×4, first 2 shown]
	v_fma_f64 v[26:27], -v[68:69], v[72:73], v[86:87]
	v_fmac_f64_e32 v[12:13], v[66:67], v[72:73]
	v_fma_f64 v[64:65], -v[64:65], v[72:73], v[88:89]
	v_fmac_f64_e32 v[10:11], v[62:63], v[72:73]
	s_waitcnt vmcnt(7)
	v_fmac_f64_e32 v[26:27], v[78:79], v[82:83]
	v_fmac_f64_e32 v[12:13], v[80:81], v[82:83]
	;; [unrolled: 1-line block ×4, first 2 shown]
	v_fma_f64 v[26:27], -v[80:81], v[84:85], v[26:27]
	v_fmac_f64_e32 v[12:13], v[78:79], v[84:85]
	v_fma_f64 v[62:63], -v[76:77], v[84:85], v[64:65]
	v_fmac_f64_e32 v[10:11], v[74:75], v[84:85]
	v_add_u32_e32 v20, 0x1c0, v20
	s_waitcnt vmcnt(4)
	v_fmac_f64_e32 v[26:27], v[16:17], v[30:31]
	v_fmac_f64_e32 v[12:13], v[18:19], v[30:31]
	v_fmac_f64_e32 v[62:63], v[34:35], v[30:31]
	v_fmac_f64_e32 v[10:11], v[36:37], v[30:31]
	v_fma_f64 v[18:19], -v[18:19], v[32:33], v[26:27]
	v_fmac_f64_e32 v[12:13], v[16:17], v[32:33]
	v_fma_f64 v[16:17], -v[36:37], v[32:33], v[62:63]
	v_fmac_f64_e32 v[10:11], v[34:35], v[32:33]
	s_waitcnt vmcnt(1)
	v_fmac_f64_e32 v[18:19], v[46:47], v[54:55]
	v_fmac_f64_e32 v[12:13], v[48:49], v[54:55]
	v_fmac_f64_e32 v[16:17], v[50:51], v[54:55]
	v_fmac_f64_e32 v[10:11], v[52:53], v[54:55]
	v_fma_f64 v[18:19], -v[48:49], v[56:57], v[18:19]
	v_fmac_f64_e32 v[12:13], v[46:47], v[56:57]
	v_fma_f64 v[16:17], -v[52:53], v[56:57], v[16:17]
	v_fmac_f64_e32 v[10:11], v[50:51], v[56:57]
	;; [unrolled: 9-line block ×3, first 2 shown]
	s_andn2_b64 exec, exec, s[14:15]
	s_cbranch_execnz .LBB256_11
; %bb.12:
	s_or_b64 exec, exec, s[14:15]
.LBB256_13:
	s_or_b64 exec, exec, s[12:13]
	s_andn2_b64 vcc, exec, s[4:5]
	s_cbranch_vccz .LBB256_15
	s_branch .LBB256_20
.LBB256_14:
                                        ; implicit-def: $vgpr12_vgpr13
                                        ; implicit-def: $vgpr18_vgpr19
                                        ; implicit-def: $vgpr16_vgpr17
                                        ; implicit-def: $vgpr10_vgpr11
.LBB256_15:
	v_mov_b64_e32 v[12:13], 0
	v_mov_b64_e32 v[18:19], v[12:13]
	;; [unrolled: 1-line block ×4, first 2 shown]
	s_and_saveexec_b64 s[4:5], s[0:1]
	s_cbranch_execz .LBB256_19
; %bb.16:
	v_mad_u64_u32 v[20:21], s[0:1], v14, 14, 13
	v_mov_b64_e32 v[12:13], 0
	s_mov_b64 s[0:1], 0
	v_mov_b32_e32 v23, 0
	v_mov_b64_e32 v[18:19], v[12:13]
	v_mov_b64_e32 v[16:17], v[12:13]
	;; [unrolled: 1-line block ×3, first 2 shown]
.LBB256_17:                             ; =>This Inner Loop Header: Depth=1
	v_ashrrev_i32_e32 v15, 31, v14
	v_add_u32_e32 v22, -13, v20
	v_add_u32_e32 v26, -6, v20
	v_mov_b32_e32 v27, v23
	v_mov_b32_e32 v21, v23
	v_lshl_add_u64 v[46:47], v[14:15], 2, s[6:7]
	v_lshl_add_u64 v[48:49], v[22:23], 4, s[8:9]
	;; [unrolled: 1-line block ×4, first 2 shown]
	global_load_dword v15, v[46:47], off
	global_load_dwordx4 v[30:33], v[48:49], off offset:16
	global_load_dwordx4 v[34:37], v[48:49], off
	global_load_dwordx4 v[38:41], v[26:27], off
	;; [unrolled: 1-line block ×3, first 2 shown]
	v_mov_b32_e32 v25, v23
	v_add_u32_e32 v14, 32, v14
	v_cmp_ge_i32_e32 vcc, v14, v28
	s_or_b64 s[0:1], vcc, s[0:1]
	s_waitcnt vmcnt(4)
	v_subrev_u32_e32 v15, s16, v15
	v_mul_lo_u32 v24, v15, 7
	v_lshl_add_u64 v[26:27], v[24:25], 4, s[10:11]
	global_load_dwordx4 v[46:49], v[26:27], off
	v_add_u32_e32 v22, 1, v24
	v_lshl_add_u64 v[26:27], v[22:23], 4, s[10:11]
	v_add_u32_e32 v22, -5, v20
	global_load_dwordx4 v[50:53], v[26:27], off
	v_lshl_add_u64 v[26:27], v[22:23], 4, s[8:9]
	v_add_u32_e32 v22, -11, v20
	global_load_dwordx4 v[54:57], v[26:27], off
	v_lshl_add_u64 v[26:27], v[22:23], 4, s[8:9]
	v_add_u32_e32 v22, 2, v24
	global_load_dwordx4 v[58:61], v[26:27], off
	v_lshl_add_u64 v[26:27], v[22:23], 4, s[10:11]
	global_load_dwordx4 v[62:65], v[26:27], off
	v_add_u32_e32 v22, -4, v20
	v_lshl_add_u64 v[26:27], v[22:23], 4, s[8:9]
	v_add_u32_e32 v22, -10, v20
	global_load_dwordx4 v[66:69], v[26:27], off
	v_lshl_add_u64 v[26:27], v[22:23], 4, s[8:9]
	v_add_u32_e32 v22, 3, v24
	global_load_dwordx4 v[70:73], v[26:27], off
	v_lshl_add_u64 v[26:27], v[22:23], 4, s[10:11]
	v_add_u32_e32 v22, -3, v20
	global_load_dwordx4 v[74:77], v[26:27], off
	v_lshl_add_u64 v[26:27], v[22:23], 4, s[8:9]
	v_add_u32_e32 v22, -9, v20
	s_waitcnt vmcnt(7)
	v_fmac_f64_e32 v[18:19], v[34:35], v[46:47]
	v_fmac_f64_e32 v[12:13], v[36:37], v[46:47]
	v_fma_f64 v[78:79], -v[36:37], v[48:49], v[18:19]
	v_lshl_add_u64 v[18:19], v[22:23], 4, s[8:9]
	v_add_u32_e32 v22, 4, v24
	v_fmac_f64_e32 v[10:11], v[40:41], v[46:47]
	v_fmac_f64_e32 v[12:13], v[34:35], v[48:49]
	;; [unrolled: 1-line block ×4, first 2 shown]
	v_lshl_add_u64 v[38:39], v[22:23], 4, s[10:11]
	v_add_u32_e32 v22, -2, v20
	v_lshl_add_u64 v[46:47], v[22:23], 4, s[8:9]
	s_waitcnt vmcnt(6)
	v_fmac_f64_e32 v[78:79], v[30:31], v[50:51]
	v_fmac_f64_e32 v[12:13], v[32:33], v[50:51]
	global_load_dwordx4 v[34:37], v[26:27], off
	v_add_u32_e32 v22, -8, v20
	v_fma_f64 v[78:79], -v[32:33], v[52:53], v[78:79]
	v_fmac_f64_e32 v[12:13], v[30:31], v[52:53]
	global_load_dwordx4 v[30:33], v[46:47], off
	v_fma_f64 v[26:27], -v[40:41], v[48:49], v[16:17]
	v_lshl_add_u64 v[48:49], v[22:23], 4, s[8:9]
	v_add_u32_e32 v22, 5, v24
	s_waitcnt vmcnt(7)
	v_fmac_f64_e32 v[26:27], v[54:55], v[50:51]
	global_load_dwordx4 v[16:19], v[18:19], off
	v_fma_f64 v[80:81], -v[56:57], v[52:53], v[26:27]
	global_load_dwordx4 v[38:41], v[38:39], off
	v_lshl_add_u64 v[26:27], v[22:23], 4, s[10:11]
	v_add_u32_e32 v22, -1, v20
	v_lshl_add_u64 v[82:83], v[22:23], 4, s[8:9]
	v_add_u32_e32 v22, -7, v20
	v_fmac_f64_e32 v[10:11], v[56:57], v[50:51]
	global_load_dwordx4 v[46:49], v[48:49], off
	v_lshl_add_u64 v[84:85], v[22:23], 4, s[8:9]
	v_add_u32_e32 v22, 6, v24
	global_load_dwordx4 v[24:27], v[26:27], off
	s_waitcnt vmcnt(9)
	v_fmac_f64_e32 v[12:13], v[60:61], v[62:63]
	v_fmac_f64_e32 v[10:11], v[54:55], v[52:53]
	;; [unrolled: 1-line block ×4, first 2 shown]
	global_load_dwordx4 v[50:53], v[82:83], off
	global_load_dwordx4 v[54:57], v[84:85], off
	v_lshl_add_u64 v[58:59], v[22:23], 4, s[10:11]
	v_fma_f64 v[78:79], -v[60:61], v[64:65], v[78:79]
	global_load_dwordx4 v[58:61], v[58:59], off
	s_waitcnt vmcnt(11)
	v_fmac_f64_e32 v[80:81], v[66:67], v[62:63]
	v_fmac_f64_e32 v[10:11], v[68:69], v[62:63]
	v_fma_f64 v[62:63], -v[68:69], v[64:65], v[80:81]
	v_fmac_f64_e32 v[10:11], v[66:67], v[64:65]
	s_waitcnt vmcnt(9)
	v_fmac_f64_e32 v[78:79], v[70:71], v[74:75]
	v_fmac_f64_e32 v[12:13], v[72:73], v[74:75]
	v_fma_f64 v[64:65], -v[72:73], v[76:77], v[78:79]
	v_fmac_f64_e32 v[12:13], v[70:71], v[76:77]
	v_add_u32_e32 v20, 0x1c0, v20
	s_waitcnt vmcnt(8)
	v_fmac_f64_e32 v[62:63], v[34:35], v[74:75]
	v_fmac_f64_e32 v[10:11], v[36:37], v[74:75]
	v_fma_f64 v[36:37], -v[36:37], v[76:77], v[62:63]
	v_fmac_f64_e32 v[10:11], v[34:35], v[76:77]
	s_waitcnt vmcnt(5)
	v_fmac_f64_e32 v[64:65], v[16:17], v[38:39]
	v_fmac_f64_e32 v[12:13], v[18:19], v[38:39]
	;; [unrolled: 1-line block ×4, first 2 shown]
	v_fma_f64 v[18:19], -v[18:19], v[40:41], v[64:65]
	v_fmac_f64_e32 v[12:13], v[16:17], v[40:41]
	v_fma_f64 v[16:17], -v[32:33], v[40:41], v[36:37]
	v_fmac_f64_e32 v[10:11], v[30:31], v[40:41]
	s_waitcnt vmcnt(3)
	v_fmac_f64_e32 v[18:19], v[46:47], v[24:25]
	v_fmac_f64_e32 v[12:13], v[48:49], v[24:25]
	v_fma_f64 v[18:19], -v[48:49], v[26:27], v[18:19]
	v_fmac_f64_e32 v[12:13], v[46:47], v[26:27]
	s_waitcnt vmcnt(2)
	v_fmac_f64_e32 v[16:17], v[50:51], v[24:25]
	;; [unrolled: 5-line block ×3, first 2 shown]
	v_fmac_f64_e32 v[12:13], v[56:57], v[58:59]
	v_fmac_f64_e32 v[16:17], v[42:43], v[58:59]
	v_fmac_f64_e32 v[10:11], v[44:45], v[58:59]
	v_fma_f64 v[18:19], -v[56:57], v[60:61], v[18:19]
	v_fmac_f64_e32 v[12:13], v[54:55], v[60:61]
	v_fma_f64 v[16:17], -v[44:45], v[60:61], v[16:17]
	v_fmac_f64_e32 v[10:11], v[42:43], v[60:61]
	s_andn2_b64 exec, exec, s[0:1]
	s_cbranch_execnz .LBB256_17
; %bb.18:
	s_or_b64 exec, exec, s[0:1]
.LBB256_19:
	s_or_b64 exec, exec, s[4:5]
.LBB256_20:
	v_mov_b32_dpp v22, v16 row_shr:1 row_mask:0xf bank_mask:0xf
	v_mov_b32_dpp v23, v17 row_shr:1 row_mask:0xf bank_mask:0xf
	v_add_f64 v[16:17], v[16:17], v[22:23]
	v_mov_b32_dpp v14, v18 row_shr:1 row_mask:0xf bank_mask:0xf
	v_mov_b32_dpp v15, v19 row_shr:1 row_mask:0xf bank_mask:0xf
	;; [unrolled: 1-line block ×4, first 2 shown]
	v_add_f64 v[16:17], v[16:17], v[22:23]
	v_mov_b32_dpp v20, v12 row_shr:1 row_mask:0xf bank_mask:0xf
	v_mov_b32_dpp v21, v13 row_shr:1 row_mask:0xf bank_mask:0xf
	;; [unrolled: 1-line block ×4, first 2 shown]
	v_add_f64 v[16:17], v[16:17], v[22:23]
	v_add_f64 v[14:15], v[18:19], v[14:15]
	;; [unrolled: 1-line block ×3, first 2 shown]
	v_mov_b32_dpp v22, v16 row_shr:8 row_mask:0xf bank_mask:0xc
	v_mov_b32_dpp v23, v17 row_shr:8 row_mask:0xf bank_mask:0xc
	v_add_f64 v[22:23], v[16:17], v[22:23]
	v_mov_b32_dpp v16, v10 row_shr:1 row_mask:0xf bank_mask:0xf
	v_mov_b32_dpp v17, v11 row_shr:1 row_mask:0xf bank_mask:0xf
	v_add_f64 v[10:11], v[10:11], v[16:17]
	v_mov_b32_dpp v18, v14 row_shr:2 row_mask:0xf bank_mask:0xf
	v_mov_b32_dpp v19, v15 row_shr:2 row_mask:0xf bank_mask:0xf
	v_mov_b32_dpp v20, v12 row_shr:2 row_mask:0xf bank_mask:0xf
	v_mov_b32_dpp v21, v13 row_shr:2 row_mask:0xf bank_mask:0xf
	v_mov_b32_dpp v16, v10 row_shr:2 row_mask:0xf bank_mask:0xf
	v_mov_b32_dpp v17, v11 row_shr:2 row_mask:0xf bank_mask:0xf
	v_add_f64 v[14:15], v[14:15], v[18:19]
	v_add_f64 v[12:13], v[12:13], v[20:21]
	v_add_f64 v[10:11], v[10:11], v[16:17]
	v_mov_b32_dpp v18, v14 row_shr:4 row_mask:0xf bank_mask:0xe
	v_mov_b32_dpp v19, v15 row_shr:4 row_mask:0xf bank_mask:0xe
	v_mov_b32_dpp v20, v12 row_shr:4 row_mask:0xf bank_mask:0xe
	v_mov_b32_dpp v21, v13 row_shr:4 row_mask:0xf bank_mask:0xe
	v_mov_b32_dpp v16, v10 row_shr:4 row_mask:0xf bank_mask:0xe
	v_mov_b32_dpp v17, v11 row_shr:4 row_mask:0xf bank_mask:0xe
	v_add_f64 v[14:15], v[14:15], v[18:19]
	v_add_f64 v[12:13], v[12:13], v[20:21]
	;; [unrolled: 9-line block ×3, first 2 shown]
	v_add_f64 v[26:27], v[10:11], v[16:17]
	v_mov_b32_dpp v18, v14 row_bcast:15 row_mask:0xa bank_mask:0xf
	v_mov_b32_dpp v19, v15 row_bcast:15 row_mask:0xa bank_mask:0xf
	;; [unrolled: 1-line block ×8, first 2 shown]
	v_cmp_eq_u32_e32 vcc, 31, v9
	s_and_b64 exec, exec, vcc
	s_cbranch_execz .LBB256_25
; %bb.21:
	s_load_dwordx2 s[2:3], s[2:3], 0x48
	v_cmp_eq_f64_e32 vcc, 0, v[4:5]
	v_cmp_eq_f64_e64 s[0:1], 0, v[6:7]
	v_add_f64 v[14:15], v[14:15], v[18:19]
	v_add_f64 v[16:17], v[12:13], v[20:21]
	;; [unrolled: 1-line block ×4, first 2 shown]
	s_and_b64 s[0:1], vcc, s[0:1]
	s_and_saveexec_b64 s[4:5], s[0:1]
	s_xor_b64 s[0:1], exec, s[4:5]
	s_cbranch_execz .LBB256_23
; %bb.22:
	v_lshlrev_b32_e32 v8, 1, v8
	v_mul_f64 v[4:5], v[16:17], -v[2:3]
	v_mul_f64 v[6:7], v[0:1], v[16:17]
	v_ashrrev_i32_e32 v9, 31, v8
	v_fmac_f64_e32 v[4:5], v[0:1], v[14:15]
	v_fmac_f64_e32 v[6:7], v[2:3], v[14:15]
	s_waitcnt lgkmcnt(0)
	v_lshl_add_u64 v[8:9], v[8:9], 4, s[2:3]
	global_store_dwordx4 v[8:9], v[4:7], off
                                        ; implicit-def: $vgpr14_vgpr15
                                        ; implicit-def: $vgpr16_vgpr17
	s_nop 1
	v_mul_f64 v[4:5], v[12:13], -v[2:3]
	v_mul_f64 v[6:7], v[0:1], v[12:13]
	v_fmac_f64_e32 v[4:5], v[0:1], v[10:11]
	v_fmac_f64_e32 v[6:7], v[2:3], v[10:11]
	global_store_dwordx4 v[8:9], v[4:7], off offset:16
                                        ; implicit-def: $vgpr0_vgpr1
                                        ; implicit-def: $vgpr2_vgpr3
                                        ; implicit-def: $vgpr4_vgpr5
                                        ; implicit-def: $vgpr6_vgpr7
                                        ; implicit-def: $vgpr8
                                        ; implicit-def: $vgpr10_vgpr11
                                        ; implicit-def: $vgpr12_vgpr13
.LBB256_23:
	s_andn2_saveexec_b64 s[0:1], s[0:1]
	s_cbranch_execz .LBB256_25
; %bb.24:
	v_lshlrev_b32_e32 v8, 1, v8
	v_ashrrev_i32_e32 v9, 31, v8
	s_waitcnt lgkmcnt(0)
	v_lshl_add_u64 v[26:27], v[8:9], 4, s[2:3]
	global_load_dwordx4 v[18:21], v[26:27], off
	global_load_dwordx4 v[22:25], v[26:27], off offset:16
	v_mul_f64 v[28:29], v[16:17], -v[2:3]
	v_mul_f64 v[16:17], v[0:1], v[16:17]
	v_mul_f64 v[30:31], v[12:13], -v[2:3]
	v_mul_f64 v[8:9], v[0:1], v[12:13]
	v_fmac_f64_e32 v[28:29], v[0:1], v[14:15]
	v_fmac_f64_e32 v[16:17], v[2:3], v[14:15]
	;; [unrolled: 1-line block ×4, first 2 shown]
	s_waitcnt vmcnt(1)
	v_fmac_f64_e32 v[28:29], v[4:5], v[18:19]
	v_fmac_f64_e32 v[16:17], v[6:7], v[18:19]
	s_waitcnt vmcnt(0)
	v_fmac_f64_e32 v[30:31], v[4:5], v[22:23]
	v_fmac_f64_e32 v[8:9], v[6:7], v[22:23]
	v_fma_f64 v[14:15], -v[6:7], v[20:21], v[28:29]
	v_fmac_f64_e32 v[16:17], v[4:5], v[20:21]
	v_fma_f64 v[6:7], -v[6:7], v[24:25], v[30:31]
	v_fmac_f64_e32 v[8:9], v[4:5], v[24:25]
	global_store_dwordx4 v[26:27], v[14:17], off
	global_store_dwordx4 v[26:27], v[6:9], off offset:16
.LBB256_25:
	s_endpgm
	.section	.rodata,"a",@progbits
	.p2align	6, 0x0
	.amdhsa_kernel _ZN9rocsparseL19gebsrmvn_2xn_kernelILj128ELj7ELj32E21rocsparse_complex_numIdEEEvi20rocsparse_direction_NS_24const_host_device_scalarIT2_EEPKiS8_PKS5_SA_S6_PS5_21rocsparse_index_base_b
		.amdhsa_group_segment_fixed_size 2048
		.amdhsa_private_segment_fixed_size 0
		.amdhsa_kernarg_size 88
		.amdhsa_user_sgpr_count 4
		.amdhsa_user_sgpr_dispatch_ptr 1
		.amdhsa_user_sgpr_queue_ptr 0
		.amdhsa_user_sgpr_kernarg_segment_ptr 1
		.amdhsa_user_sgpr_dispatch_id 0
		.amdhsa_user_sgpr_kernarg_preload_length 0
		.amdhsa_user_sgpr_kernarg_preload_offset 0
		.amdhsa_user_sgpr_private_segment_size 0
		.amdhsa_uses_dynamic_stack 0
		.amdhsa_enable_private_segment 0
		.amdhsa_system_sgpr_workgroup_id_x 1
		.amdhsa_system_sgpr_workgroup_id_y 0
		.amdhsa_system_sgpr_workgroup_id_z 0
		.amdhsa_system_sgpr_workgroup_info 0
		.amdhsa_system_vgpr_workitem_id 2
		.amdhsa_next_free_vgpr 90
		.amdhsa_next_free_sgpr 20
		.amdhsa_accum_offset 92
		.amdhsa_reserve_vcc 1
		.amdhsa_float_round_mode_32 0
		.amdhsa_float_round_mode_16_64 0
		.amdhsa_float_denorm_mode_32 3
		.amdhsa_float_denorm_mode_16_64 3
		.amdhsa_dx10_clamp 1
		.amdhsa_ieee_mode 1
		.amdhsa_fp16_overflow 0
		.amdhsa_tg_split 0
		.amdhsa_exception_fp_ieee_invalid_op 0
		.amdhsa_exception_fp_denorm_src 0
		.amdhsa_exception_fp_ieee_div_zero 0
		.amdhsa_exception_fp_ieee_overflow 0
		.amdhsa_exception_fp_ieee_underflow 0
		.amdhsa_exception_fp_ieee_inexact 0
		.amdhsa_exception_int_div_zero 0
	.end_amdhsa_kernel
	.section	.text._ZN9rocsparseL19gebsrmvn_2xn_kernelILj128ELj7ELj32E21rocsparse_complex_numIdEEEvi20rocsparse_direction_NS_24const_host_device_scalarIT2_EEPKiS8_PKS5_SA_S6_PS5_21rocsparse_index_base_b,"axG",@progbits,_ZN9rocsparseL19gebsrmvn_2xn_kernelILj128ELj7ELj32E21rocsparse_complex_numIdEEEvi20rocsparse_direction_NS_24const_host_device_scalarIT2_EEPKiS8_PKS5_SA_S6_PS5_21rocsparse_index_base_b,comdat
.Lfunc_end256:
	.size	_ZN9rocsparseL19gebsrmvn_2xn_kernelILj128ELj7ELj32E21rocsparse_complex_numIdEEEvi20rocsparse_direction_NS_24const_host_device_scalarIT2_EEPKiS8_PKS5_SA_S6_PS5_21rocsparse_index_base_b, .Lfunc_end256-_ZN9rocsparseL19gebsrmvn_2xn_kernelILj128ELj7ELj32E21rocsparse_complex_numIdEEEvi20rocsparse_direction_NS_24const_host_device_scalarIT2_EEPKiS8_PKS5_SA_S6_PS5_21rocsparse_index_base_b
                                        ; -- End function
	.section	.AMDGPU.csdata,"",@progbits
; Kernel info:
; codeLenInByte = 2832
; NumSgprs: 26
; NumVgprs: 90
; NumAgprs: 0
; TotalNumVgprs: 90
; ScratchSize: 0
; MemoryBound: 0
; FloatMode: 240
; IeeeMode: 1
; LDSByteSize: 2048 bytes/workgroup (compile time only)
; SGPRBlocks: 3
; VGPRBlocks: 11
; NumSGPRsForWavesPerEU: 26
; NumVGPRsForWavesPerEU: 90
; AccumOffset: 92
; Occupancy: 5
; WaveLimiterHint : 1
; COMPUTE_PGM_RSRC2:SCRATCH_EN: 0
; COMPUTE_PGM_RSRC2:USER_SGPR: 4
; COMPUTE_PGM_RSRC2:TRAP_HANDLER: 0
; COMPUTE_PGM_RSRC2:TGID_X_EN: 1
; COMPUTE_PGM_RSRC2:TGID_Y_EN: 0
; COMPUTE_PGM_RSRC2:TGID_Z_EN: 0
; COMPUTE_PGM_RSRC2:TIDIG_COMP_CNT: 2
; COMPUTE_PGM_RSRC3_GFX90A:ACCUM_OFFSET: 22
; COMPUTE_PGM_RSRC3_GFX90A:TG_SPLIT: 0
	.section	.text._ZN9rocsparseL19gebsrmvn_2xn_kernelILj128ELj7ELj64E21rocsparse_complex_numIdEEEvi20rocsparse_direction_NS_24const_host_device_scalarIT2_EEPKiS8_PKS5_SA_S6_PS5_21rocsparse_index_base_b,"axG",@progbits,_ZN9rocsparseL19gebsrmvn_2xn_kernelILj128ELj7ELj64E21rocsparse_complex_numIdEEEvi20rocsparse_direction_NS_24const_host_device_scalarIT2_EEPKiS8_PKS5_SA_S6_PS5_21rocsparse_index_base_b,comdat
	.globl	_ZN9rocsparseL19gebsrmvn_2xn_kernelILj128ELj7ELj64E21rocsparse_complex_numIdEEEvi20rocsparse_direction_NS_24const_host_device_scalarIT2_EEPKiS8_PKS5_SA_S6_PS5_21rocsparse_index_base_b ; -- Begin function _ZN9rocsparseL19gebsrmvn_2xn_kernelILj128ELj7ELj64E21rocsparse_complex_numIdEEEvi20rocsparse_direction_NS_24const_host_device_scalarIT2_EEPKiS8_PKS5_SA_S6_PS5_21rocsparse_index_base_b
	.p2align	8
	.type	_ZN9rocsparseL19gebsrmvn_2xn_kernelILj128ELj7ELj64E21rocsparse_complex_numIdEEEvi20rocsparse_direction_NS_24const_host_device_scalarIT2_EEPKiS8_PKS5_SA_S6_PS5_21rocsparse_index_base_b,@function
_ZN9rocsparseL19gebsrmvn_2xn_kernelILj128ELj7ELj64E21rocsparse_complex_numIdEEEvi20rocsparse_direction_NS_24const_host_device_scalarIT2_EEPKiS8_PKS5_SA_S6_PS5_21rocsparse_index_base_b: ; @_ZN9rocsparseL19gebsrmvn_2xn_kernelILj128ELj7ELj64E21rocsparse_complex_numIdEEEvi20rocsparse_direction_NS_24const_host_device_scalarIT2_EEPKiS8_PKS5_SA_S6_PS5_21rocsparse_index_base_b
; %bb.0:
	s_load_dwordx2 s[16:17], s[2:3], 0x50
	s_load_dwordx4 s[12:15], s[2:3], 0x8
	s_load_dwordx4 s[8:11], s[2:3], 0x38
	s_load_dwordx2 s[18:19], s[0:1], 0x4
	s_mov_b64 s[6:7], src_shared_base
	s_waitcnt lgkmcnt(0)
	s_bitcmp1_b32 s17, 0
	s_cselect_b64 s[0:1], -1, 0
	s_and_b64 vcc, s[0:1], exec
	s_cselect_b32 s5, s7, s13
	s_lshr_b32 s6, s18, 16
	v_bfe_u32 v1, v0, 10, 10
	v_and_b32_e32 v10, 0x3ff, v0
	s_mul_i32 s6, s6, s19
	v_mul_u32_u24_e32 v1, s19, v1
	v_mad_u32_u24 v1, s6, v10, v1
	v_bfe_u32 v0, v0, 20, 10
	v_add_lshl_u32 v4, v1, v0, 3
	v_mov_b32_e32 v5, s12
	v_add_u32_e32 v6, 0x400, v4
	v_mov_b64_e32 v[0:1], s[12:13]
	v_mov_b64_e32 v[2:3], s[8:9]
	ds_write2st64_b64 v4, v[2:3], v[0:1] offset1:2
	v_cndmask_b32_e64 v0, v5, v6, s[0:1]
	v_mov_b32_e32 v1, s5
	flat_load_dwordx2 v[0:1], v[0:1]
	s_xor_b64 s[18:19], s[0:1], -1
	v_mov_b64_e32 v[2:3], s[14:15]
	s_cbranch_vccnz .LBB257_2
; %bb.1:
	v_mov_b64_e32 v[2:3], s[12:13]
	flat_load_dwordx2 v[2:3], v[2:3] offset:8
.LBB257_2:
	s_and_b64 s[12:13], s[0:1], exec
	s_cselect_b32 s5, s7, s9
	v_mov_b32_e32 v5, s8
	v_cndmask_b32_e64 v4, v5, v4, s[0:1]
	v_mov_b32_e32 v5, s5
	flat_load_dwordx2 v[4:5], v[4:5]
	s_andn2_b64 vcc, exec, s[18:19]
	v_mov_b64_e32 v[6:7], s[10:11]
	s_cbranch_vccnz .LBB257_4
; %bb.3:
	v_mov_b64_e32 v[6:7], s[8:9]
	flat_load_dwordx2 v[6:7], v[6:7] offset:8
.LBB257_4:
	s_waitcnt vmcnt(0) lgkmcnt(0)
	v_cmp_eq_f64_e32 vcc, 0, v[0:1]
	v_cmp_eq_f64_e64 s[0:1], 0, v[2:3]
	s_and_b64 s[8:9], vcc, s[0:1]
	s_mov_b64 s[0:1], -1
	s_and_saveexec_b64 s[6:7], s[8:9]
; %bb.5:
	v_cmp_neq_f64_e32 vcc, 1.0, v[4:5]
	v_cmp_neq_f64_e64 s[0:1], 0, v[6:7]
	s_or_b64 s[0:1], vcc, s[0:1]
	s_orn2_b64 s[0:1], s[0:1], exec
; %bb.6:
	s_or_b64 exec, exec, s[6:7]
	s_and_saveexec_b64 s[6:7], s[0:1]
	s_cbranch_execz .LBB257_25
; %bb.7:
	s_load_dwordx2 s[0:1], s[2:3], 0x0
	v_lshrrev_b32_e32 v8, 6, v10
	v_lshl_or_b32 v8, s4, 1, v8
	s_waitcnt lgkmcnt(0)
	v_cmp_gt_i32_e32 vcc, s0, v8
	s_and_b64 exec, exec, vcc
	s_cbranch_execz .LBB257_25
; %bb.8:
	s_load_dwordx8 s[4:11], s[2:3], 0x18
	v_ashrrev_i32_e32 v9, 31, v8
	s_cmp_lg_u32 s1, 0
	s_waitcnt lgkmcnt(0)
	v_lshl_add_u64 v[12:13], v[8:9], 2, s[4:5]
	global_load_dwordx2 v[12:13], v[12:13], off
	v_and_b32_e32 v9, 63, v10
	s_waitcnt vmcnt(0)
	v_subrev_u32_e32 v10, s16, v12
	v_subrev_u32_e32 v28, s16, v13
	v_add_u32_e32 v14, v10, v9
	v_cmp_lt_i32_e64 s[0:1], v14, v28
	s_cbranch_scc0 .LBB257_14
; %bb.9:
	v_mov_b64_e32 v[12:13], 0
	s_mov_b64 s[4:5], 0
	v_mov_b64_e32 v[18:19], v[12:13]
	v_mov_b64_e32 v[16:17], v[12:13]
	;; [unrolled: 1-line block ×3, first 2 shown]
	s_and_saveexec_b64 s[12:13], s[0:1]
	s_cbranch_execz .LBB257_13
; %bb.10:
	v_mad_u64_u32 v[20:21], s[14:15], v14, 14, 12
	v_mov_b64_e32 v[12:13], 0
	s_mov_b64 s[14:15], 0
	v_mov_b32_e32 v23, 0
	v_mov_b32_e32 v24, v14
	v_mov_b64_e32 v[18:19], v[12:13]
	v_mov_b64_e32 v[16:17], v[12:13]
	;; [unrolled: 1-line block ×3, first 2 shown]
.LBB257_11:                             ; =>This Inner Loop Header: Depth=1
	v_ashrrev_i32_e32 v25, 31, v24
	v_add_u32_e32 v22, -12, v20
	v_lshl_add_u64 v[38:39], v[24:25], 2, s[6:7]
	v_lshl_add_u64 v[40:41], v[22:23], 4, s[8:9]
	global_load_dword v15, v[38:39], off
	global_load_dwordx4 v[30:33], v[40:41], off offset:16
	global_load_dwordx4 v[34:37], v[40:41], off
	v_mov_b32_e32 v21, v23
	v_mov_b32_e32 v27, v23
	v_add_u32_e32 v22, -10, v20
	v_lshl_add_u64 v[54:55], v[20:21], 4, s[8:9]
	v_lshl_add_u64 v[56:57], v[22:23], 4, s[8:9]
	global_load_dwordx4 v[38:41], v[54:55], off offset:16
	global_load_dwordx4 v[42:45], v[54:55], off
	global_load_dwordx4 v[46:49], v[56:57], off offset:16
	global_load_dwordx4 v[50:53], v[56:57], off
	v_add_u32_e32 v24, 64, v24
	v_cmp_ge_i32_e32 vcc, v24, v28
	s_or_b64 s[14:15], vcc, s[14:15]
	s_waitcnt vmcnt(6)
	v_subrev_u32_e32 v15, s16, v15
	v_mul_lo_u32 v26, v15, 7
	v_lshl_add_u64 v[54:55], v[26:27], 4, s[10:11]
	v_add_u32_e32 v22, 1, v26
	global_load_dwordx4 v[54:57], v[54:55], off
	v_lshl_add_u64 v[58:59], v[22:23], 4, s[10:11]
	global_load_dwordx4 v[58:61], v[58:59], off
	v_add_u32_e32 v22, -8, v20
	v_lshl_add_u64 v[70:71], v[22:23], 4, s[8:9]
	v_add_u32_e32 v22, 2, v26
	global_load_dwordx4 v[62:65], v[70:71], off offset:16
	global_load_dwordx4 v[66:69], v[70:71], off
	v_lshl_add_u64 v[70:71], v[22:23], 4, s[10:11]
	v_add_u32_e32 v22, -6, v20
	global_load_dwordx4 v[70:73], v[70:71], off
	v_lshl_add_u64 v[82:83], v[22:23], 4, s[8:9]
	v_add_u32_e32 v22, 3, v26
	global_load_dwordx4 v[74:77], v[82:83], off offset:16
	global_load_dwordx4 v[78:81], v[82:83], off
	v_lshl_add_u64 v[82:83], v[22:23], 4, s[10:11]
	v_add_u32_e32 v22, -4, v20
	global_load_dwordx4 v[82:85], v[82:83], off
	v_lshl_add_u64 v[86:87], v[22:23], 4, s[8:9]
	v_add_u32_e32 v22, 4, v26
	s_waitcnt vmcnt(7)
	v_fmac_f64_e32 v[18:19], v[34:35], v[54:55]
	v_fmac_f64_e32 v[16:17], v[30:31], v[54:55]
	;; [unrolled: 1-line block ×4, first 2 shown]
	v_fma_f64 v[88:89], -v[36:37], v[56:57], v[18:19]
	v_fma_f64 v[54:55], -v[32:33], v[56:57], v[16:17]
	v_fmac_f64_e32 v[10:11], v[30:31], v[56:57]
	v_lshl_add_u64 v[30:31], v[22:23], 4, s[10:11]
	v_add_u32_e32 v22, -2, v20
	v_fmac_f64_e32 v[12:13], v[34:35], v[56:57]
	global_load_dwordx4 v[34:37], v[86:87], off offset:16
	global_load_dwordx4 v[16:19], v[86:87], off
	v_lshl_add_u64 v[56:57], v[22:23], 4, s[8:9]
	global_load_dwordx4 v[30:33], v[30:31], off
	v_add_u32_e32 v22, 5, v26
	s_waitcnt vmcnt(9)
	v_fmac_f64_e32 v[88:89], v[50:51], v[58:59]
	v_fmac_f64_e32 v[54:55], v[46:47], v[58:59]
	;; [unrolled: 1-line block ×3, first 2 shown]
	v_fma_f64 v[86:87], -v[52:53], v[60:61], v[88:89]
	v_fmac_f64_e32 v[10:11], v[48:49], v[58:59]
	v_fma_f64 v[88:89], -v[48:49], v[60:61], v[54:55]
	v_lshl_add_u64 v[54:55], v[22:23], 4, s[10:11]
	v_fmac_f64_e32 v[12:13], v[50:51], v[60:61]
	global_load_dwordx4 v[50:53], v[56:57], off offset:16
	v_fmac_f64_e32 v[10:11], v[46:47], v[60:61]
	global_load_dwordx4 v[46:49], v[56:57], off
	v_add_u32_e32 v22, 6, v26
	global_load_dwordx4 v[54:57], v[54:55], off
	v_lshl_add_u64 v[26:27], v[22:23], 4, s[10:11]
	global_load_dwordx4 v[58:61], v[26:27], off
	s_waitcnt vmcnt(10)
	v_fmac_f64_e32 v[86:87], v[66:67], v[70:71]
	v_fmac_f64_e32 v[12:13], v[68:69], v[70:71]
	;; [unrolled: 1-line block ×4, first 2 shown]
	v_fma_f64 v[26:27], -v[68:69], v[72:73], v[86:87]
	v_fmac_f64_e32 v[12:13], v[66:67], v[72:73]
	v_fma_f64 v[64:65], -v[64:65], v[72:73], v[88:89]
	v_fmac_f64_e32 v[10:11], v[62:63], v[72:73]
	s_waitcnt vmcnt(7)
	v_fmac_f64_e32 v[26:27], v[78:79], v[82:83]
	v_fmac_f64_e32 v[12:13], v[80:81], v[82:83]
	;; [unrolled: 1-line block ×4, first 2 shown]
	v_fma_f64 v[26:27], -v[80:81], v[84:85], v[26:27]
	v_fmac_f64_e32 v[12:13], v[78:79], v[84:85]
	v_fma_f64 v[62:63], -v[76:77], v[84:85], v[64:65]
	v_fmac_f64_e32 v[10:11], v[74:75], v[84:85]
	v_add_u32_e32 v20, 0x380, v20
	s_waitcnt vmcnt(4)
	v_fmac_f64_e32 v[26:27], v[16:17], v[30:31]
	v_fmac_f64_e32 v[12:13], v[18:19], v[30:31]
	v_fmac_f64_e32 v[62:63], v[34:35], v[30:31]
	v_fmac_f64_e32 v[10:11], v[36:37], v[30:31]
	v_fma_f64 v[18:19], -v[18:19], v[32:33], v[26:27]
	v_fmac_f64_e32 v[12:13], v[16:17], v[32:33]
	v_fma_f64 v[16:17], -v[36:37], v[32:33], v[62:63]
	v_fmac_f64_e32 v[10:11], v[34:35], v[32:33]
	s_waitcnt vmcnt(1)
	v_fmac_f64_e32 v[18:19], v[46:47], v[54:55]
	v_fmac_f64_e32 v[12:13], v[48:49], v[54:55]
	v_fmac_f64_e32 v[16:17], v[50:51], v[54:55]
	v_fmac_f64_e32 v[10:11], v[52:53], v[54:55]
	v_fma_f64 v[18:19], -v[48:49], v[56:57], v[18:19]
	v_fmac_f64_e32 v[12:13], v[46:47], v[56:57]
	v_fma_f64 v[16:17], -v[52:53], v[56:57], v[16:17]
	v_fmac_f64_e32 v[10:11], v[50:51], v[56:57]
	;; [unrolled: 9-line block ×3, first 2 shown]
	s_andn2_b64 exec, exec, s[14:15]
	s_cbranch_execnz .LBB257_11
; %bb.12:
	s_or_b64 exec, exec, s[14:15]
.LBB257_13:
	s_or_b64 exec, exec, s[12:13]
	s_andn2_b64 vcc, exec, s[4:5]
	s_cbranch_vccz .LBB257_15
	s_branch .LBB257_20
.LBB257_14:
                                        ; implicit-def: $vgpr12_vgpr13
                                        ; implicit-def: $vgpr18_vgpr19
                                        ; implicit-def: $vgpr16_vgpr17
                                        ; implicit-def: $vgpr10_vgpr11
.LBB257_15:
	v_mov_b64_e32 v[12:13], 0
	v_mov_b64_e32 v[18:19], v[12:13]
	;; [unrolled: 1-line block ×4, first 2 shown]
	s_and_saveexec_b64 s[4:5], s[0:1]
	s_cbranch_execz .LBB257_19
; %bb.16:
	v_mad_u64_u32 v[20:21], s[0:1], v14, 14, 13
	v_mov_b64_e32 v[12:13], 0
	s_mov_b64 s[0:1], 0
	v_mov_b32_e32 v23, 0
	v_mov_b64_e32 v[18:19], v[12:13]
	v_mov_b64_e32 v[16:17], v[12:13]
	;; [unrolled: 1-line block ×3, first 2 shown]
.LBB257_17:                             ; =>This Inner Loop Header: Depth=1
	v_ashrrev_i32_e32 v15, 31, v14
	v_add_u32_e32 v22, -13, v20
	v_add_u32_e32 v26, -6, v20
	v_mov_b32_e32 v27, v23
	v_mov_b32_e32 v21, v23
	v_lshl_add_u64 v[46:47], v[14:15], 2, s[6:7]
	v_lshl_add_u64 v[48:49], v[22:23], 4, s[8:9]
	;; [unrolled: 1-line block ×4, first 2 shown]
	global_load_dword v15, v[46:47], off
	global_load_dwordx4 v[30:33], v[48:49], off offset:16
	global_load_dwordx4 v[34:37], v[48:49], off
	global_load_dwordx4 v[38:41], v[26:27], off
	;; [unrolled: 1-line block ×3, first 2 shown]
	v_mov_b32_e32 v25, v23
	v_add_u32_e32 v14, 64, v14
	v_cmp_ge_i32_e32 vcc, v14, v28
	s_or_b64 s[0:1], vcc, s[0:1]
	s_waitcnt vmcnt(4)
	v_subrev_u32_e32 v15, s16, v15
	v_mul_lo_u32 v24, v15, 7
	v_lshl_add_u64 v[26:27], v[24:25], 4, s[10:11]
	global_load_dwordx4 v[46:49], v[26:27], off
	v_add_u32_e32 v22, 1, v24
	v_lshl_add_u64 v[26:27], v[22:23], 4, s[10:11]
	v_add_u32_e32 v22, -5, v20
	global_load_dwordx4 v[50:53], v[26:27], off
	v_lshl_add_u64 v[26:27], v[22:23], 4, s[8:9]
	v_add_u32_e32 v22, -11, v20
	global_load_dwordx4 v[54:57], v[26:27], off
	v_lshl_add_u64 v[26:27], v[22:23], 4, s[8:9]
	v_add_u32_e32 v22, 2, v24
	global_load_dwordx4 v[58:61], v[26:27], off
	v_lshl_add_u64 v[26:27], v[22:23], 4, s[10:11]
	global_load_dwordx4 v[62:65], v[26:27], off
	v_add_u32_e32 v22, -4, v20
	v_lshl_add_u64 v[26:27], v[22:23], 4, s[8:9]
	v_add_u32_e32 v22, -10, v20
	global_load_dwordx4 v[66:69], v[26:27], off
	v_lshl_add_u64 v[26:27], v[22:23], 4, s[8:9]
	v_add_u32_e32 v22, 3, v24
	global_load_dwordx4 v[70:73], v[26:27], off
	v_lshl_add_u64 v[26:27], v[22:23], 4, s[10:11]
	v_add_u32_e32 v22, -3, v20
	global_load_dwordx4 v[74:77], v[26:27], off
	v_lshl_add_u64 v[26:27], v[22:23], 4, s[8:9]
	v_add_u32_e32 v22, -9, v20
	s_waitcnt vmcnt(7)
	v_fmac_f64_e32 v[18:19], v[34:35], v[46:47]
	v_fmac_f64_e32 v[12:13], v[36:37], v[46:47]
	v_fma_f64 v[78:79], -v[36:37], v[48:49], v[18:19]
	v_lshl_add_u64 v[18:19], v[22:23], 4, s[8:9]
	v_add_u32_e32 v22, 4, v24
	v_fmac_f64_e32 v[10:11], v[40:41], v[46:47]
	v_fmac_f64_e32 v[12:13], v[34:35], v[48:49]
	;; [unrolled: 1-line block ×4, first 2 shown]
	v_lshl_add_u64 v[38:39], v[22:23], 4, s[10:11]
	v_add_u32_e32 v22, -2, v20
	v_lshl_add_u64 v[46:47], v[22:23], 4, s[8:9]
	s_waitcnt vmcnt(6)
	v_fmac_f64_e32 v[78:79], v[30:31], v[50:51]
	v_fmac_f64_e32 v[12:13], v[32:33], v[50:51]
	global_load_dwordx4 v[34:37], v[26:27], off
	v_add_u32_e32 v22, -8, v20
	v_fma_f64 v[78:79], -v[32:33], v[52:53], v[78:79]
	v_fmac_f64_e32 v[12:13], v[30:31], v[52:53]
	global_load_dwordx4 v[30:33], v[46:47], off
	v_fma_f64 v[26:27], -v[40:41], v[48:49], v[16:17]
	v_lshl_add_u64 v[48:49], v[22:23], 4, s[8:9]
	v_add_u32_e32 v22, 5, v24
	s_waitcnt vmcnt(7)
	v_fmac_f64_e32 v[26:27], v[54:55], v[50:51]
	global_load_dwordx4 v[16:19], v[18:19], off
	v_fma_f64 v[80:81], -v[56:57], v[52:53], v[26:27]
	global_load_dwordx4 v[38:41], v[38:39], off
	v_lshl_add_u64 v[26:27], v[22:23], 4, s[10:11]
	v_add_u32_e32 v22, -1, v20
	v_lshl_add_u64 v[82:83], v[22:23], 4, s[8:9]
	v_add_u32_e32 v22, -7, v20
	v_fmac_f64_e32 v[10:11], v[56:57], v[50:51]
	global_load_dwordx4 v[46:49], v[48:49], off
	v_lshl_add_u64 v[84:85], v[22:23], 4, s[8:9]
	v_add_u32_e32 v22, 6, v24
	global_load_dwordx4 v[24:27], v[26:27], off
	s_waitcnt vmcnt(9)
	v_fmac_f64_e32 v[12:13], v[60:61], v[62:63]
	v_fmac_f64_e32 v[10:11], v[54:55], v[52:53]
	;; [unrolled: 1-line block ×4, first 2 shown]
	global_load_dwordx4 v[50:53], v[82:83], off
	global_load_dwordx4 v[54:57], v[84:85], off
	v_lshl_add_u64 v[58:59], v[22:23], 4, s[10:11]
	v_fma_f64 v[78:79], -v[60:61], v[64:65], v[78:79]
	global_load_dwordx4 v[58:61], v[58:59], off
	s_waitcnt vmcnt(11)
	v_fmac_f64_e32 v[80:81], v[66:67], v[62:63]
	v_fmac_f64_e32 v[10:11], v[68:69], v[62:63]
	v_fma_f64 v[62:63], -v[68:69], v[64:65], v[80:81]
	v_fmac_f64_e32 v[10:11], v[66:67], v[64:65]
	s_waitcnt vmcnt(9)
	v_fmac_f64_e32 v[78:79], v[70:71], v[74:75]
	v_fmac_f64_e32 v[12:13], v[72:73], v[74:75]
	v_fma_f64 v[64:65], -v[72:73], v[76:77], v[78:79]
	v_fmac_f64_e32 v[12:13], v[70:71], v[76:77]
	v_add_u32_e32 v20, 0x380, v20
	s_waitcnt vmcnt(8)
	v_fmac_f64_e32 v[62:63], v[34:35], v[74:75]
	v_fmac_f64_e32 v[10:11], v[36:37], v[74:75]
	v_fma_f64 v[36:37], -v[36:37], v[76:77], v[62:63]
	v_fmac_f64_e32 v[10:11], v[34:35], v[76:77]
	s_waitcnt vmcnt(5)
	v_fmac_f64_e32 v[64:65], v[16:17], v[38:39]
	v_fmac_f64_e32 v[12:13], v[18:19], v[38:39]
	v_fmac_f64_e32 v[36:37], v[30:31], v[38:39]
	v_fmac_f64_e32 v[10:11], v[32:33], v[38:39]
	v_fma_f64 v[18:19], -v[18:19], v[40:41], v[64:65]
	v_fmac_f64_e32 v[12:13], v[16:17], v[40:41]
	v_fma_f64 v[16:17], -v[32:33], v[40:41], v[36:37]
	v_fmac_f64_e32 v[10:11], v[30:31], v[40:41]
	s_waitcnt vmcnt(3)
	v_fmac_f64_e32 v[18:19], v[46:47], v[24:25]
	v_fmac_f64_e32 v[12:13], v[48:49], v[24:25]
	v_fma_f64 v[18:19], -v[48:49], v[26:27], v[18:19]
	v_fmac_f64_e32 v[12:13], v[46:47], v[26:27]
	s_waitcnt vmcnt(2)
	v_fmac_f64_e32 v[16:17], v[50:51], v[24:25]
	;; [unrolled: 5-line block ×3, first 2 shown]
	v_fmac_f64_e32 v[12:13], v[56:57], v[58:59]
	v_fmac_f64_e32 v[16:17], v[42:43], v[58:59]
	;; [unrolled: 1-line block ×3, first 2 shown]
	v_fma_f64 v[18:19], -v[56:57], v[60:61], v[18:19]
	v_fmac_f64_e32 v[12:13], v[54:55], v[60:61]
	v_fma_f64 v[16:17], -v[44:45], v[60:61], v[16:17]
	v_fmac_f64_e32 v[10:11], v[42:43], v[60:61]
	s_andn2_b64 exec, exec, s[0:1]
	s_cbranch_execnz .LBB257_17
; %bb.18:
	s_or_b64 exec, exec, s[0:1]
.LBB257_19:
	s_or_b64 exec, exec, s[4:5]
.LBB257_20:
	v_mov_b32_dpp v22, v16 row_shr:1 row_mask:0xf bank_mask:0xf
	v_mov_b32_dpp v23, v17 row_shr:1 row_mask:0xf bank_mask:0xf
	v_add_f64 v[16:17], v[16:17], v[22:23]
	v_mov_b32_dpp v14, v18 row_shr:1 row_mask:0xf bank_mask:0xf
	v_mov_b32_dpp v15, v19 row_shr:1 row_mask:0xf bank_mask:0xf
	;; [unrolled: 1-line block ×4, first 2 shown]
	v_add_f64 v[16:17], v[16:17], v[22:23]
	v_mov_b32_dpp v20, v12 row_shr:1 row_mask:0xf bank_mask:0xf
	v_mov_b32_dpp v21, v13 row_shr:1 row_mask:0xf bank_mask:0xf
	;; [unrolled: 1-line block ×4, first 2 shown]
	v_add_f64 v[16:17], v[16:17], v[22:23]
	v_add_f64 v[14:15], v[18:19], v[14:15]
	;; [unrolled: 1-line block ×3, first 2 shown]
	v_mov_b32_dpp v22, v16 row_shr:8 row_mask:0xf bank_mask:0xc
	v_mov_b32_dpp v23, v17 row_shr:8 row_mask:0xf bank_mask:0xc
	v_add_f64 v[16:17], v[16:17], v[22:23]
	v_mov_b32_dpp v18, v14 row_shr:2 row_mask:0xf bank_mask:0xf
	v_mov_b32_dpp v19, v15 row_shr:2 row_mask:0xf bank_mask:0xf
	v_mov_b32_dpp v22, v16 row_bcast:15 row_mask:0xa bank_mask:0xf
	v_mov_b32_dpp v23, v17 row_bcast:15 row_mask:0xa bank_mask:0xf
	v_add_f64 v[22:23], v[16:17], v[22:23]
	v_mov_b32_dpp v16, v10 row_shr:1 row_mask:0xf bank_mask:0xf
	v_mov_b32_dpp v17, v11 row_shr:1 row_mask:0xf bank_mask:0xf
	v_add_f64 v[10:11], v[10:11], v[16:17]
	v_mov_b32_dpp v20, v12 row_shr:2 row_mask:0xf bank_mask:0xf
	v_mov_b32_dpp v21, v13 row_shr:2 row_mask:0xf bank_mask:0xf
	;; [unrolled: 1-line block ×4, first 2 shown]
	v_add_f64 v[14:15], v[14:15], v[18:19]
	v_add_f64 v[12:13], v[12:13], v[20:21]
	;; [unrolled: 1-line block ×3, first 2 shown]
	v_mov_b32_dpp v18, v14 row_shr:4 row_mask:0xf bank_mask:0xe
	v_mov_b32_dpp v19, v15 row_shr:4 row_mask:0xf bank_mask:0xe
	;; [unrolled: 1-line block ×6, first 2 shown]
	v_add_f64 v[14:15], v[14:15], v[18:19]
	v_add_f64 v[12:13], v[12:13], v[20:21]
	;; [unrolled: 1-line block ×3, first 2 shown]
	v_mov_b32_dpp v18, v14 row_shr:8 row_mask:0xf bank_mask:0xc
	v_mov_b32_dpp v19, v15 row_shr:8 row_mask:0xf bank_mask:0xc
	;; [unrolled: 1-line block ×6, first 2 shown]
	v_add_f64 v[14:15], v[14:15], v[18:19]
	v_add_f64 v[12:13], v[12:13], v[20:21]
	;; [unrolled: 1-line block ×3, first 2 shown]
	v_mov_b32_dpp v18, v14 row_bcast:15 row_mask:0xa bank_mask:0xf
	v_mov_b32_dpp v19, v15 row_bcast:15 row_mask:0xa bank_mask:0xf
	;; [unrolled: 1-line block ×6, first 2 shown]
	v_add_f64 v[14:15], v[14:15], v[18:19]
	v_add_f64 v[12:13], v[12:13], v[20:21]
	;; [unrolled: 1-line block ×3, first 2 shown]
	v_mov_b32_dpp v18, v14 row_bcast:31 row_mask:0xc bank_mask:0xf
	v_mov_b32_dpp v19, v15 row_bcast:31 row_mask:0xc bank_mask:0xf
	;; [unrolled: 1-line block ×8, first 2 shown]
	v_cmp_eq_u32_e32 vcc, 63, v9
	s_and_b64 exec, exec, vcc
	s_cbranch_execz .LBB257_25
; %bb.21:
	s_load_dwordx2 s[2:3], s[2:3], 0x48
	v_cmp_eq_f64_e32 vcc, 0, v[4:5]
	v_cmp_eq_f64_e64 s[0:1], 0, v[6:7]
	v_add_f64 v[14:15], v[14:15], v[18:19]
	v_add_f64 v[16:17], v[12:13], v[20:21]
	;; [unrolled: 1-line block ×4, first 2 shown]
	s_and_b64 s[0:1], vcc, s[0:1]
	s_and_saveexec_b64 s[4:5], s[0:1]
	s_xor_b64 s[0:1], exec, s[4:5]
	s_cbranch_execz .LBB257_23
; %bb.22:
	v_lshlrev_b32_e32 v8, 1, v8
	v_mul_f64 v[4:5], v[16:17], -v[2:3]
	v_mul_f64 v[6:7], v[0:1], v[16:17]
	v_ashrrev_i32_e32 v9, 31, v8
	v_fmac_f64_e32 v[4:5], v[0:1], v[14:15]
	v_fmac_f64_e32 v[6:7], v[2:3], v[14:15]
	s_waitcnt lgkmcnt(0)
	v_lshl_add_u64 v[8:9], v[8:9], 4, s[2:3]
	global_store_dwordx4 v[8:9], v[4:7], off
                                        ; implicit-def: $vgpr14_vgpr15
                                        ; implicit-def: $vgpr16_vgpr17
	s_nop 1
	v_mul_f64 v[4:5], v[12:13], -v[2:3]
	v_mul_f64 v[6:7], v[0:1], v[12:13]
	v_fmac_f64_e32 v[4:5], v[0:1], v[10:11]
	v_fmac_f64_e32 v[6:7], v[2:3], v[10:11]
	global_store_dwordx4 v[8:9], v[4:7], off offset:16
                                        ; implicit-def: $vgpr0_vgpr1
                                        ; implicit-def: $vgpr2_vgpr3
                                        ; implicit-def: $vgpr4_vgpr5
                                        ; implicit-def: $vgpr6_vgpr7
                                        ; implicit-def: $vgpr8
                                        ; implicit-def: $vgpr10_vgpr11
                                        ; implicit-def: $vgpr12_vgpr13
.LBB257_23:
	s_andn2_saveexec_b64 s[0:1], s[0:1]
	s_cbranch_execz .LBB257_25
; %bb.24:
	v_lshlrev_b32_e32 v8, 1, v8
	v_ashrrev_i32_e32 v9, 31, v8
	s_waitcnt lgkmcnt(0)
	v_lshl_add_u64 v[26:27], v[8:9], 4, s[2:3]
	global_load_dwordx4 v[18:21], v[26:27], off
	global_load_dwordx4 v[22:25], v[26:27], off offset:16
	v_mul_f64 v[28:29], v[16:17], -v[2:3]
	v_mul_f64 v[16:17], v[0:1], v[16:17]
	v_mul_f64 v[30:31], v[12:13], -v[2:3]
	v_mul_f64 v[8:9], v[0:1], v[12:13]
	v_fmac_f64_e32 v[28:29], v[0:1], v[14:15]
	v_fmac_f64_e32 v[16:17], v[2:3], v[14:15]
	;; [unrolled: 1-line block ×4, first 2 shown]
	s_waitcnt vmcnt(1)
	v_fmac_f64_e32 v[28:29], v[4:5], v[18:19]
	v_fmac_f64_e32 v[16:17], v[6:7], v[18:19]
	s_waitcnt vmcnt(0)
	v_fmac_f64_e32 v[30:31], v[4:5], v[22:23]
	v_fmac_f64_e32 v[8:9], v[6:7], v[22:23]
	v_fma_f64 v[14:15], -v[6:7], v[20:21], v[28:29]
	v_fmac_f64_e32 v[16:17], v[4:5], v[20:21]
	v_fma_f64 v[6:7], -v[6:7], v[24:25], v[30:31]
	v_fmac_f64_e32 v[8:9], v[4:5], v[24:25]
	global_store_dwordx4 v[26:27], v[14:17], off
	global_store_dwordx4 v[26:27], v[6:9], off offset:16
.LBB257_25:
	s_endpgm
	.section	.rodata,"a",@progbits
	.p2align	6, 0x0
	.amdhsa_kernel _ZN9rocsparseL19gebsrmvn_2xn_kernelILj128ELj7ELj64E21rocsparse_complex_numIdEEEvi20rocsparse_direction_NS_24const_host_device_scalarIT2_EEPKiS8_PKS5_SA_S6_PS5_21rocsparse_index_base_b
		.amdhsa_group_segment_fixed_size 2048
		.amdhsa_private_segment_fixed_size 0
		.amdhsa_kernarg_size 88
		.amdhsa_user_sgpr_count 4
		.amdhsa_user_sgpr_dispatch_ptr 1
		.amdhsa_user_sgpr_queue_ptr 0
		.amdhsa_user_sgpr_kernarg_segment_ptr 1
		.amdhsa_user_sgpr_dispatch_id 0
		.amdhsa_user_sgpr_kernarg_preload_length 0
		.amdhsa_user_sgpr_kernarg_preload_offset 0
		.amdhsa_user_sgpr_private_segment_size 0
		.amdhsa_uses_dynamic_stack 0
		.amdhsa_enable_private_segment 0
		.amdhsa_system_sgpr_workgroup_id_x 1
		.amdhsa_system_sgpr_workgroup_id_y 0
		.amdhsa_system_sgpr_workgroup_id_z 0
		.amdhsa_system_sgpr_workgroup_info 0
		.amdhsa_system_vgpr_workitem_id 2
		.amdhsa_next_free_vgpr 90
		.amdhsa_next_free_sgpr 20
		.amdhsa_accum_offset 92
		.amdhsa_reserve_vcc 1
		.amdhsa_float_round_mode_32 0
		.amdhsa_float_round_mode_16_64 0
		.amdhsa_float_denorm_mode_32 3
		.amdhsa_float_denorm_mode_16_64 3
		.amdhsa_dx10_clamp 1
		.amdhsa_ieee_mode 1
		.amdhsa_fp16_overflow 0
		.amdhsa_tg_split 0
		.amdhsa_exception_fp_ieee_invalid_op 0
		.amdhsa_exception_fp_denorm_src 0
		.amdhsa_exception_fp_ieee_div_zero 0
		.amdhsa_exception_fp_ieee_overflow 0
		.amdhsa_exception_fp_ieee_underflow 0
		.amdhsa_exception_fp_ieee_inexact 0
		.amdhsa_exception_int_div_zero 0
	.end_amdhsa_kernel
	.section	.text._ZN9rocsparseL19gebsrmvn_2xn_kernelILj128ELj7ELj64E21rocsparse_complex_numIdEEEvi20rocsparse_direction_NS_24const_host_device_scalarIT2_EEPKiS8_PKS5_SA_S6_PS5_21rocsparse_index_base_b,"axG",@progbits,_ZN9rocsparseL19gebsrmvn_2xn_kernelILj128ELj7ELj64E21rocsparse_complex_numIdEEEvi20rocsparse_direction_NS_24const_host_device_scalarIT2_EEPKiS8_PKS5_SA_S6_PS5_21rocsparse_index_base_b,comdat
.Lfunc_end257:
	.size	_ZN9rocsparseL19gebsrmvn_2xn_kernelILj128ELj7ELj64E21rocsparse_complex_numIdEEEvi20rocsparse_direction_NS_24const_host_device_scalarIT2_EEPKiS8_PKS5_SA_S6_PS5_21rocsparse_index_base_b, .Lfunc_end257-_ZN9rocsparseL19gebsrmvn_2xn_kernelILj128ELj7ELj64E21rocsparse_complex_numIdEEEvi20rocsparse_direction_NS_24const_host_device_scalarIT2_EEPKiS8_PKS5_SA_S6_PS5_21rocsparse_index_base_b
                                        ; -- End function
	.section	.AMDGPU.csdata,"",@progbits
; Kernel info:
; codeLenInByte = 2928
; NumSgprs: 26
; NumVgprs: 90
; NumAgprs: 0
; TotalNumVgprs: 90
; ScratchSize: 0
; MemoryBound: 0
; FloatMode: 240
; IeeeMode: 1
; LDSByteSize: 2048 bytes/workgroup (compile time only)
; SGPRBlocks: 3
; VGPRBlocks: 11
; NumSGPRsForWavesPerEU: 26
; NumVGPRsForWavesPerEU: 90
; AccumOffset: 92
; Occupancy: 5
; WaveLimiterHint : 1
; COMPUTE_PGM_RSRC2:SCRATCH_EN: 0
; COMPUTE_PGM_RSRC2:USER_SGPR: 4
; COMPUTE_PGM_RSRC2:TRAP_HANDLER: 0
; COMPUTE_PGM_RSRC2:TGID_X_EN: 1
; COMPUTE_PGM_RSRC2:TGID_Y_EN: 0
; COMPUTE_PGM_RSRC2:TGID_Z_EN: 0
; COMPUTE_PGM_RSRC2:TIDIG_COMP_CNT: 2
; COMPUTE_PGM_RSRC3_GFX90A:ACCUM_OFFSET: 22
; COMPUTE_PGM_RSRC3_GFX90A:TG_SPLIT: 0
	.section	.text._ZN9rocsparseL19gebsrmvn_2xn_kernelILj128ELj8ELj4E21rocsparse_complex_numIdEEEvi20rocsparse_direction_NS_24const_host_device_scalarIT2_EEPKiS8_PKS5_SA_S6_PS5_21rocsparse_index_base_b,"axG",@progbits,_ZN9rocsparseL19gebsrmvn_2xn_kernelILj128ELj8ELj4E21rocsparse_complex_numIdEEEvi20rocsparse_direction_NS_24const_host_device_scalarIT2_EEPKiS8_PKS5_SA_S6_PS5_21rocsparse_index_base_b,comdat
	.globl	_ZN9rocsparseL19gebsrmvn_2xn_kernelILj128ELj8ELj4E21rocsparse_complex_numIdEEEvi20rocsparse_direction_NS_24const_host_device_scalarIT2_EEPKiS8_PKS5_SA_S6_PS5_21rocsparse_index_base_b ; -- Begin function _ZN9rocsparseL19gebsrmvn_2xn_kernelILj128ELj8ELj4E21rocsparse_complex_numIdEEEvi20rocsparse_direction_NS_24const_host_device_scalarIT2_EEPKiS8_PKS5_SA_S6_PS5_21rocsparse_index_base_b
	.p2align	8
	.type	_ZN9rocsparseL19gebsrmvn_2xn_kernelILj128ELj8ELj4E21rocsparse_complex_numIdEEEvi20rocsparse_direction_NS_24const_host_device_scalarIT2_EEPKiS8_PKS5_SA_S6_PS5_21rocsparse_index_base_b,@function
_ZN9rocsparseL19gebsrmvn_2xn_kernelILj128ELj8ELj4E21rocsparse_complex_numIdEEEvi20rocsparse_direction_NS_24const_host_device_scalarIT2_EEPKiS8_PKS5_SA_S6_PS5_21rocsparse_index_base_b: ; @_ZN9rocsparseL19gebsrmvn_2xn_kernelILj128ELj8ELj4E21rocsparse_complex_numIdEEEvi20rocsparse_direction_NS_24const_host_device_scalarIT2_EEPKiS8_PKS5_SA_S6_PS5_21rocsparse_index_base_b
; %bb.0:
	s_load_dwordx2 s[16:17], s[2:3], 0x50
	s_load_dwordx4 s[12:15], s[2:3], 0x8
	s_load_dwordx4 s[8:11], s[2:3], 0x38
	s_load_dwordx2 s[18:19], s[0:1], 0x4
	s_mov_b64 s[6:7], src_shared_base
	s_waitcnt lgkmcnt(0)
	s_bitcmp1_b32 s17, 0
	s_cselect_b64 s[0:1], -1, 0
	s_and_b64 vcc, s[0:1], exec
	s_cselect_b32 s5, s7, s13
	s_lshr_b32 s6, s18, 16
	v_bfe_u32 v2, v0, 10, 10
	v_and_b32_e32 v1, 0x3ff, v0
	s_mul_i32 s6, s6, s19
	v_mul_u32_u24_e32 v2, s19, v2
	v_mad_u32_u24 v2, s6, v1, v2
	v_bfe_u32 v0, v0, 20, 10
	v_add_lshl_u32 v0, v2, v0, 3
	v_mov_b32_e32 v6, s12
	v_add_u32_e32 v7, 0x400, v0
	v_mov_b64_e32 v[2:3], s[12:13]
	v_mov_b64_e32 v[4:5], s[8:9]
	ds_write2st64_b64 v0, v[4:5], v[2:3] offset1:2
	v_cndmask_b32_e64 v2, v6, v7, s[0:1]
	v_mov_b32_e32 v3, s5
	flat_load_dwordx2 v[44:45], v[2:3]
	s_xor_b64 s[18:19], s[0:1], -1
	v_mov_b64_e32 v[46:47], s[14:15]
	s_cbranch_vccnz .LBB258_2
; %bb.1:
	v_mov_b64_e32 v[2:3], s[12:13]
	flat_load_dwordx2 v[46:47], v[2:3] offset:8
.LBB258_2:
	s_and_b64 s[12:13], s[0:1], exec
	s_cselect_b32 s5, s7, s9
	v_mov_b32_e32 v2, s8
	v_cndmask_b32_e64 v2, v2, v0, s[0:1]
	v_mov_b32_e32 v3, s5
	flat_load_dwordx2 v[48:49], v[2:3]
	s_andn2_b64 vcc, exec, s[18:19]
	v_mov_b64_e32 v[50:51], s[10:11]
	s_cbranch_vccnz .LBB258_4
; %bb.3:
	v_mov_b64_e32 v[2:3], s[8:9]
	flat_load_dwordx2 v[50:51], v[2:3] offset:8
.LBB258_4:
	s_waitcnt vmcnt(0) lgkmcnt(0)
	v_cmp_eq_f64_e32 vcc, 0, v[44:45]
	v_cmp_eq_f64_e64 s[0:1], 0, v[46:47]
	s_and_b64 s[8:9], vcc, s[0:1]
	s_mov_b64 s[0:1], -1
	s_and_saveexec_b64 s[6:7], s[8:9]
; %bb.5:
	v_cmp_neq_f64_e32 vcc, 1.0, v[48:49]
	v_cmp_neq_f64_e64 s[0:1], 0, v[50:51]
	s_or_b64 s[0:1], vcc, s[0:1]
	s_orn2_b64 s[0:1], s[0:1], exec
; %bb.6:
	s_or_b64 exec, exec, s[6:7]
	s_and_saveexec_b64 s[6:7], s[0:1]
	s_cbranch_execz .LBB258_25
; %bb.7:
	s_load_dwordx2 s[0:1], s[2:3], 0x0
	v_lshrrev_b32_e32 v0, 2, v1
	v_lshl_or_b32 v52, s4, 5, v0
	s_waitcnt lgkmcnt(0)
	v_cmp_gt_i32_e32 vcc, s0, v52
	s_and_b64 exec, exec, vcc
	s_cbranch_execz .LBB258_25
; %bb.8:
	s_load_dwordx8 s[4:11], s[2:3], 0x18
	v_ashrrev_i32_e32 v53, 31, v52
	s_cmp_lg_u32 s1, 0
	s_waitcnt lgkmcnt(0)
	v_lshl_add_u64 v[2:3], v[52:53], 2, s[4:5]
	global_load_dwordx2 v[2:3], v[2:3], off
	v_and_b32_e32 v53, 3, v1
	s_waitcnt vmcnt(0)
	v_subrev_u32_e32 v0, s16, v2
	v_subrev_u32_e32 v74, s16, v3
	v_add_u32_e32 v58, v0, v53
	v_cmp_lt_i32_e64 s[0:1], v58, v74
	s_cbranch_scc0 .LBB258_14
; %bb.9:
	v_mov_b64_e32 v[54:55], 0
	s_mov_b64 s[4:5], 0
	v_mov_b64_e32 v[62:63], v[54:55]
	v_mov_b64_e32 v[60:61], v[54:55]
	;; [unrolled: 1-line block ×3, first 2 shown]
	s_and_saveexec_b64 s[12:13], s[0:1]
	s_cbranch_execz .LBB258_13
; %bb.10:
	v_mov_b64_e32 v[54:55], 0
	v_lshlrev_b32_e32 v64, 4, v58
	s_mov_b64 s[14:15], 0
	v_mov_b32_e32 v65, 0
	v_mov_b32_e32 v66, v58
	v_mov_b64_e32 v[62:63], v[54:55]
	v_mov_b64_e32 v[60:61], v[54:55]
	;; [unrolled: 1-line block ×3, first 2 shown]
.LBB258_11:                             ; =>This Inner Loop Header: Depth=1
	v_ashrrev_i32_e32 v67, 31, v66
	v_lshl_add_u64 v[68:69], v[64:65], 4, s[8:9]
	v_lshl_add_u64 v[72:73], v[66:67], 2, s[6:7]
	global_load_dwordx4 v[0:3], v[68:69], off offset:48
	global_load_dwordx4 v[8:11], v[68:69], off offset:32
	global_load_dwordx4 v[20:23], v[68:69], off offset:16
	global_load_dwordx4 v[28:31], v[68:69], off
	global_load_dwordx4 v[4:7], v[68:69], off offset:112
	global_load_dwordx4 v[12:15], v[68:69], off offset:96
	;; [unrolled: 1-line block ×12, first 2 shown]
	global_load_dword v59, v[72:73], off
	v_mov_b32_e32 v71, v65
	v_add_u32_e32 v66, 4, v66
	v_cmp_ge_i32_e32 vcc, v66, v74
	v_add_u32_e32 v64, 64, v64
	s_or_b64 s[14:15], vcc, s[14:15]
	s_waitcnt vmcnt(0)
	v_subrev_u32_e32 v59, s16, v59
	v_lshlrev_b32_e32 v70, 3, v59
	v_lshl_add_u64 v[72:73], v[70:71], 4, s[10:11]
	global_load_dwordx4 v[68:71], v[72:73], off
	global_load_dwordx4 v[96:99], v[72:73], off offset:16
	global_load_dwordx4 v[100:103], v[72:73], off offset:32
	s_waitcnt vmcnt(2)
	v_fmac_f64_e32 v[62:63], v[28:29], v[68:69]
	v_fmac_f64_e32 v[54:55], v[30:31], v[68:69]
	v_fma_f64 v[104:105], -v[30:31], v[70:71], v[62:63]
	v_fmac_f64_e32 v[54:55], v[28:29], v[70:71]
	global_load_dwordx4 v[28:31], v[72:73], off offset:48
	v_fmac_f64_e32 v[60:61], v[20:21], v[68:69]
	v_fmac_f64_e32 v[56:57], v[22:23], v[68:69]
	v_fma_f64 v[68:69], -v[22:23], v[70:71], v[60:61]
	v_fmac_f64_e32 v[56:57], v[20:21], v[70:71]
	global_load_dwordx4 v[20:23], v[72:73], off offset:64
	global_load_dwordx4 v[60:63], v[72:73], off offset:80
	s_waitcnt vmcnt(4)
	v_fmac_f64_e32 v[104:105], v[8:9], v[96:97]
	v_fmac_f64_e32 v[54:55], v[10:11], v[96:97]
	v_fma_f64 v[70:71], -v[10:11], v[98:99], v[104:105]
	v_fmac_f64_e32 v[54:55], v[8:9], v[98:99]
	global_load_dwordx4 v[8:11], v[72:73], off offset:96
	v_fmac_f64_e32 v[68:69], v[0:1], v[96:97]
	v_fmac_f64_e32 v[56:57], v[2:3], v[96:97]
	v_fma_f64 v[68:69], -v[2:3], v[98:99], v[68:69]
	v_fmac_f64_e32 v[56:57], v[0:1], v[98:99]
	global_load_dwordx4 v[0:3], v[72:73], off offset:112
	s_waitcnt vmcnt(5)
	v_fmac_f64_e32 v[70:71], v[24:25], v[100:101]
	v_fmac_f64_e32 v[54:55], v[26:27], v[100:101]
	v_fmac_f64_e32 v[68:69], v[16:17], v[100:101]
	v_fmac_f64_e32 v[56:57], v[18:19], v[100:101]
	v_fma_f64 v[26:27], -v[26:27], v[102:103], v[70:71]
	v_fmac_f64_e32 v[54:55], v[24:25], v[102:103]
	v_fma_f64 v[18:19], -v[18:19], v[102:103], v[68:69]
	v_fmac_f64_e32 v[56:57], v[16:17], v[102:103]
	s_waitcnt vmcnt(4)
	v_fmac_f64_e32 v[26:27], v[12:13], v[28:29]
	v_fmac_f64_e32 v[54:55], v[14:15], v[28:29]
	v_fmac_f64_e32 v[18:19], v[4:5], v[28:29]
	v_fmac_f64_e32 v[56:57], v[6:7], v[28:29]
	v_fma_f64 v[14:15], -v[14:15], v[30:31], v[26:27]
	v_fmac_f64_e32 v[54:55], v[12:13], v[30:31]
	v_fma_f64 v[6:7], -v[6:7], v[30:31], v[18:19]
	v_fmac_f64_e32 v[56:57], v[4:5], v[30:31]
	;; [unrolled: 9-line block ×6, first 2 shown]
	s_andn2_b64 exec, exec, s[14:15]
	s_cbranch_execnz .LBB258_11
; %bb.12:
	s_or_b64 exec, exec, s[14:15]
.LBB258_13:
	s_or_b64 exec, exec, s[12:13]
	s_andn2_b64 vcc, exec, s[4:5]
	s_cbranch_vccz .LBB258_15
	s_branch .LBB258_20
.LBB258_14:
                                        ; implicit-def: $vgpr54_vgpr55
                                        ; implicit-def: $vgpr62_vgpr63
                                        ; implicit-def: $vgpr60_vgpr61
                                        ; implicit-def: $vgpr56_vgpr57
.LBB258_15:
	v_mov_b64_e32 v[54:55], 0
	v_mov_b64_e32 v[62:63], v[54:55]
	;; [unrolled: 1-line block ×4, first 2 shown]
	s_and_saveexec_b64 s[4:5], s[0:1]
	s_cbranch_execz .LBB258_19
; %bb.16:
	v_mov_b64_e32 v[54:55], 0
	v_lshlrev_b32_e32 v24, 4, v58
	s_mov_b64 s[0:1], 0
	v_mov_b32_e32 v25, 0
	v_mov_b64_e32 v[62:63], v[54:55]
	v_mov_b64_e32 v[60:61], v[54:55]
	;; [unrolled: 1-line block ×3, first 2 shown]
.LBB258_17:                             ; =>This Inner Loop Header: Depth=1
	v_ashrrev_i32_e32 v59, 31, v58
	v_lshl_add_u64 v[26:27], v[24:25], 4, s[8:9]
	v_lshl_add_u64 v[76:77], v[58:59], 2, s[6:7]
	global_load_dwordx4 v[0:3], v[26:27], off offset:48
	global_load_dwordx4 v[8:11], v[26:27], off offset:32
	;; [unrolled: 1-line block ×3, first 2 shown]
	global_load_dwordx4 v[28:31], v[26:27], off
	global_load_dwordx4 v[4:7], v[26:27], off offset:176
	global_load_dwordx4 v[32:35], v[26:27], off offset:160
	;; [unrolled: 1-line block ×8, first 2 shown]
	global_load_dword v59, v[76:77], off
	v_mov_b32_e32 v73, v25
	v_add_u32_e32 v58, 4, v58
	v_cmp_ge_i32_e32 vcc, v58, v74
	v_add_u32_e32 v24, 64, v24
	s_or_b64 s[0:1], vcc, s[0:1]
	s_waitcnt vmcnt(0)
	v_subrev_u32_e32 v59, s16, v59
	v_lshlrev_b32_e32 v72, 3, v59
	v_lshl_add_u64 v[72:73], v[72:73], 4, s[10:11]
	global_load_dwordx4 v[76:79], v[72:73], off
	global_load_dwordx4 v[80:83], v[72:73], off offset:16
	s_waitcnt vmcnt(1)
	v_fmac_f64_e32 v[62:63], v[28:29], v[76:77]
	v_fmac_f64_e32 v[54:55], v[30:31], v[76:77]
	v_fma_f64 v[84:85], -v[30:31], v[78:79], v[62:63]
	v_fmac_f64_e32 v[54:55], v[28:29], v[78:79]
	v_fmac_f64_e32 v[60:61], v[40:41], v[76:77]
	;; [unrolled: 1-line block ×3, first 2 shown]
	s_waitcnt vmcnt(0)
	v_fmac_f64_e32 v[84:85], v[16:17], v[80:81]
	v_fmac_f64_e32 v[54:55], v[18:19], v[80:81]
	global_load_dwordx4 v[28:31], v[26:27], off offset:240
	v_fma_f64 v[86:87], -v[42:43], v[78:79], v[60:61]
	v_fmac_f64_e32 v[56:57], v[40:41], v[78:79]
	global_load_dwordx4 v[40:43], v[26:27], off offset:224
	global_load_dwordx4 v[60:63], v[26:27], off offset:208
	;; [unrolled: 1-line block ×3, first 2 shown]
	v_fma_f64 v[26:27], -v[18:19], v[82:83], v[84:85]
	v_fmac_f64_e32 v[54:55], v[16:17], v[82:83]
	global_load_dwordx4 v[16:19], v[72:73], off offset:32
	v_fmac_f64_e32 v[86:87], v[36:37], v[80:81]
	v_fmac_f64_e32 v[56:57], v[38:39], v[80:81]
	v_fma_f64 v[84:85], -v[38:39], v[82:83], v[86:87]
	v_fmac_f64_e32 v[56:57], v[36:37], v[82:83]
	global_load_dwordx4 v[36:39], v[72:73], off offset:48
	global_load_dwordx4 v[80:83], v[72:73], off offset:64
	s_waitcnt vmcnt(2)
	v_fmac_f64_e32 v[26:27], v[8:9], v[16:17]
	v_fmac_f64_e32 v[54:55], v[10:11], v[16:17]
	v_fma_f64 v[26:27], -v[10:11], v[18:19], v[26:27]
	v_fmac_f64_e32 v[54:55], v[8:9], v[18:19]
	global_load_dwordx4 v[8:11], v[72:73], off offset:80
	v_fmac_f64_e32 v[84:85], v[32:33], v[16:17]
	v_fmac_f64_e32 v[56:57], v[34:35], v[16:17]
	v_fma_f64 v[84:85], -v[34:35], v[18:19], v[84:85]
	v_fmac_f64_e32 v[56:57], v[32:33], v[18:19]
	global_load_dwordx4 v[16:19], v[72:73], off offset:96
	global_load_dwordx4 v[32:35], v[72:73], off offset:112
	s_waitcnt vmcnt(4)
	v_fmac_f64_e32 v[26:27], v[0:1], v[36:37]
	v_fmac_f64_e32 v[54:55], v[2:3], v[36:37]
	v_fmac_f64_e32 v[84:85], v[4:5], v[36:37]
	v_fmac_f64_e32 v[56:57], v[6:7], v[36:37]
	v_fma_f64 v[2:3], -v[2:3], v[38:39], v[26:27]
	v_fmac_f64_e32 v[54:55], v[0:1], v[38:39]
	v_fma_f64 v[0:1], -v[6:7], v[38:39], v[84:85]
	v_fmac_f64_e32 v[56:57], v[4:5], v[38:39]
	s_waitcnt vmcnt(3)
	v_fmac_f64_e32 v[2:3], v[68:69], v[80:81]
	v_fmac_f64_e32 v[54:55], v[70:71], v[80:81]
	v_fmac_f64_e32 v[0:1], v[76:77], v[80:81]
	v_fmac_f64_e32 v[56:57], v[78:79], v[80:81]
	v_fma_f64 v[2:3], -v[70:71], v[82:83], v[2:3]
	v_fmac_f64_e32 v[54:55], v[68:69], v[82:83]
	v_fma_f64 v[0:1], -v[78:79], v[82:83], v[0:1]
	v_fmac_f64_e32 v[56:57], v[76:77], v[82:83]
	;; [unrolled: 9-line block ×5, first 2 shown]
	s_andn2_b64 exec, exec, s[0:1]
	s_cbranch_execnz .LBB258_17
; %bb.18:
	s_or_b64 exec, exec, s[0:1]
.LBB258_19:
	s_or_b64 exec, exec, s[4:5]
.LBB258_20:
	v_mov_b32_dpp v4, v54 row_shr:1 row_mask:0xf bank_mask:0xf
	v_mov_b32_dpp v5, v55 row_shr:1 row_mask:0xf bank_mask:0xf
	v_add_f64 v[6:7], v[54:55], v[4:5]
	v_mov_b32_dpp v4, v60 row_shr:1 row_mask:0xf bank_mask:0xf
	v_mov_b32_dpp v5, v61 row_shr:1 row_mask:0xf bank_mask:0xf
	;; [unrolled: 1-line block ×4, first 2 shown]
	v_add_f64 v[10:11], v[60:61], v[4:5]
	v_mov_b32_dpp v4, v56 row_shr:1 row_mask:0xf bank_mask:0xf
	v_mov_b32_dpp v5, v57 row_shr:1 row_mask:0xf bank_mask:0xf
	v_add_f64 v[0:1], v[62:63], v[0:1]
	v_add_f64 v[14:15], v[56:57], v[4:5]
	v_mov_b32_dpp v8, v6 row_shr:2 row_mask:0xf bank_mask:0xf
	v_mov_b32_dpp v2, v0 row_shr:2 row_mask:0xf bank_mask:0xf
	;; [unrolled: 1-line block ×8, first 2 shown]
	v_cmp_eq_u32_e32 vcc, 3, v53
	s_and_b64 exec, exec, vcc
	s_cbranch_execz .LBB258_25
; %bb.21:
	s_load_dwordx2 s[2:3], s[2:3], 0x48
	v_cmp_eq_f64_e32 vcc, 0, v[48:49]
	v_cmp_eq_f64_e64 s[0:1], 0, v[50:51]
	v_add_f64 v[4:5], v[0:1], v[2:3]
	v_add_f64 v[6:7], v[6:7], v[8:9]
	;; [unrolled: 1-line block ×4, first 2 shown]
	s_and_b64 s[0:1], vcc, s[0:1]
	s_and_saveexec_b64 s[4:5], s[0:1]
	s_xor_b64 s[0:1], exec, s[4:5]
	s_cbranch_execz .LBB258_23
; %bb.22:
	v_mul_f64 v[8:9], v[6:7], -v[46:47]
	v_mul_f64 v[10:11], v[44:45], v[6:7]
	v_fmac_f64_e32 v[8:9], v[44:45], v[4:5]
	v_fmac_f64_e32 v[10:11], v[46:47], v[4:5]
	v_lshlrev_b32_e32 v4, 1, v52
	v_ashrrev_i32_e32 v5, 31, v4
	s_waitcnt lgkmcnt(0)
	v_lshl_add_u64 v[12:13], v[4:5], 4, s[2:3]
	v_mul_f64 v[4:5], v[2:3], -v[46:47]
	v_mul_f64 v[6:7], v[44:45], v[2:3]
	v_fmac_f64_e32 v[4:5], v[44:45], v[0:1]
	v_fmac_f64_e32 v[6:7], v[46:47], v[0:1]
	global_store_dwordx4 v[12:13], v[8:11], off
	global_store_dwordx4 v[12:13], v[4:7], off offset:16
                                        ; implicit-def: $vgpr44_vgpr45
                                        ; implicit-def: $vgpr46_vgpr47
                                        ; implicit-def: $vgpr48_vgpr49
                                        ; implicit-def: $vgpr50_vgpr51
                                        ; implicit-def: $vgpr52
                                        ; implicit-def: $vgpr4_vgpr5
                                        ; implicit-def: $vgpr6_vgpr7
                                        ; implicit-def: $vgpr0_vgpr1
                                        ; implicit-def: $vgpr2_vgpr3
.LBB258_23:
	s_andn2_saveexec_b64 s[0:1], s[0:1]
	s_cbranch_execz .LBB258_25
; %bb.24:
	v_lshlrev_b32_e32 v8, 1, v52
	v_ashrrev_i32_e32 v9, 31, v8
	s_waitcnt lgkmcnt(0)
	v_lshl_add_u64 v[16:17], v[8:9], 4, s[2:3]
	global_load_dwordx4 v[8:11], v[16:17], off
	global_load_dwordx4 v[12:15], v[16:17], off offset:16
	v_mul_f64 v[18:19], v[6:7], -v[46:47]
	v_mul_f64 v[6:7], v[44:45], v[6:7]
	v_mul_f64 v[20:21], v[2:3], -v[46:47]
	v_mul_f64 v[2:3], v[44:45], v[2:3]
	v_fmac_f64_e32 v[18:19], v[44:45], v[4:5]
	v_fmac_f64_e32 v[6:7], v[46:47], v[4:5]
	;; [unrolled: 1-line block ×4, first 2 shown]
	s_waitcnt vmcnt(1)
	v_fmac_f64_e32 v[18:19], v[48:49], v[8:9]
	v_fmac_f64_e32 v[6:7], v[50:51], v[8:9]
	s_waitcnt vmcnt(0)
	v_fmac_f64_e32 v[20:21], v[48:49], v[12:13]
	v_fmac_f64_e32 v[2:3], v[50:51], v[12:13]
	v_fma_f64 v[4:5], -v[50:51], v[10:11], v[18:19]
	v_fmac_f64_e32 v[6:7], v[48:49], v[10:11]
	v_fma_f64 v[0:1], -v[50:51], v[14:15], v[20:21]
	v_fmac_f64_e32 v[2:3], v[48:49], v[14:15]
	global_store_dwordx4 v[16:17], v[4:7], off
	global_store_dwordx4 v[16:17], v[0:3], off offset:16
.LBB258_25:
	s_endpgm
	.section	.rodata,"a",@progbits
	.p2align	6, 0x0
	.amdhsa_kernel _ZN9rocsparseL19gebsrmvn_2xn_kernelILj128ELj8ELj4E21rocsparse_complex_numIdEEEvi20rocsparse_direction_NS_24const_host_device_scalarIT2_EEPKiS8_PKS5_SA_S6_PS5_21rocsparse_index_base_b
		.amdhsa_group_segment_fixed_size 2048
		.amdhsa_private_segment_fixed_size 0
		.amdhsa_kernarg_size 88
		.amdhsa_user_sgpr_count 4
		.amdhsa_user_sgpr_dispatch_ptr 1
		.amdhsa_user_sgpr_queue_ptr 0
		.amdhsa_user_sgpr_kernarg_segment_ptr 1
		.amdhsa_user_sgpr_dispatch_id 0
		.amdhsa_user_sgpr_kernarg_preload_length 0
		.amdhsa_user_sgpr_kernarg_preload_offset 0
		.amdhsa_user_sgpr_private_segment_size 0
		.amdhsa_uses_dynamic_stack 0
		.amdhsa_enable_private_segment 0
		.amdhsa_system_sgpr_workgroup_id_x 1
		.amdhsa_system_sgpr_workgroup_id_y 0
		.amdhsa_system_sgpr_workgroup_id_z 0
		.amdhsa_system_sgpr_workgroup_info 0
		.amdhsa_system_vgpr_workitem_id 2
		.amdhsa_next_free_vgpr 106
		.amdhsa_next_free_sgpr 20
		.amdhsa_accum_offset 108
		.amdhsa_reserve_vcc 1
		.amdhsa_float_round_mode_32 0
		.amdhsa_float_round_mode_16_64 0
		.amdhsa_float_denorm_mode_32 3
		.amdhsa_float_denorm_mode_16_64 3
		.amdhsa_dx10_clamp 1
		.amdhsa_ieee_mode 1
		.amdhsa_fp16_overflow 0
		.amdhsa_tg_split 0
		.amdhsa_exception_fp_ieee_invalid_op 0
		.amdhsa_exception_fp_denorm_src 0
		.amdhsa_exception_fp_ieee_div_zero 0
		.amdhsa_exception_fp_ieee_overflow 0
		.amdhsa_exception_fp_ieee_underflow 0
		.amdhsa_exception_fp_ieee_inexact 0
		.amdhsa_exception_int_div_zero 0
	.end_amdhsa_kernel
	.section	.text._ZN9rocsparseL19gebsrmvn_2xn_kernelILj128ELj8ELj4E21rocsparse_complex_numIdEEEvi20rocsparse_direction_NS_24const_host_device_scalarIT2_EEPKiS8_PKS5_SA_S6_PS5_21rocsparse_index_base_b,"axG",@progbits,_ZN9rocsparseL19gebsrmvn_2xn_kernelILj128ELj8ELj4E21rocsparse_complex_numIdEEEvi20rocsparse_direction_NS_24const_host_device_scalarIT2_EEPKiS8_PKS5_SA_S6_PS5_21rocsparse_index_base_b,comdat
.Lfunc_end258:
	.size	_ZN9rocsparseL19gebsrmvn_2xn_kernelILj128ELj8ELj4E21rocsparse_complex_numIdEEEvi20rocsparse_direction_NS_24const_host_device_scalarIT2_EEPKiS8_PKS5_SA_S6_PS5_21rocsparse_index_base_b, .Lfunc_end258-_ZN9rocsparseL19gebsrmvn_2xn_kernelILj128ELj8ELj4E21rocsparse_complex_numIdEEEvi20rocsparse_direction_NS_24const_host_device_scalarIT2_EEPKiS8_PKS5_SA_S6_PS5_21rocsparse_index_base_b
                                        ; -- End function
	.section	.AMDGPU.csdata,"",@progbits
; Kernel info:
; codeLenInByte = 2264
; NumSgprs: 26
; NumVgprs: 106
; NumAgprs: 0
; TotalNumVgprs: 106
; ScratchSize: 0
; MemoryBound: 1
; FloatMode: 240
; IeeeMode: 1
; LDSByteSize: 2048 bytes/workgroup (compile time only)
; SGPRBlocks: 3
; VGPRBlocks: 13
; NumSGPRsForWavesPerEU: 26
; NumVGPRsForWavesPerEU: 106
; AccumOffset: 108
; Occupancy: 4
; WaveLimiterHint : 1
; COMPUTE_PGM_RSRC2:SCRATCH_EN: 0
; COMPUTE_PGM_RSRC2:USER_SGPR: 4
; COMPUTE_PGM_RSRC2:TRAP_HANDLER: 0
; COMPUTE_PGM_RSRC2:TGID_X_EN: 1
; COMPUTE_PGM_RSRC2:TGID_Y_EN: 0
; COMPUTE_PGM_RSRC2:TGID_Z_EN: 0
; COMPUTE_PGM_RSRC2:TIDIG_COMP_CNT: 2
; COMPUTE_PGM_RSRC3_GFX90A:ACCUM_OFFSET: 26
; COMPUTE_PGM_RSRC3_GFX90A:TG_SPLIT: 0
	.section	.text._ZN9rocsparseL19gebsrmvn_2xn_kernelILj128ELj8ELj8E21rocsparse_complex_numIdEEEvi20rocsparse_direction_NS_24const_host_device_scalarIT2_EEPKiS8_PKS5_SA_S6_PS5_21rocsparse_index_base_b,"axG",@progbits,_ZN9rocsparseL19gebsrmvn_2xn_kernelILj128ELj8ELj8E21rocsparse_complex_numIdEEEvi20rocsparse_direction_NS_24const_host_device_scalarIT2_EEPKiS8_PKS5_SA_S6_PS5_21rocsparse_index_base_b,comdat
	.globl	_ZN9rocsparseL19gebsrmvn_2xn_kernelILj128ELj8ELj8E21rocsparse_complex_numIdEEEvi20rocsparse_direction_NS_24const_host_device_scalarIT2_EEPKiS8_PKS5_SA_S6_PS5_21rocsparse_index_base_b ; -- Begin function _ZN9rocsparseL19gebsrmvn_2xn_kernelILj128ELj8ELj8E21rocsparse_complex_numIdEEEvi20rocsparse_direction_NS_24const_host_device_scalarIT2_EEPKiS8_PKS5_SA_S6_PS5_21rocsparse_index_base_b
	.p2align	8
	.type	_ZN9rocsparseL19gebsrmvn_2xn_kernelILj128ELj8ELj8E21rocsparse_complex_numIdEEEvi20rocsparse_direction_NS_24const_host_device_scalarIT2_EEPKiS8_PKS5_SA_S6_PS5_21rocsparse_index_base_b,@function
_ZN9rocsparseL19gebsrmvn_2xn_kernelILj128ELj8ELj8E21rocsparse_complex_numIdEEEvi20rocsparse_direction_NS_24const_host_device_scalarIT2_EEPKiS8_PKS5_SA_S6_PS5_21rocsparse_index_base_b: ; @_ZN9rocsparseL19gebsrmvn_2xn_kernelILj128ELj8ELj8E21rocsparse_complex_numIdEEEvi20rocsparse_direction_NS_24const_host_device_scalarIT2_EEPKiS8_PKS5_SA_S6_PS5_21rocsparse_index_base_b
; %bb.0:
	s_load_dwordx2 s[16:17], s[2:3], 0x50
	s_load_dwordx4 s[12:15], s[2:3], 0x8
	s_load_dwordx4 s[8:11], s[2:3], 0x38
	s_load_dwordx2 s[18:19], s[0:1], 0x4
	s_mov_b64 s[6:7], src_shared_base
	s_waitcnt lgkmcnt(0)
	s_bitcmp1_b32 s17, 0
	s_cselect_b64 s[0:1], -1, 0
	s_and_b64 vcc, s[0:1], exec
	s_cselect_b32 s5, s7, s13
	s_lshr_b32 s6, s18, 16
	v_bfe_u32 v2, v0, 10, 10
	v_and_b32_e32 v1, 0x3ff, v0
	s_mul_i32 s6, s6, s19
	v_mul_u32_u24_e32 v2, s19, v2
	v_mad_u32_u24 v2, s6, v1, v2
	v_bfe_u32 v0, v0, 20, 10
	v_add_lshl_u32 v0, v2, v0, 3
	v_mov_b32_e32 v6, s12
	v_add_u32_e32 v7, 0x400, v0
	v_mov_b64_e32 v[2:3], s[12:13]
	v_mov_b64_e32 v[4:5], s[8:9]
	ds_write2st64_b64 v0, v[4:5], v[2:3] offset1:2
	v_cndmask_b32_e64 v2, v6, v7, s[0:1]
	v_mov_b32_e32 v3, s5
	flat_load_dwordx2 v[44:45], v[2:3]
	s_xor_b64 s[18:19], s[0:1], -1
	v_mov_b64_e32 v[46:47], s[14:15]
	s_cbranch_vccnz .LBB259_2
; %bb.1:
	v_mov_b64_e32 v[2:3], s[12:13]
	flat_load_dwordx2 v[46:47], v[2:3] offset:8
.LBB259_2:
	s_and_b64 s[12:13], s[0:1], exec
	s_cselect_b32 s5, s7, s9
	v_mov_b32_e32 v2, s8
	v_cndmask_b32_e64 v2, v2, v0, s[0:1]
	v_mov_b32_e32 v3, s5
	flat_load_dwordx2 v[48:49], v[2:3]
	s_andn2_b64 vcc, exec, s[18:19]
	v_mov_b64_e32 v[50:51], s[10:11]
	s_cbranch_vccnz .LBB259_4
; %bb.3:
	v_mov_b64_e32 v[2:3], s[8:9]
	flat_load_dwordx2 v[50:51], v[2:3] offset:8
.LBB259_4:
	s_waitcnt vmcnt(0) lgkmcnt(0)
	v_cmp_eq_f64_e32 vcc, 0, v[44:45]
	v_cmp_eq_f64_e64 s[0:1], 0, v[46:47]
	s_and_b64 s[8:9], vcc, s[0:1]
	s_mov_b64 s[0:1], -1
	s_and_saveexec_b64 s[6:7], s[8:9]
; %bb.5:
	v_cmp_neq_f64_e32 vcc, 1.0, v[48:49]
	v_cmp_neq_f64_e64 s[0:1], 0, v[50:51]
	s_or_b64 s[0:1], vcc, s[0:1]
	s_orn2_b64 s[0:1], s[0:1], exec
; %bb.6:
	s_or_b64 exec, exec, s[6:7]
	s_and_saveexec_b64 s[6:7], s[0:1]
	s_cbranch_execz .LBB259_25
; %bb.7:
	s_load_dwordx2 s[0:1], s[2:3], 0x0
	v_lshrrev_b32_e32 v0, 3, v1
	v_lshl_or_b32 v52, s4, 4, v0
	s_waitcnt lgkmcnt(0)
	v_cmp_gt_i32_e32 vcc, s0, v52
	s_and_b64 exec, exec, vcc
	s_cbranch_execz .LBB259_25
; %bb.8:
	s_load_dwordx8 s[4:11], s[2:3], 0x18
	v_ashrrev_i32_e32 v53, 31, v52
	s_cmp_lg_u32 s1, 0
	s_waitcnt lgkmcnt(0)
	v_lshl_add_u64 v[2:3], v[52:53], 2, s[4:5]
	global_load_dwordx2 v[2:3], v[2:3], off
	v_and_b32_e32 v53, 7, v1
	s_waitcnt vmcnt(0)
	v_subrev_u32_e32 v0, s16, v2
	v_subrev_u32_e32 v74, s16, v3
	v_add_u32_e32 v58, v0, v53
	v_cmp_lt_i32_e64 s[0:1], v58, v74
	s_cbranch_scc0 .LBB259_14
; %bb.9:
	v_mov_b64_e32 v[54:55], 0
	s_mov_b64 s[4:5], 0
	v_mov_b64_e32 v[62:63], v[54:55]
	v_mov_b64_e32 v[60:61], v[54:55]
	;; [unrolled: 1-line block ×3, first 2 shown]
	s_and_saveexec_b64 s[12:13], s[0:1]
	s_cbranch_execz .LBB259_13
; %bb.10:
	v_mov_b64_e32 v[54:55], 0
	v_lshlrev_b32_e32 v64, 4, v58
	s_mov_b64 s[14:15], 0
	v_mov_b32_e32 v65, 0
	v_mov_b32_e32 v66, v58
	v_mov_b64_e32 v[62:63], v[54:55]
	v_mov_b64_e32 v[60:61], v[54:55]
	;; [unrolled: 1-line block ×3, first 2 shown]
.LBB259_11:                             ; =>This Inner Loop Header: Depth=1
	v_ashrrev_i32_e32 v67, 31, v66
	v_lshl_add_u64 v[68:69], v[64:65], 4, s[8:9]
	v_lshl_add_u64 v[72:73], v[66:67], 2, s[6:7]
	global_load_dwordx4 v[0:3], v[68:69], off offset:48
	global_load_dwordx4 v[8:11], v[68:69], off offset:32
	;; [unrolled: 1-line block ×3, first 2 shown]
	global_load_dwordx4 v[28:31], v[68:69], off
	global_load_dwordx4 v[4:7], v[68:69], off offset:112
	global_load_dwordx4 v[12:15], v[68:69], off offset:96
	;; [unrolled: 1-line block ×12, first 2 shown]
	global_load_dword v59, v[72:73], off
	v_mov_b32_e32 v71, v65
	v_add_u32_e32 v66, 8, v66
	v_cmp_ge_i32_e32 vcc, v66, v74
	v_add_u32_e32 v64, 0x80, v64
	s_or_b64 s[14:15], vcc, s[14:15]
	s_waitcnt vmcnt(0)
	v_subrev_u32_e32 v59, s16, v59
	v_lshlrev_b32_e32 v70, 3, v59
	v_lshl_add_u64 v[72:73], v[70:71], 4, s[10:11]
	global_load_dwordx4 v[68:71], v[72:73], off
	global_load_dwordx4 v[96:99], v[72:73], off offset:16
	global_load_dwordx4 v[100:103], v[72:73], off offset:32
	s_waitcnt vmcnt(2)
	v_fmac_f64_e32 v[62:63], v[28:29], v[68:69]
	v_fmac_f64_e32 v[54:55], v[30:31], v[68:69]
	v_fma_f64 v[104:105], -v[30:31], v[70:71], v[62:63]
	v_fmac_f64_e32 v[54:55], v[28:29], v[70:71]
	global_load_dwordx4 v[28:31], v[72:73], off offset:48
	v_fmac_f64_e32 v[60:61], v[20:21], v[68:69]
	v_fmac_f64_e32 v[56:57], v[22:23], v[68:69]
	v_fma_f64 v[68:69], -v[22:23], v[70:71], v[60:61]
	v_fmac_f64_e32 v[56:57], v[20:21], v[70:71]
	global_load_dwordx4 v[20:23], v[72:73], off offset:64
	global_load_dwordx4 v[60:63], v[72:73], off offset:80
	s_waitcnt vmcnt(4)
	v_fmac_f64_e32 v[104:105], v[8:9], v[96:97]
	v_fmac_f64_e32 v[54:55], v[10:11], v[96:97]
	v_fma_f64 v[70:71], -v[10:11], v[98:99], v[104:105]
	v_fmac_f64_e32 v[54:55], v[8:9], v[98:99]
	global_load_dwordx4 v[8:11], v[72:73], off offset:96
	v_fmac_f64_e32 v[68:69], v[0:1], v[96:97]
	v_fmac_f64_e32 v[56:57], v[2:3], v[96:97]
	v_fma_f64 v[68:69], -v[2:3], v[98:99], v[68:69]
	v_fmac_f64_e32 v[56:57], v[0:1], v[98:99]
	global_load_dwordx4 v[0:3], v[72:73], off offset:112
	s_waitcnt vmcnt(5)
	v_fmac_f64_e32 v[70:71], v[24:25], v[100:101]
	v_fmac_f64_e32 v[54:55], v[26:27], v[100:101]
	v_fmac_f64_e32 v[68:69], v[16:17], v[100:101]
	v_fmac_f64_e32 v[56:57], v[18:19], v[100:101]
	v_fma_f64 v[26:27], -v[26:27], v[102:103], v[70:71]
	v_fmac_f64_e32 v[54:55], v[24:25], v[102:103]
	v_fma_f64 v[18:19], -v[18:19], v[102:103], v[68:69]
	v_fmac_f64_e32 v[56:57], v[16:17], v[102:103]
	s_waitcnt vmcnt(4)
	v_fmac_f64_e32 v[26:27], v[12:13], v[28:29]
	v_fmac_f64_e32 v[54:55], v[14:15], v[28:29]
	v_fmac_f64_e32 v[18:19], v[4:5], v[28:29]
	v_fmac_f64_e32 v[56:57], v[6:7], v[28:29]
	v_fma_f64 v[14:15], -v[14:15], v[30:31], v[26:27]
	v_fmac_f64_e32 v[54:55], v[12:13], v[30:31]
	v_fma_f64 v[6:7], -v[6:7], v[30:31], v[18:19]
	v_fmac_f64_e32 v[56:57], v[4:5], v[30:31]
	;; [unrolled: 9-line block ×6, first 2 shown]
	s_andn2_b64 exec, exec, s[14:15]
	s_cbranch_execnz .LBB259_11
; %bb.12:
	s_or_b64 exec, exec, s[14:15]
.LBB259_13:
	s_or_b64 exec, exec, s[12:13]
	s_andn2_b64 vcc, exec, s[4:5]
	s_cbranch_vccz .LBB259_15
	s_branch .LBB259_20
.LBB259_14:
                                        ; implicit-def: $vgpr54_vgpr55
                                        ; implicit-def: $vgpr62_vgpr63
                                        ; implicit-def: $vgpr60_vgpr61
                                        ; implicit-def: $vgpr56_vgpr57
.LBB259_15:
	v_mov_b64_e32 v[54:55], 0
	v_mov_b64_e32 v[62:63], v[54:55]
	;; [unrolled: 1-line block ×4, first 2 shown]
	s_and_saveexec_b64 s[4:5], s[0:1]
	s_cbranch_execz .LBB259_19
; %bb.16:
	v_mov_b64_e32 v[54:55], 0
	v_lshlrev_b32_e32 v24, 4, v58
	s_mov_b64 s[0:1], 0
	v_mov_b32_e32 v25, 0
	v_mov_b64_e32 v[62:63], v[54:55]
	v_mov_b64_e32 v[60:61], v[54:55]
	;; [unrolled: 1-line block ×3, first 2 shown]
.LBB259_17:                             ; =>This Inner Loop Header: Depth=1
	v_ashrrev_i32_e32 v59, 31, v58
	v_lshl_add_u64 v[26:27], v[24:25], 4, s[8:9]
	v_lshl_add_u64 v[76:77], v[58:59], 2, s[6:7]
	global_load_dwordx4 v[0:3], v[26:27], off offset:48
	global_load_dwordx4 v[8:11], v[26:27], off offset:32
	;; [unrolled: 1-line block ×3, first 2 shown]
	global_load_dwordx4 v[28:31], v[26:27], off
	global_load_dwordx4 v[4:7], v[26:27], off offset:176
	global_load_dwordx4 v[32:35], v[26:27], off offset:160
	;; [unrolled: 1-line block ×8, first 2 shown]
	global_load_dword v59, v[76:77], off
	v_mov_b32_e32 v73, v25
	v_add_u32_e32 v58, 8, v58
	v_cmp_ge_i32_e32 vcc, v58, v74
	v_add_u32_e32 v24, 0x80, v24
	s_or_b64 s[0:1], vcc, s[0:1]
	s_waitcnt vmcnt(0)
	v_subrev_u32_e32 v59, s16, v59
	v_lshlrev_b32_e32 v72, 3, v59
	v_lshl_add_u64 v[72:73], v[72:73], 4, s[10:11]
	global_load_dwordx4 v[76:79], v[72:73], off
	global_load_dwordx4 v[80:83], v[72:73], off offset:16
	s_waitcnt vmcnt(1)
	v_fmac_f64_e32 v[62:63], v[28:29], v[76:77]
	v_fmac_f64_e32 v[54:55], v[30:31], v[76:77]
	v_fma_f64 v[84:85], -v[30:31], v[78:79], v[62:63]
	v_fmac_f64_e32 v[54:55], v[28:29], v[78:79]
	v_fmac_f64_e32 v[60:61], v[40:41], v[76:77]
	;; [unrolled: 1-line block ×3, first 2 shown]
	s_waitcnt vmcnt(0)
	v_fmac_f64_e32 v[84:85], v[16:17], v[80:81]
	v_fmac_f64_e32 v[54:55], v[18:19], v[80:81]
	global_load_dwordx4 v[28:31], v[26:27], off offset:240
	v_fma_f64 v[86:87], -v[42:43], v[78:79], v[60:61]
	v_fmac_f64_e32 v[56:57], v[40:41], v[78:79]
	global_load_dwordx4 v[40:43], v[26:27], off offset:224
	global_load_dwordx4 v[60:63], v[26:27], off offset:208
	;; [unrolled: 1-line block ×3, first 2 shown]
	v_fma_f64 v[26:27], -v[18:19], v[82:83], v[84:85]
	v_fmac_f64_e32 v[54:55], v[16:17], v[82:83]
	global_load_dwordx4 v[16:19], v[72:73], off offset:32
	v_fmac_f64_e32 v[86:87], v[36:37], v[80:81]
	v_fmac_f64_e32 v[56:57], v[38:39], v[80:81]
	v_fma_f64 v[84:85], -v[38:39], v[82:83], v[86:87]
	v_fmac_f64_e32 v[56:57], v[36:37], v[82:83]
	global_load_dwordx4 v[36:39], v[72:73], off offset:48
	global_load_dwordx4 v[80:83], v[72:73], off offset:64
	s_waitcnt vmcnt(2)
	v_fmac_f64_e32 v[26:27], v[8:9], v[16:17]
	v_fmac_f64_e32 v[54:55], v[10:11], v[16:17]
	v_fma_f64 v[26:27], -v[10:11], v[18:19], v[26:27]
	v_fmac_f64_e32 v[54:55], v[8:9], v[18:19]
	global_load_dwordx4 v[8:11], v[72:73], off offset:80
	v_fmac_f64_e32 v[84:85], v[32:33], v[16:17]
	v_fmac_f64_e32 v[56:57], v[34:35], v[16:17]
	v_fma_f64 v[84:85], -v[34:35], v[18:19], v[84:85]
	v_fmac_f64_e32 v[56:57], v[32:33], v[18:19]
	global_load_dwordx4 v[16:19], v[72:73], off offset:96
	global_load_dwordx4 v[32:35], v[72:73], off offset:112
	s_waitcnt vmcnt(4)
	v_fmac_f64_e32 v[26:27], v[0:1], v[36:37]
	v_fmac_f64_e32 v[54:55], v[2:3], v[36:37]
	v_fmac_f64_e32 v[84:85], v[4:5], v[36:37]
	v_fmac_f64_e32 v[56:57], v[6:7], v[36:37]
	v_fma_f64 v[2:3], -v[2:3], v[38:39], v[26:27]
	v_fmac_f64_e32 v[54:55], v[0:1], v[38:39]
	v_fma_f64 v[0:1], -v[6:7], v[38:39], v[84:85]
	v_fmac_f64_e32 v[56:57], v[4:5], v[38:39]
	s_waitcnt vmcnt(3)
	v_fmac_f64_e32 v[2:3], v[68:69], v[80:81]
	v_fmac_f64_e32 v[54:55], v[70:71], v[80:81]
	v_fmac_f64_e32 v[0:1], v[76:77], v[80:81]
	v_fmac_f64_e32 v[56:57], v[78:79], v[80:81]
	v_fma_f64 v[2:3], -v[70:71], v[82:83], v[2:3]
	v_fmac_f64_e32 v[54:55], v[68:69], v[82:83]
	v_fma_f64 v[0:1], -v[78:79], v[82:83], v[0:1]
	v_fmac_f64_e32 v[56:57], v[76:77], v[82:83]
	;; [unrolled: 9-line block ×5, first 2 shown]
	s_andn2_b64 exec, exec, s[0:1]
	s_cbranch_execnz .LBB259_17
; %bb.18:
	s_or_b64 exec, exec, s[0:1]
.LBB259_19:
	s_or_b64 exec, exec, s[4:5]
.LBB259_20:
	v_mov_b32_dpp v4, v54 row_shr:1 row_mask:0xf bank_mask:0xf
	v_mov_b32_dpp v5, v55 row_shr:1 row_mask:0xf bank_mask:0xf
	v_add_f64 v[4:5], v[54:55], v[4:5]
	v_mov_b32_dpp v0, v62 row_shr:1 row_mask:0xf bank_mask:0xf
	v_mov_b32_dpp v1, v63 row_shr:1 row_mask:0xf bank_mask:0xf
	;; [unrolled: 1-line block ×4, first 2 shown]
	v_add_f64 v[6:7], v[4:5], v[6:7]
	v_mov_b32_dpp v4, v60 row_shr:1 row_mask:0xf bank_mask:0xf
	v_mov_b32_dpp v5, v61 row_shr:1 row_mask:0xf bank_mask:0xf
	v_add_f64 v[4:5], v[60:61], v[4:5]
	v_add_f64 v[0:1], v[62:63], v[0:1]
	v_mov_b32_dpp v8, v6 row_shr:4 row_mask:0xf bank_mask:0xe
	v_mov_b32_dpp v10, v4 row_shr:2 row_mask:0xf bank_mask:0xf
	;; [unrolled: 1-line block ×3, first 2 shown]
	v_add_f64 v[10:11], v[4:5], v[10:11]
	v_mov_b32_dpp v4, v56 row_shr:1 row_mask:0xf bank_mask:0xf
	v_mov_b32_dpp v5, v57 row_shr:1 row_mask:0xf bank_mask:0xf
	v_add_f64 v[4:5], v[56:57], v[4:5]
	v_mov_b32_dpp v2, v0 row_shr:2 row_mask:0xf bank_mask:0xf
	v_mov_b32_dpp v3, v1 row_shr:2 row_mask:0xf bank_mask:0xf
	v_mov_b32_dpp v14, v4 row_shr:2 row_mask:0xf bank_mask:0xf
	v_mov_b32_dpp v15, v5 row_shr:2 row_mask:0xf bank_mask:0xf
	v_add_f64 v[0:1], v[0:1], v[2:3]
	v_add_f64 v[14:15], v[4:5], v[14:15]
	v_mov_b32_dpp v9, v7 row_shr:4 row_mask:0xf bank_mask:0xe
	v_mov_b32_dpp v2, v0 row_shr:4 row_mask:0xf bank_mask:0xe
	;; [unrolled: 1-line block ×7, first 2 shown]
	v_cmp_eq_u32_e32 vcc, 7, v53
	s_and_b64 exec, exec, vcc
	s_cbranch_execz .LBB259_25
; %bb.21:
	s_load_dwordx2 s[2:3], s[2:3], 0x48
	v_cmp_eq_f64_e32 vcc, 0, v[48:49]
	v_cmp_eq_f64_e64 s[0:1], 0, v[50:51]
	v_add_f64 v[4:5], v[0:1], v[2:3]
	v_add_f64 v[6:7], v[6:7], v[8:9]
	;; [unrolled: 1-line block ×4, first 2 shown]
	s_and_b64 s[0:1], vcc, s[0:1]
	s_and_saveexec_b64 s[4:5], s[0:1]
	s_xor_b64 s[0:1], exec, s[4:5]
	s_cbranch_execz .LBB259_23
; %bb.22:
	v_mul_f64 v[8:9], v[6:7], -v[46:47]
	v_mul_f64 v[10:11], v[44:45], v[6:7]
	v_fmac_f64_e32 v[8:9], v[44:45], v[4:5]
	v_fmac_f64_e32 v[10:11], v[46:47], v[4:5]
	v_lshlrev_b32_e32 v4, 1, v52
	v_ashrrev_i32_e32 v5, 31, v4
	s_waitcnt lgkmcnt(0)
	v_lshl_add_u64 v[12:13], v[4:5], 4, s[2:3]
	v_mul_f64 v[4:5], v[2:3], -v[46:47]
	v_mul_f64 v[6:7], v[44:45], v[2:3]
	v_fmac_f64_e32 v[4:5], v[44:45], v[0:1]
	v_fmac_f64_e32 v[6:7], v[46:47], v[0:1]
	global_store_dwordx4 v[12:13], v[8:11], off
	global_store_dwordx4 v[12:13], v[4:7], off offset:16
                                        ; implicit-def: $vgpr44_vgpr45
                                        ; implicit-def: $vgpr46_vgpr47
                                        ; implicit-def: $vgpr48_vgpr49
                                        ; implicit-def: $vgpr50_vgpr51
                                        ; implicit-def: $vgpr52
                                        ; implicit-def: $vgpr4_vgpr5
                                        ; implicit-def: $vgpr6_vgpr7
                                        ; implicit-def: $vgpr0_vgpr1
                                        ; implicit-def: $vgpr2_vgpr3
.LBB259_23:
	s_andn2_saveexec_b64 s[0:1], s[0:1]
	s_cbranch_execz .LBB259_25
; %bb.24:
	v_lshlrev_b32_e32 v8, 1, v52
	v_ashrrev_i32_e32 v9, 31, v8
	s_waitcnt lgkmcnt(0)
	v_lshl_add_u64 v[16:17], v[8:9], 4, s[2:3]
	global_load_dwordx4 v[8:11], v[16:17], off
	global_load_dwordx4 v[12:15], v[16:17], off offset:16
	v_mul_f64 v[18:19], v[6:7], -v[46:47]
	v_mul_f64 v[6:7], v[44:45], v[6:7]
	v_mul_f64 v[20:21], v[2:3], -v[46:47]
	v_mul_f64 v[2:3], v[44:45], v[2:3]
	v_fmac_f64_e32 v[18:19], v[44:45], v[4:5]
	v_fmac_f64_e32 v[6:7], v[46:47], v[4:5]
	;; [unrolled: 1-line block ×4, first 2 shown]
	s_waitcnt vmcnt(1)
	v_fmac_f64_e32 v[18:19], v[48:49], v[8:9]
	v_fmac_f64_e32 v[6:7], v[50:51], v[8:9]
	s_waitcnt vmcnt(0)
	v_fmac_f64_e32 v[20:21], v[48:49], v[12:13]
	v_fmac_f64_e32 v[2:3], v[50:51], v[12:13]
	v_fma_f64 v[4:5], -v[50:51], v[10:11], v[18:19]
	v_fmac_f64_e32 v[6:7], v[48:49], v[10:11]
	v_fma_f64 v[0:1], -v[50:51], v[14:15], v[20:21]
	v_fmac_f64_e32 v[2:3], v[48:49], v[14:15]
	global_store_dwordx4 v[16:17], v[4:7], off
	global_store_dwordx4 v[16:17], v[0:3], off offset:16
.LBB259_25:
	s_endpgm
	.section	.rodata,"a",@progbits
	.p2align	6, 0x0
	.amdhsa_kernel _ZN9rocsparseL19gebsrmvn_2xn_kernelILj128ELj8ELj8E21rocsparse_complex_numIdEEEvi20rocsparse_direction_NS_24const_host_device_scalarIT2_EEPKiS8_PKS5_SA_S6_PS5_21rocsparse_index_base_b
		.amdhsa_group_segment_fixed_size 2048
		.amdhsa_private_segment_fixed_size 0
		.amdhsa_kernarg_size 88
		.amdhsa_user_sgpr_count 4
		.amdhsa_user_sgpr_dispatch_ptr 1
		.amdhsa_user_sgpr_queue_ptr 0
		.amdhsa_user_sgpr_kernarg_segment_ptr 1
		.amdhsa_user_sgpr_dispatch_id 0
		.amdhsa_user_sgpr_kernarg_preload_length 0
		.amdhsa_user_sgpr_kernarg_preload_offset 0
		.amdhsa_user_sgpr_private_segment_size 0
		.amdhsa_uses_dynamic_stack 0
		.amdhsa_enable_private_segment 0
		.amdhsa_system_sgpr_workgroup_id_x 1
		.amdhsa_system_sgpr_workgroup_id_y 0
		.amdhsa_system_sgpr_workgroup_id_z 0
		.amdhsa_system_sgpr_workgroup_info 0
		.amdhsa_system_vgpr_workitem_id 2
		.amdhsa_next_free_vgpr 106
		.amdhsa_next_free_sgpr 20
		.amdhsa_accum_offset 108
		.amdhsa_reserve_vcc 1
		.amdhsa_float_round_mode_32 0
		.amdhsa_float_round_mode_16_64 0
		.amdhsa_float_denorm_mode_32 3
		.amdhsa_float_denorm_mode_16_64 3
		.amdhsa_dx10_clamp 1
		.amdhsa_ieee_mode 1
		.amdhsa_fp16_overflow 0
		.amdhsa_tg_split 0
		.amdhsa_exception_fp_ieee_invalid_op 0
		.amdhsa_exception_fp_denorm_src 0
		.amdhsa_exception_fp_ieee_div_zero 0
		.amdhsa_exception_fp_ieee_overflow 0
		.amdhsa_exception_fp_ieee_underflow 0
		.amdhsa_exception_fp_ieee_inexact 0
		.amdhsa_exception_int_div_zero 0
	.end_amdhsa_kernel
	.section	.text._ZN9rocsparseL19gebsrmvn_2xn_kernelILj128ELj8ELj8E21rocsparse_complex_numIdEEEvi20rocsparse_direction_NS_24const_host_device_scalarIT2_EEPKiS8_PKS5_SA_S6_PS5_21rocsparse_index_base_b,"axG",@progbits,_ZN9rocsparseL19gebsrmvn_2xn_kernelILj128ELj8ELj8E21rocsparse_complex_numIdEEEvi20rocsparse_direction_NS_24const_host_device_scalarIT2_EEPKiS8_PKS5_SA_S6_PS5_21rocsparse_index_base_b,comdat
.Lfunc_end259:
	.size	_ZN9rocsparseL19gebsrmvn_2xn_kernelILj128ELj8ELj8E21rocsparse_complex_numIdEEEvi20rocsparse_direction_NS_24const_host_device_scalarIT2_EEPKiS8_PKS5_SA_S6_PS5_21rocsparse_index_base_b, .Lfunc_end259-_ZN9rocsparseL19gebsrmvn_2xn_kernelILj128ELj8ELj8E21rocsparse_complex_numIdEEEvi20rocsparse_direction_NS_24const_host_device_scalarIT2_EEPKiS8_PKS5_SA_S6_PS5_21rocsparse_index_base_b
                                        ; -- End function
	.section	.AMDGPU.csdata,"",@progbits
; Kernel info:
; codeLenInByte = 2368
; NumSgprs: 26
; NumVgprs: 106
; NumAgprs: 0
; TotalNumVgprs: 106
; ScratchSize: 0
; MemoryBound: 1
; FloatMode: 240
; IeeeMode: 1
; LDSByteSize: 2048 bytes/workgroup (compile time only)
; SGPRBlocks: 3
; VGPRBlocks: 13
; NumSGPRsForWavesPerEU: 26
; NumVGPRsForWavesPerEU: 106
; AccumOffset: 108
; Occupancy: 4
; WaveLimiterHint : 1
; COMPUTE_PGM_RSRC2:SCRATCH_EN: 0
; COMPUTE_PGM_RSRC2:USER_SGPR: 4
; COMPUTE_PGM_RSRC2:TRAP_HANDLER: 0
; COMPUTE_PGM_RSRC2:TGID_X_EN: 1
; COMPUTE_PGM_RSRC2:TGID_Y_EN: 0
; COMPUTE_PGM_RSRC2:TGID_Z_EN: 0
; COMPUTE_PGM_RSRC2:TIDIG_COMP_CNT: 2
; COMPUTE_PGM_RSRC3_GFX90A:ACCUM_OFFSET: 26
; COMPUTE_PGM_RSRC3_GFX90A:TG_SPLIT: 0
	.section	.text._ZN9rocsparseL19gebsrmvn_2xn_kernelILj128ELj8ELj16E21rocsparse_complex_numIdEEEvi20rocsparse_direction_NS_24const_host_device_scalarIT2_EEPKiS8_PKS5_SA_S6_PS5_21rocsparse_index_base_b,"axG",@progbits,_ZN9rocsparseL19gebsrmvn_2xn_kernelILj128ELj8ELj16E21rocsparse_complex_numIdEEEvi20rocsparse_direction_NS_24const_host_device_scalarIT2_EEPKiS8_PKS5_SA_S6_PS5_21rocsparse_index_base_b,comdat
	.globl	_ZN9rocsparseL19gebsrmvn_2xn_kernelILj128ELj8ELj16E21rocsparse_complex_numIdEEEvi20rocsparse_direction_NS_24const_host_device_scalarIT2_EEPKiS8_PKS5_SA_S6_PS5_21rocsparse_index_base_b ; -- Begin function _ZN9rocsparseL19gebsrmvn_2xn_kernelILj128ELj8ELj16E21rocsparse_complex_numIdEEEvi20rocsparse_direction_NS_24const_host_device_scalarIT2_EEPKiS8_PKS5_SA_S6_PS5_21rocsparse_index_base_b
	.p2align	8
	.type	_ZN9rocsparseL19gebsrmvn_2xn_kernelILj128ELj8ELj16E21rocsparse_complex_numIdEEEvi20rocsparse_direction_NS_24const_host_device_scalarIT2_EEPKiS8_PKS5_SA_S6_PS5_21rocsparse_index_base_b,@function
_ZN9rocsparseL19gebsrmvn_2xn_kernelILj128ELj8ELj16E21rocsparse_complex_numIdEEEvi20rocsparse_direction_NS_24const_host_device_scalarIT2_EEPKiS8_PKS5_SA_S6_PS5_21rocsparse_index_base_b: ; @_ZN9rocsparseL19gebsrmvn_2xn_kernelILj128ELj8ELj16E21rocsparse_complex_numIdEEEvi20rocsparse_direction_NS_24const_host_device_scalarIT2_EEPKiS8_PKS5_SA_S6_PS5_21rocsparse_index_base_b
; %bb.0:
	s_load_dwordx2 s[16:17], s[2:3], 0x50
	s_load_dwordx4 s[12:15], s[2:3], 0x8
	s_load_dwordx4 s[8:11], s[2:3], 0x38
	s_load_dwordx2 s[18:19], s[0:1], 0x4
	s_mov_b64 s[6:7], src_shared_base
	s_waitcnt lgkmcnt(0)
	s_bitcmp1_b32 s17, 0
	s_cselect_b64 s[0:1], -1, 0
	s_and_b64 vcc, s[0:1], exec
	s_cselect_b32 s5, s7, s13
	s_lshr_b32 s6, s18, 16
	v_bfe_u32 v2, v0, 10, 10
	v_and_b32_e32 v1, 0x3ff, v0
	s_mul_i32 s6, s6, s19
	v_mul_u32_u24_e32 v2, s19, v2
	v_mad_u32_u24 v2, s6, v1, v2
	v_bfe_u32 v0, v0, 20, 10
	v_add_lshl_u32 v0, v2, v0, 3
	v_mov_b32_e32 v6, s12
	v_add_u32_e32 v7, 0x400, v0
	v_mov_b64_e32 v[2:3], s[12:13]
	v_mov_b64_e32 v[4:5], s[8:9]
	ds_write2st64_b64 v0, v[4:5], v[2:3] offset1:2
	v_cndmask_b32_e64 v2, v6, v7, s[0:1]
	v_mov_b32_e32 v3, s5
	flat_load_dwordx2 v[44:45], v[2:3]
	s_xor_b64 s[18:19], s[0:1], -1
	v_mov_b64_e32 v[46:47], s[14:15]
	s_cbranch_vccnz .LBB260_2
; %bb.1:
	v_mov_b64_e32 v[2:3], s[12:13]
	flat_load_dwordx2 v[46:47], v[2:3] offset:8
.LBB260_2:
	s_and_b64 s[12:13], s[0:1], exec
	s_cselect_b32 s5, s7, s9
	v_mov_b32_e32 v2, s8
	v_cndmask_b32_e64 v2, v2, v0, s[0:1]
	v_mov_b32_e32 v3, s5
	flat_load_dwordx2 v[48:49], v[2:3]
	s_andn2_b64 vcc, exec, s[18:19]
	v_mov_b64_e32 v[50:51], s[10:11]
	s_cbranch_vccnz .LBB260_4
; %bb.3:
	v_mov_b64_e32 v[2:3], s[8:9]
	flat_load_dwordx2 v[50:51], v[2:3] offset:8
.LBB260_4:
	s_waitcnt vmcnt(0) lgkmcnt(0)
	v_cmp_eq_f64_e32 vcc, 0, v[44:45]
	v_cmp_eq_f64_e64 s[0:1], 0, v[46:47]
	s_and_b64 s[8:9], vcc, s[0:1]
	s_mov_b64 s[0:1], -1
	s_and_saveexec_b64 s[6:7], s[8:9]
; %bb.5:
	v_cmp_neq_f64_e32 vcc, 1.0, v[48:49]
	v_cmp_neq_f64_e64 s[0:1], 0, v[50:51]
	s_or_b64 s[0:1], vcc, s[0:1]
	s_orn2_b64 s[0:1], s[0:1], exec
; %bb.6:
	s_or_b64 exec, exec, s[6:7]
	s_and_saveexec_b64 s[6:7], s[0:1]
	s_cbranch_execz .LBB260_25
; %bb.7:
	s_load_dwordx2 s[0:1], s[2:3], 0x0
	v_lshrrev_b32_e32 v0, 4, v1
	v_lshl_or_b32 v52, s4, 3, v0
	s_waitcnt lgkmcnt(0)
	v_cmp_gt_i32_e32 vcc, s0, v52
	s_and_b64 exec, exec, vcc
	s_cbranch_execz .LBB260_25
; %bb.8:
	s_load_dwordx8 s[4:11], s[2:3], 0x18
	v_ashrrev_i32_e32 v53, 31, v52
	s_cmp_lg_u32 s1, 0
	s_waitcnt lgkmcnt(0)
	v_lshl_add_u64 v[2:3], v[52:53], 2, s[4:5]
	global_load_dwordx2 v[2:3], v[2:3], off
	v_and_b32_e32 v53, 15, v1
	s_waitcnt vmcnt(0)
	v_subrev_u32_e32 v0, s16, v2
	v_subrev_u32_e32 v74, s16, v3
	v_add_u32_e32 v58, v0, v53
	v_cmp_lt_i32_e64 s[0:1], v58, v74
	s_cbranch_scc0 .LBB260_14
; %bb.9:
	v_mov_b64_e32 v[56:57], 0
	s_mov_b64 s[4:5], 0
	v_mov_b64_e32 v[62:63], v[56:57]
	v_mov_b64_e32 v[60:61], v[56:57]
	;; [unrolled: 1-line block ×3, first 2 shown]
	s_and_saveexec_b64 s[12:13], s[0:1]
	s_cbranch_execz .LBB260_13
; %bb.10:
	v_mov_b64_e32 v[56:57], 0
	v_lshlrev_b32_e32 v64, 4, v58
	s_mov_b64 s[14:15], 0
	v_mov_b32_e32 v65, 0
	v_mov_b32_e32 v66, v58
	v_mov_b64_e32 v[62:63], v[56:57]
	v_mov_b64_e32 v[60:61], v[56:57]
	v_mov_b64_e32 v[54:55], v[56:57]
.LBB260_11:                             ; =>This Inner Loop Header: Depth=1
	v_ashrrev_i32_e32 v67, 31, v66
	v_lshl_add_u64 v[68:69], v[64:65], 4, s[8:9]
	v_lshl_add_u64 v[72:73], v[66:67], 2, s[6:7]
	global_load_dwordx4 v[0:3], v[68:69], off offset:48
	global_load_dwordx4 v[8:11], v[68:69], off offset:32
	;; [unrolled: 1-line block ×3, first 2 shown]
	global_load_dwordx4 v[28:31], v[68:69], off
	global_load_dwordx4 v[4:7], v[68:69], off offset:112
	global_load_dwordx4 v[12:15], v[68:69], off offset:96
	global_load_dwordx4 v[16:19], v[68:69], off offset:80
	global_load_dwordx4 v[24:27], v[68:69], off offset:64
	global_load_dwordx4 v[32:35], v[68:69], off offset:176
	global_load_dwordx4 v[36:39], v[68:69], off offset:160
	global_load_dwordx4 v[40:43], v[68:69], off offset:144
	global_load_dwordx4 v[76:79], v[68:69], off offset:128
	global_load_dwordx4 v[80:83], v[68:69], off offset:208
	global_load_dwordx4 v[84:87], v[68:69], off offset:192
	global_load_dwordx4 v[88:91], v[68:69], off offset:224
	global_load_dwordx4 v[92:95], v[68:69], off offset:240
	global_load_dword v59, v[72:73], off
	v_mov_b32_e32 v71, v65
	v_add_u32_e32 v66, 16, v66
	v_cmp_ge_i32_e32 vcc, v66, v74
	v_add_u32_e32 v64, 0x100, v64
	s_or_b64 s[14:15], vcc, s[14:15]
	s_waitcnt vmcnt(0)
	v_subrev_u32_e32 v59, s16, v59
	v_lshlrev_b32_e32 v70, 3, v59
	v_lshl_add_u64 v[72:73], v[70:71], 4, s[10:11]
	global_load_dwordx4 v[68:71], v[72:73], off
	global_load_dwordx4 v[96:99], v[72:73], off offset:16
	global_load_dwordx4 v[100:103], v[72:73], off offset:32
	s_waitcnt vmcnt(2)
	v_fmac_f64_e32 v[62:63], v[28:29], v[68:69]
	v_fmac_f64_e32 v[56:57], v[30:31], v[68:69]
	v_fma_f64 v[104:105], -v[30:31], v[70:71], v[62:63]
	v_fmac_f64_e32 v[56:57], v[28:29], v[70:71]
	global_load_dwordx4 v[28:31], v[72:73], off offset:48
	v_fmac_f64_e32 v[60:61], v[20:21], v[68:69]
	v_fmac_f64_e32 v[54:55], v[22:23], v[68:69]
	v_fma_f64 v[68:69], -v[22:23], v[70:71], v[60:61]
	v_fmac_f64_e32 v[54:55], v[20:21], v[70:71]
	global_load_dwordx4 v[20:23], v[72:73], off offset:64
	global_load_dwordx4 v[60:63], v[72:73], off offset:80
	s_waitcnt vmcnt(4)
	v_fmac_f64_e32 v[104:105], v[8:9], v[96:97]
	v_fmac_f64_e32 v[56:57], v[10:11], v[96:97]
	v_fma_f64 v[70:71], -v[10:11], v[98:99], v[104:105]
	v_fmac_f64_e32 v[56:57], v[8:9], v[98:99]
	global_load_dwordx4 v[8:11], v[72:73], off offset:96
	v_fmac_f64_e32 v[68:69], v[0:1], v[96:97]
	v_fmac_f64_e32 v[54:55], v[2:3], v[96:97]
	v_fma_f64 v[68:69], -v[2:3], v[98:99], v[68:69]
	v_fmac_f64_e32 v[54:55], v[0:1], v[98:99]
	global_load_dwordx4 v[0:3], v[72:73], off offset:112
	s_waitcnt vmcnt(5)
	v_fmac_f64_e32 v[70:71], v[24:25], v[100:101]
	v_fmac_f64_e32 v[56:57], v[26:27], v[100:101]
	v_fmac_f64_e32 v[68:69], v[16:17], v[100:101]
	v_fmac_f64_e32 v[54:55], v[18:19], v[100:101]
	v_fma_f64 v[26:27], -v[26:27], v[102:103], v[70:71]
	v_fmac_f64_e32 v[56:57], v[24:25], v[102:103]
	v_fma_f64 v[18:19], -v[18:19], v[102:103], v[68:69]
	v_fmac_f64_e32 v[54:55], v[16:17], v[102:103]
	s_waitcnt vmcnt(4)
	v_fmac_f64_e32 v[26:27], v[12:13], v[28:29]
	v_fmac_f64_e32 v[56:57], v[14:15], v[28:29]
	v_fmac_f64_e32 v[18:19], v[4:5], v[28:29]
	v_fmac_f64_e32 v[54:55], v[6:7], v[28:29]
	v_fma_f64 v[14:15], -v[14:15], v[30:31], v[26:27]
	v_fmac_f64_e32 v[56:57], v[12:13], v[30:31]
	v_fma_f64 v[6:7], -v[6:7], v[30:31], v[18:19]
	v_fmac_f64_e32 v[54:55], v[4:5], v[30:31]
	;; [unrolled: 9-line block ×6, first 2 shown]
	s_andn2_b64 exec, exec, s[14:15]
	s_cbranch_execnz .LBB260_11
; %bb.12:
	s_or_b64 exec, exec, s[14:15]
.LBB260_13:
	s_or_b64 exec, exec, s[12:13]
	s_andn2_b64 vcc, exec, s[4:5]
	s_cbranch_vccz .LBB260_15
	s_branch .LBB260_20
.LBB260_14:
                                        ; implicit-def: $vgpr56_vgpr57
                                        ; implicit-def: $vgpr62_vgpr63
                                        ; implicit-def: $vgpr60_vgpr61
                                        ; implicit-def: $vgpr54_vgpr55
.LBB260_15:
	v_mov_b64_e32 v[56:57], 0
	v_mov_b64_e32 v[62:63], v[56:57]
	;; [unrolled: 1-line block ×4, first 2 shown]
	s_and_saveexec_b64 s[4:5], s[0:1]
	s_cbranch_execz .LBB260_19
; %bb.16:
	v_mov_b64_e32 v[56:57], 0
	v_lshlrev_b32_e32 v24, 4, v58
	s_mov_b64 s[0:1], 0
	v_mov_b32_e32 v25, 0
	v_mov_b64_e32 v[62:63], v[56:57]
	v_mov_b64_e32 v[60:61], v[56:57]
	;; [unrolled: 1-line block ×3, first 2 shown]
.LBB260_17:                             ; =>This Inner Loop Header: Depth=1
	v_ashrrev_i32_e32 v59, 31, v58
	v_lshl_add_u64 v[26:27], v[24:25], 4, s[8:9]
	v_lshl_add_u64 v[76:77], v[58:59], 2, s[6:7]
	global_load_dwordx4 v[0:3], v[26:27], off offset:48
	global_load_dwordx4 v[8:11], v[26:27], off offset:32
	global_load_dwordx4 v[16:19], v[26:27], off offset:16
	global_load_dwordx4 v[28:31], v[26:27], off
	global_load_dwordx4 v[4:7], v[26:27], off offset:176
	global_load_dwordx4 v[32:35], v[26:27], off offset:160
	;; [unrolled: 1-line block ×8, first 2 shown]
	global_load_dword v59, v[76:77], off
	v_mov_b32_e32 v73, v25
	v_add_u32_e32 v58, 16, v58
	v_cmp_ge_i32_e32 vcc, v58, v74
	v_add_u32_e32 v24, 0x100, v24
	s_or_b64 s[0:1], vcc, s[0:1]
	s_waitcnt vmcnt(0)
	v_subrev_u32_e32 v59, s16, v59
	v_lshlrev_b32_e32 v72, 3, v59
	v_lshl_add_u64 v[72:73], v[72:73], 4, s[10:11]
	global_load_dwordx4 v[76:79], v[72:73], off
	global_load_dwordx4 v[80:83], v[72:73], off offset:16
	s_waitcnt vmcnt(1)
	v_fmac_f64_e32 v[62:63], v[28:29], v[76:77]
	v_fmac_f64_e32 v[56:57], v[30:31], v[76:77]
	v_fma_f64 v[84:85], -v[30:31], v[78:79], v[62:63]
	v_fmac_f64_e32 v[56:57], v[28:29], v[78:79]
	v_fmac_f64_e32 v[60:61], v[40:41], v[76:77]
	;; [unrolled: 1-line block ×3, first 2 shown]
	s_waitcnt vmcnt(0)
	v_fmac_f64_e32 v[84:85], v[16:17], v[80:81]
	v_fmac_f64_e32 v[56:57], v[18:19], v[80:81]
	global_load_dwordx4 v[28:31], v[26:27], off offset:240
	v_fma_f64 v[86:87], -v[42:43], v[78:79], v[60:61]
	v_fmac_f64_e32 v[54:55], v[40:41], v[78:79]
	global_load_dwordx4 v[40:43], v[26:27], off offset:224
	global_load_dwordx4 v[60:63], v[26:27], off offset:208
	;; [unrolled: 1-line block ×3, first 2 shown]
	v_fma_f64 v[26:27], -v[18:19], v[82:83], v[84:85]
	v_fmac_f64_e32 v[56:57], v[16:17], v[82:83]
	global_load_dwordx4 v[16:19], v[72:73], off offset:32
	v_fmac_f64_e32 v[86:87], v[36:37], v[80:81]
	v_fmac_f64_e32 v[54:55], v[38:39], v[80:81]
	v_fma_f64 v[84:85], -v[38:39], v[82:83], v[86:87]
	v_fmac_f64_e32 v[54:55], v[36:37], v[82:83]
	global_load_dwordx4 v[36:39], v[72:73], off offset:48
	global_load_dwordx4 v[80:83], v[72:73], off offset:64
	s_waitcnt vmcnt(2)
	v_fmac_f64_e32 v[26:27], v[8:9], v[16:17]
	v_fmac_f64_e32 v[56:57], v[10:11], v[16:17]
	v_fma_f64 v[26:27], -v[10:11], v[18:19], v[26:27]
	v_fmac_f64_e32 v[56:57], v[8:9], v[18:19]
	global_load_dwordx4 v[8:11], v[72:73], off offset:80
	v_fmac_f64_e32 v[84:85], v[32:33], v[16:17]
	v_fmac_f64_e32 v[54:55], v[34:35], v[16:17]
	v_fma_f64 v[84:85], -v[34:35], v[18:19], v[84:85]
	v_fmac_f64_e32 v[54:55], v[32:33], v[18:19]
	global_load_dwordx4 v[16:19], v[72:73], off offset:96
	global_load_dwordx4 v[32:35], v[72:73], off offset:112
	s_waitcnt vmcnt(4)
	v_fmac_f64_e32 v[26:27], v[0:1], v[36:37]
	v_fmac_f64_e32 v[56:57], v[2:3], v[36:37]
	v_fmac_f64_e32 v[84:85], v[4:5], v[36:37]
	v_fmac_f64_e32 v[54:55], v[6:7], v[36:37]
	v_fma_f64 v[2:3], -v[2:3], v[38:39], v[26:27]
	v_fmac_f64_e32 v[56:57], v[0:1], v[38:39]
	v_fma_f64 v[0:1], -v[6:7], v[38:39], v[84:85]
	v_fmac_f64_e32 v[54:55], v[4:5], v[38:39]
	s_waitcnt vmcnt(3)
	v_fmac_f64_e32 v[2:3], v[68:69], v[80:81]
	v_fmac_f64_e32 v[56:57], v[70:71], v[80:81]
	v_fmac_f64_e32 v[0:1], v[76:77], v[80:81]
	v_fmac_f64_e32 v[54:55], v[78:79], v[80:81]
	v_fma_f64 v[2:3], -v[70:71], v[82:83], v[2:3]
	v_fmac_f64_e32 v[56:57], v[68:69], v[82:83]
	v_fma_f64 v[0:1], -v[78:79], v[82:83], v[0:1]
	v_fmac_f64_e32 v[54:55], v[76:77], v[82:83]
	;; [unrolled: 9-line block ×5, first 2 shown]
	s_andn2_b64 exec, exec, s[0:1]
	s_cbranch_execnz .LBB260_17
; %bb.18:
	s_or_b64 exec, exec, s[0:1]
.LBB260_19:
	s_or_b64 exec, exec, s[4:5]
.LBB260_20:
	v_mov_b32_dpp v4, v56 row_shr:1 row_mask:0xf bank_mask:0xf
	v_mov_b32_dpp v5, v57 row_shr:1 row_mask:0xf bank_mask:0xf
	v_add_f64 v[4:5], v[56:57], v[4:5]
	v_mov_b32_dpp v0, v62 row_shr:1 row_mask:0xf bank_mask:0xf
	v_mov_b32_dpp v1, v63 row_shr:1 row_mask:0xf bank_mask:0xf
	;; [unrolled: 1-line block ×4, first 2 shown]
	v_add_f64 v[4:5], v[4:5], v[6:7]
	v_add_f64 v[0:1], v[62:63], v[0:1]
	v_cmp_eq_u32_e32 vcc, 15, v53
	v_mov_b32_dpp v6, v4 row_shr:4 row_mask:0xf bank_mask:0xe
	v_mov_b32_dpp v7, v5 row_shr:4 row_mask:0xf bank_mask:0xe
	v_add_f64 v[6:7], v[4:5], v[6:7]
	v_mov_b32_dpp v4, v60 row_shr:1 row_mask:0xf bank_mask:0xf
	v_mov_b32_dpp v5, v61 row_shr:1 row_mask:0xf bank_mask:0xf
	v_add_f64 v[4:5], v[60:61], v[4:5]
	v_mov_b32_dpp v2, v0 row_shr:2 row_mask:0xf bank_mask:0xf
	v_mov_b32_dpp v3, v1 row_shr:2 row_mask:0xf bank_mask:0xf
	v_mov_b32_dpp v10, v4 row_shr:2 row_mask:0xf bank_mask:0xf
	v_mov_b32_dpp v11, v5 row_shr:2 row_mask:0xf bank_mask:0xf
	v_add_f64 v[4:5], v[4:5], v[10:11]
	v_add_f64 v[0:1], v[0:1], v[2:3]
	v_mov_b32_dpp v8, v6 row_shr:8 row_mask:0xf bank_mask:0xc
	v_mov_b32_dpp v10, v4 row_shr:4 row_mask:0xf bank_mask:0xe
	;; [unrolled: 1-line block ×3, first 2 shown]
	v_add_f64 v[10:11], v[4:5], v[10:11]
	v_mov_b32_dpp v4, v54 row_shr:1 row_mask:0xf bank_mask:0xf
	v_mov_b32_dpp v5, v55 row_shr:1 row_mask:0xf bank_mask:0xf
	v_add_f64 v[4:5], v[54:55], v[4:5]
	v_mov_b32_dpp v2, v0 row_shr:4 row_mask:0xf bank_mask:0xe
	v_mov_b32_dpp v3, v1 row_shr:4 row_mask:0xf bank_mask:0xe
	;; [unrolled: 1-line block ×4, first 2 shown]
	v_add_f64 v[4:5], v[4:5], v[14:15]
	v_add_f64 v[0:1], v[0:1], v[2:3]
	v_mov_b32_dpp v9, v7 row_shr:8 row_mask:0xf bank_mask:0xc
	v_mov_b32_dpp v14, v4 row_shr:4 row_mask:0xf bank_mask:0xe
	;; [unrolled: 1-line block ×3, first 2 shown]
	v_add_f64 v[14:15], v[4:5], v[14:15]
	v_mov_b32_dpp v2, v0 row_shr:8 row_mask:0xf bank_mask:0xc
	v_mov_b32_dpp v3, v1 row_shr:8 row_mask:0xf bank_mask:0xc
	v_mov_b32_dpp v12, v10 row_shr:8 row_mask:0xf bank_mask:0xc
	v_mov_b32_dpp v13, v11 row_shr:8 row_mask:0xf bank_mask:0xc
	v_mov_b32_dpp v16, v14 row_shr:8 row_mask:0xf bank_mask:0xc
	v_mov_b32_dpp v17, v15 row_shr:8 row_mask:0xf bank_mask:0xc
	s_and_b64 exec, exec, vcc
	s_cbranch_execz .LBB260_25
; %bb.21:
	s_load_dwordx2 s[2:3], s[2:3], 0x48
	v_cmp_eq_f64_e32 vcc, 0, v[48:49]
	v_cmp_eq_f64_e64 s[0:1], 0, v[50:51]
	v_add_f64 v[4:5], v[0:1], v[2:3]
	v_add_f64 v[6:7], v[6:7], v[8:9]
	v_add_f64 v[0:1], v[10:11], v[12:13]
	v_add_f64 v[2:3], v[14:15], v[16:17]
	s_and_b64 s[0:1], vcc, s[0:1]
	s_and_saveexec_b64 s[4:5], s[0:1]
	s_xor_b64 s[0:1], exec, s[4:5]
	s_cbranch_execz .LBB260_23
; %bb.22:
	v_mul_f64 v[8:9], v[6:7], -v[46:47]
	v_mul_f64 v[10:11], v[44:45], v[6:7]
	v_fmac_f64_e32 v[8:9], v[44:45], v[4:5]
	v_fmac_f64_e32 v[10:11], v[46:47], v[4:5]
	v_lshlrev_b32_e32 v4, 1, v52
	v_ashrrev_i32_e32 v5, 31, v4
	s_waitcnt lgkmcnt(0)
	v_lshl_add_u64 v[12:13], v[4:5], 4, s[2:3]
	v_mul_f64 v[4:5], v[2:3], -v[46:47]
	v_mul_f64 v[6:7], v[44:45], v[2:3]
	v_fmac_f64_e32 v[4:5], v[44:45], v[0:1]
	v_fmac_f64_e32 v[6:7], v[46:47], v[0:1]
	global_store_dwordx4 v[12:13], v[8:11], off
	global_store_dwordx4 v[12:13], v[4:7], off offset:16
                                        ; implicit-def: $vgpr44_vgpr45
                                        ; implicit-def: $vgpr46_vgpr47
                                        ; implicit-def: $vgpr48_vgpr49
                                        ; implicit-def: $vgpr50_vgpr51
                                        ; implicit-def: $vgpr52
                                        ; implicit-def: $vgpr4_vgpr5
                                        ; implicit-def: $vgpr6_vgpr7
                                        ; implicit-def: $vgpr0_vgpr1
                                        ; implicit-def: $vgpr2_vgpr3
.LBB260_23:
	s_andn2_saveexec_b64 s[0:1], s[0:1]
	s_cbranch_execz .LBB260_25
; %bb.24:
	v_lshlrev_b32_e32 v8, 1, v52
	v_ashrrev_i32_e32 v9, 31, v8
	s_waitcnt lgkmcnt(0)
	v_lshl_add_u64 v[16:17], v[8:9], 4, s[2:3]
	global_load_dwordx4 v[8:11], v[16:17], off
	global_load_dwordx4 v[12:15], v[16:17], off offset:16
	v_mul_f64 v[18:19], v[6:7], -v[46:47]
	v_mul_f64 v[6:7], v[44:45], v[6:7]
	v_mul_f64 v[20:21], v[2:3], -v[46:47]
	v_mul_f64 v[2:3], v[44:45], v[2:3]
	v_fmac_f64_e32 v[18:19], v[44:45], v[4:5]
	v_fmac_f64_e32 v[6:7], v[46:47], v[4:5]
	;; [unrolled: 1-line block ×4, first 2 shown]
	s_waitcnt vmcnt(1)
	v_fmac_f64_e32 v[18:19], v[48:49], v[8:9]
	v_fmac_f64_e32 v[6:7], v[50:51], v[8:9]
	s_waitcnt vmcnt(0)
	v_fmac_f64_e32 v[20:21], v[48:49], v[12:13]
	v_fmac_f64_e32 v[2:3], v[50:51], v[12:13]
	v_fma_f64 v[4:5], -v[50:51], v[10:11], v[18:19]
	v_fmac_f64_e32 v[6:7], v[48:49], v[10:11]
	v_fma_f64 v[0:1], -v[50:51], v[14:15], v[20:21]
	v_fmac_f64_e32 v[2:3], v[48:49], v[14:15]
	global_store_dwordx4 v[16:17], v[4:7], off
	global_store_dwordx4 v[16:17], v[0:3], off offset:16
.LBB260_25:
	s_endpgm
	.section	.rodata,"a",@progbits
	.p2align	6, 0x0
	.amdhsa_kernel _ZN9rocsparseL19gebsrmvn_2xn_kernelILj128ELj8ELj16E21rocsparse_complex_numIdEEEvi20rocsparse_direction_NS_24const_host_device_scalarIT2_EEPKiS8_PKS5_SA_S6_PS5_21rocsparse_index_base_b
		.amdhsa_group_segment_fixed_size 2048
		.amdhsa_private_segment_fixed_size 0
		.amdhsa_kernarg_size 88
		.amdhsa_user_sgpr_count 4
		.amdhsa_user_sgpr_dispatch_ptr 1
		.amdhsa_user_sgpr_queue_ptr 0
		.amdhsa_user_sgpr_kernarg_segment_ptr 1
		.amdhsa_user_sgpr_dispatch_id 0
		.amdhsa_user_sgpr_kernarg_preload_length 0
		.amdhsa_user_sgpr_kernarg_preload_offset 0
		.amdhsa_user_sgpr_private_segment_size 0
		.amdhsa_uses_dynamic_stack 0
		.amdhsa_enable_private_segment 0
		.amdhsa_system_sgpr_workgroup_id_x 1
		.amdhsa_system_sgpr_workgroup_id_y 0
		.amdhsa_system_sgpr_workgroup_id_z 0
		.amdhsa_system_sgpr_workgroup_info 0
		.amdhsa_system_vgpr_workitem_id 2
		.amdhsa_next_free_vgpr 106
		.amdhsa_next_free_sgpr 20
		.amdhsa_accum_offset 108
		.amdhsa_reserve_vcc 1
		.amdhsa_float_round_mode_32 0
		.amdhsa_float_round_mode_16_64 0
		.amdhsa_float_denorm_mode_32 3
		.amdhsa_float_denorm_mode_16_64 3
		.amdhsa_dx10_clamp 1
		.amdhsa_ieee_mode 1
		.amdhsa_fp16_overflow 0
		.amdhsa_tg_split 0
		.amdhsa_exception_fp_ieee_invalid_op 0
		.amdhsa_exception_fp_denorm_src 0
		.amdhsa_exception_fp_ieee_div_zero 0
		.amdhsa_exception_fp_ieee_overflow 0
		.amdhsa_exception_fp_ieee_underflow 0
		.amdhsa_exception_fp_ieee_inexact 0
		.amdhsa_exception_int_div_zero 0
	.end_amdhsa_kernel
	.section	.text._ZN9rocsparseL19gebsrmvn_2xn_kernelILj128ELj8ELj16E21rocsparse_complex_numIdEEEvi20rocsparse_direction_NS_24const_host_device_scalarIT2_EEPKiS8_PKS5_SA_S6_PS5_21rocsparse_index_base_b,"axG",@progbits,_ZN9rocsparseL19gebsrmvn_2xn_kernelILj128ELj8ELj16E21rocsparse_complex_numIdEEEvi20rocsparse_direction_NS_24const_host_device_scalarIT2_EEPKiS8_PKS5_SA_S6_PS5_21rocsparse_index_base_b,comdat
.Lfunc_end260:
	.size	_ZN9rocsparseL19gebsrmvn_2xn_kernelILj128ELj8ELj16E21rocsparse_complex_numIdEEEvi20rocsparse_direction_NS_24const_host_device_scalarIT2_EEPKiS8_PKS5_SA_S6_PS5_21rocsparse_index_base_b, .Lfunc_end260-_ZN9rocsparseL19gebsrmvn_2xn_kernelILj128ELj8ELj16E21rocsparse_complex_numIdEEEvi20rocsparse_direction_NS_24const_host_device_scalarIT2_EEPKiS8_PKS5_SA_S6_PS5_21rocsparse_index_base_b
                                        ; -- End function
	.section	.AMDGPU.csdata,"",@progbits
; Kernel info:
; codeLenInByte = 2464
; NumSgprs: 26
; NumVgprs: 106
; NumAgprs: 0
; TotalNumVgprs: 106
; ScratchSize: 0
; MemoryBound: 1
; FloatMode: 240
; IeeeMode: 1
; LDSByteSize: 2048 bytes/workgroup (compile time only)
; SGPRBlocks: 3
; VGPRBlocks: 13
; NumSGPRsForWavesPerEU: 26
; NumVGPRsForWavesPerEU: 106
; AccumOffset: 108
; Occupancy: 4
; WaveLimiterHint : 1
; COMPUTE_PGM_RSRC2:SCRATCH_EN: 0
; COMPUTE_PGM_RSRC2:USER_SGPR: 4
; COMPUTE_PGM_RSRC2:TRAP_HANDLER: 0
; COMPUTE_PGM_RSRC2:TGID_X_EN: 1
; COMPUTE_PGM_RSRC2:TGID_Y_EN: 0
; COMPUTE_PGM_RSRC2:TGID_Z_EN: 0
; COMPUTE_PGM_RSRC2:TIDIG_COMP_CNT: 2
; COMPUTE_PGM_RSRC3_GFX90A:ACCUM_OFFSET: 26
; COMPUTE_PGM_RSRC3_GFX90A:TG_SPLIT: 0
	.section	.text._ZN9rocsparseL19gebsrmvn_2xn_kernelILj128ELj8ELj32E21rocsparse_complex_numIdEEEvi20rocsparse_direction_NS_24const_host_device_scalarIT2_EEPKiS8_PKS5_SA_S6_PS5_21rocsparse_index_base_b,"axG",@progbits,_ZN9rocsparseL19gebsrmvn_2xn_kernelILj128ELj8ELj32E21rocsparse_complex_numIdEEEvi20rocsparse_direction_NS_24const_host_device_scalarIT2_EEPKiS8_PKS5_SA_S6_PS5_21rocsparse_index_base_b,comdat
	.globl	_ZN9rocsparseL19gebsrmvn_2xn_kernelILj128ELj8ELj32E21rocsparse_complex_numIdEEEvi20rocsparse_direction_NS_24const_host_device_scalarIT2_EEPKiS8_PKS5_SA_S6_PS5_21rocsparse_index_base_b ; -- Begin function _ZN9rocsparseL19gebsrmvn_2xn_kernelILj128ELj8ELj32E21rocsparse_complex_numIdEEEvi20rocsparse_direction_NS_24const_host_device_scalarIT2_EEPKiS8_PKS5_SA_S6_PS5_21rocsparse_index_base_b
	.p2align	8
	.type	_ZN9rocsparseL19gebsrmvn_2xn_kernelILj128ELj8ELj32E21rocsparse_complex_numIdEEEvi20rocsparse_direction_NS_24const_host_device_scalarIT2_EEPKiS8_PKS5_SA_S6_PS5_21rocsparse_index_base_b,@function
_ZN9rocsparseL19gebsrmvn_2xn_kernelILj128ELj8ELj32E21rocsparse_complex_numIdEEEvi20rocsparse_direction_NS_24const_host_device_scalarIT2_EEPKiS8_PKS5_SA_S6_PS5_21rocsparse_index_base_b: ; @_ZN9rocsparseL19gebsrmvn_2xn_kernelILj128ELj8ELj32E21rocsparse_complex_numIdEEEvi20rocsparse_direction_NS_24const_host_device_scalarIT2_EEPKiS8_PKS5_SA_S6_PS5_21rocsparse_index_base_b
; %bb.0:
	s_load_dwordx2 s[16:17], s[2:3], 0x50
	s_load_dwordx4 s[12:15], s[2:3], 0x8
	s_load_dwordx4 s[8:11], s[2:3], 0x38
	s_load_dwordx2 s[18:19], s[0:1], 0x4
	s_mov_b64 s[6:7], src_shared_base
	s_waitcnt lgkmcnt(0)
	s_bitcmp1_b32 s17, 0
	s_cselect_b64 s[0:1], -1, 0
	s_and_b64 vcc, s[0:1], exec
	s_cselect_b32 s5, s7, s13
	s_lshr_b32 s6, s18, 16
	v_bfe_u32 v2, v0, 10, 10
	v_and_b32_e32 v1, 0x3ff, v0
	s_mul_i32 s6, s6, s19
	v_mul_u32_u24_e32 v2, s19, v2
	v_mad_u32_u24 v2, s6, v1, v2
	v_bfe_u32 v0, v0, 20, 10
	v_add_lshl_u32 v0, v2, v0, 3
	v_mov_b32_e32 v6, s12
	v_add_u32_e32 v7, 0x400, v0
	v_mov_b64_e32 v[2:3], s[12:13]
	v_mov_b64_e32 v[4:5], s[8:9]
	ds_write2st64_b64 v0, v[4:5], v[2:3] offset1:2
	v_cndmask_b32_e64 v2, v6, v7, s[0:1]
	v_mov_b32_e32 v3, s5
	flat_load_dwordx2 v[44:45], v[2:3]
	s_xor_b64 s[18:19], s[0:1], -1
	v_mov_b64_e32 v[46:47], s[14:15]
	s_cbranch_vccnz .LBB261_2
; %bb.1:
	v_mov_b64_e32 v[2:3], s[12:13]
	flat_load_dwordx2 v[46:47], v[2:3] offset:8
.LBB261_2:
	s_and_b64 s[12:13], s[0:1], exec
	s_cselect_b32 s5, s7, s9
	v_mov_b32_e32 v2, s8
	v_cndmask_b32_e64 v2, v2, v0, s[0:1]
	v_mov_b32_e32 v3, s5
	flat_load_dwordx2 v[48:49], v[2:3]
	s_andn2_b64 vcc, exec, s[18:19]
	v_mov_b64_e32 v[50:51], s[10:11]
	s_cbranch_vccnz .LBB261_4
; %bb.3:
	v_mov_b64_e32 v[2:3], s[8:9]
	flat_load_dwordx2 v[50:51], v[2:3] offset:8
.LBB261_4:
	s_waitcnt vmcnt(0) lgkmcnt(0)
	v_cmp_eq_f64_e32 vcc, 0, v[44:45]
	v_cmp_eq_f64_e64 s[0:1], 0, v[46:47]
	s_and_b64 s[8:9], vcc, s[0:1]
	s_mov_b64 s[0:1], -1
	s_and_saveexec_b64 s[6:7], s[8:9]
; %bb.5:
	v_cmp_neq_f64_e32 vcc, 1.0, v[48:49]
	v_cmp_neq_f64_e64 s[0:1], 0, v[50:51]
	s_or_b64 s[0:1], vcc, s[0:1]
	s_orn2_b64 s[0:1], s[0:1], exec
; %bb.6:
	s_or_b64 exec, exec, s[6:7]
	s_and_saveexec_b64 s[6:7], s[0:1]
	s_cbranch_execz .LBB261_25
; %bb.7:
	s_load_dwordx2 s[0:1], s[2:3], 0x0
	v_lshrrev_b32_e32 v0, 5, v1
	v_lshl_or_b32 v52, s4, 2, v0
	s_waitcnt lgkmcnt(0)
	v_cmp_gt_i32_e32 vcc, s0, v52
	s_and_b64 exec, exec, vcc
	s_cbranch_execz .LBB261_25
; %bb.8:
	s_load_dwordx8 s[4:11], s[2:3], 0x18
	v_ashrrev_i32_e32 v53, 31, v52
	s_cmp_lg_u32 s1, 0
	s_waitcnt lgkmcnt(0)
	v_lshl_add_u64 v[2:3], v[52:53], 2, s[4:5]
	global_load_dwordx2 v[2:3], v[2:3], off
	v_and_b32_e32 v53, 31, v1
	s_waitcnt vmcnt(0)
	v_subrev_u32_e32 v0, s16, v2
	v_subrev_u32_e32 v74, s16, v3
	v_add_u32_e32 v58, v0, v53
	v_cmp_lt_i32_e64 s[0:1], v58, v74
	s_cbranch_scc0 .LBB261_14
; %bb.9:
	v_mov_b64_e32 v[56:57], 0
	s_mov_b64 s[4:5], 0
	v_mov_b64_e32 v[62:63], v[56:57]
	v_mov_b64_e32 v[60:61], v[56:57]
	;; [unrolled: 1-line block ×3, first 2 shown]
	s_and_saveexec_b64 s[12:13], s[0:1]
	s_cbranch_execz .LBB261_13
; %bb.10:
	v_mov_b64_e32 v[56:57], 0
	v_lshlrev_b32_e32 v64, 4, v58
	s_mov_b64 s[14:15], 0
	v_mov_b32_e32 v65, 0
	v_mov_b32_e32 v66, v58
	v_mov_b64_e32 v[62:63], v[56:57]
	v_mov_b64_e32 v[60:61], v[56:57]
	;; [unrolled: 1-line block ×3, first 2 shown]
.LBB261_11:                             ; =>This Inner Loop Header: Depth=1
	v_ashrrev_i32_e32 v67, 31, v66
	v_lshl_add_u64 v[68:69], v[64:65], 4, s[8:9]
	v_lshl_add_u64 v[72:73], v[66:67], 2, s[6:7]
	global_load_dwordx4 v[0:3], v[68:69], off offset:48
	global_load_dwordx4 v[8:11], v[68:69], off offset:32
	;; [unrolled: 1-line block ×3, first 2 shown]
	global_load_dwordx4 v[28:31], v[68:69], off
	global_load_dwordx4 v[4:7], v[68:69], off offset:112
	global_load_dwordx4 v[12:15], v[68:69], off offset:96
	;; [unrolled: 1-line block ×12, first 2 shown]
	global_load_dword v59, v[72:73], off
	v_mov_b32_e32 v71, v65
	v_add_u32_e32 v66, 32, v66
	v_cmp_ge_i32_e32 vcc, v66, v74
	v_add_u32_e32 v64, 0x200, v64
	s_or_b64 s[14:15], vcc, s[14:15]
	s_waitcnt vmcnt(0)
	v_subrev_u32_e32 v59, s16, v59
	v_lshlrev_b32_e32 v70, 3, v59
	v_lshl_add_u64 v[72:73], v[70:71], 4, s[10:11]
	global_load_dwordx4 v[68:71], v[72:73], off
	global_load_dwordx4 v[96:99], v[72:73], off offset:16
	global_load_dwordx4 v[100:103], v[72:73], off offset:32
	s_waitcnt vmcnt(2)
	v_fmac_f64_e32 v[62:63], v[28:29], v[68:69]
	v_fmac_f64_e32 v[56:57], v[30:31], v[68:69]
	v_fma_f64 v[104:105], -v[30:31], v[70:71], v[62:63]
	v_fmac_f64_e32 v[56:57], v[28:29], v[70:71]
	global_load_dwordx4 v[28:31], v[72:73], off offset:48
	v_fmac_f64_e32 v[60:61], v[20:21], v[68:69]
	v_fmac_f64_e32 v[54:55], v[22:23], v[68:69]
	v_fma_f64 v[68:69], -v[22:23], v[70:71], v[60:61]
	v_fmac_f64_e32 v[54:55], v[20:21], v[70:71]
	global_load_dwordx4 v[20:23], v[72:73], off offset:64
	global_load_dwordx4 v[60:63], v[72:73], off offset:80
	s_waitcnt vmcnt(4)
	v_fmac_f64_e32 v[104:105], v[8:9], v[96:97]
	v_fmac_f64_e32 v[56:57], v[10:11], v[96:97]
	v_fma_f64 v[70:71], -v[10:11], v[98:99], v[104:105]
	v_fmac_f64_e32 v[56:57], v[8:9], v[98:99]
	global_load_dwordx4 v[8:11], v[72:73], off offset:96
	v_fmac_f64_e32 v[68:69], v[0:1], v[96:97]
	v_fmac_f64_e32 v[54:55], v[2:3], v[96:97]
	v_fma_f64 v[68:69], -v[2:3], v[98:99], v[68:69]
	v_fmac_f64_e32 v[54:55], v[0:1], v[98:99]
	global_load_dwordx4 v[0:3], v[72:73], off offset:112
	s_waitcnt vmcnt(5)
	v_fmac_f64_e32 v[70:71], v[24:25], v[100:101]
	v_fmac_f64_e32 v[56:57], v[26:27], v[100:101]
	v_fmac_f64_e32 v[68:69], v[16:17], v[100:101]
	v_fmac_f64_e32 v[54:55], v[18:19], v[100:101]
	v_fma_f64 v[26:27], -v[26:27], v[102:103], v[70:71]
	v_fmac_f64_e32 v[56:57], v[24:25], v[102:103]
	v_fma_f64 v[18:19], -v[18:19], v[102:103], v[68:69]
	v_fmac_f64_e32 v[54:55], v[16:17], v[102:103]
	s_waitcnt vmcnt(4)
	v_fmac_f64_e32 v[26:27], v[12:13], v[28:29]
	v_fmac_f64_e32 v[56:57], v[14:15], v[28:29]
	v_fmac_f64_e32 v[18:19], v[4:5], v[28:29]
	v_fmac_f64_e32 v[54:55], v[6:7], v[28:29]
	v_fma_f64 v[14:15], -v[14:15], v[30:31], v[26:27]
	v_fmac_f64_e32 v[56:57], v[12:13], v[30:31]
	v_fma_f64 v[6:7], -v[6:7], v[30:31], v[18:19]
	v_fmac_f64_e32 v[54:55], v[4:5], v[30:31]
	;; [unrolled: 9-line block ×6, first 2 shown]
	s_andn2_b64 exec, exec, s[14:15]
	s_cbranch_execnz .LBB261_11
; %bb.12:
	s_or_b64 exec, exec, s[14:15]
.LBB261_13:
	s_or_b64 exec, exec, s[12:13]
	s_andn2_b64 vcc, exec, s[4:5]
	s_cbranch_vccz .LBB261_15
	s_branch .LBB261_20
.LBB261_14:
                                        ; implicit-def: $vgpr56_vgpr57
                                        ; implicit-def: $vgpr62_vgpr63
                                        ; implicit-def: $vgpr60_vgpr61
                                        ; implicit-def: $vgpr54_vgpr55
.LBB261_15:
	v_mov_b64_e32 v[56:57], 0
	v_mov_b64_e32 v[62:63], v[56:57]
	;; [unrolled: 1-line block ×4, first 2 shown]
	s_and_saveexec_b64 s[4:5], s[0:1]
	s_cbranch_execz .LBB261_19
; %bb.16:
	v_mov_b64_e32 v[56:57], 0
	v_lshlrev_b32_e32 v24, 4, v58
	s_mov_b64 s[0:1], 0
	v_mov_b32_e32 v25, 0
	v_mov_b64_e32 v[62:63], v[56:57]
	v_mov_b64_e32 v[60:61], v[56:57]
	;; [unrolled: 1-line block ×3, first 2 shown]
.LBB261_17:                             ; =>This Inner Loop Header: Depth=1
	v_ashrrev_i32_e32 v59, 31, v58
	v_lshl_add_u64 v[26:27], v[24:25], 4, s[8:9]
	v_lshl_add_u64 v[76:77], v[58:59], 2, s[6:7]
	global_load_dwordx4 v[0:3], v[26:27], off offset:48
	global_load_dwordx4 v[8:11], v[26:27], off offset:32
	;; [unrolled: 1-line block ×3, first 2 shown]
	global_load_dwordx4 v[28:31], v[26:27], off
	global_load_dwordx4 v[4:7], v[26:27], off offset:176
	global_load_dwordx4 v[32:35], v[26:27], off offset:160
	;; [unrolled: 1-line block ×8, first 2 shown]
	global_load_dword v59, v[76:77], off
	v_mov_b32_e32 v73, v25
	v_add_u32_e32 v58, 32, v58
	v_cmp_ge_i32_e32 vcc, v58, v74
	v_add_u32_e32 v24, 0x200, v24
	s_or_b64 s[0:1], vcc, s[0:1]
	s_waitcnt vmcnt(0)
	v_subrev_u32_e32 v59, s16, v59
	v_lshlrev_b32_e32 v72, 3, v59
	v_lshl_add_u64 v[72:73], v[72:73], 4, s[10:11]
	global_load_dwordx4 v[76:79], v[72:73], off
	global_load_dwordx4 v[80:83], v[72:73], off offset:16
	s_waitcnt vmcnt(1)
	v_fmac_f64_e32 v[62:63], v[28:29], v[76:77]
	v_fmac_f64_e32 v[56:57], v[30:31], v[76:77]
	v_fma_f64 v[84:85], -v[30:31], v[78:79], v[62:63]
	v_fmac_f64_e32 v[56:57], v[28:29], v[78:79]
	v_fmac_f64_e32 v[60:61], v[40:41], v[76:77]
	;; [unrolled: 1-line block ×3, first 2 shown]
	s_waitcnt vmcnt(0)
	v_fmac_f64_e32 v[84:85], v[16:17], v[80:81]
	v_fmac_f64_e32 v[56:57], v[18:19], v[80:81]
	global_load_dwordx4 v[28:31], v[26:27], off offset:240
	v_fma_f64 v[86:87], -v[42:43], v[78:79], v[60:61]
	v_fmac_f64_e32 v[54:55], v[40:41], v[78:79]
	global_load_dwordx4 v[40:43], v[26:27], off offset:224
	global_load_dwordx4 v[60:63], v[26:27], off offset:208
	;; [unrolled: 1-line block ×3, first 2 shown]
	v_fma_f64 v[26:27], -v[18:19], v[82:83], v[84:85]
	v_fmac_f64_e32 v[56:57], v[16:17], v[82:83]
	global_load_dwordx4 v[16:19], v[72:73], off offset:32
	v_fmac_f64_e32 v[86:87], v[36:37], v[80:81]
	v_fmac_f64_e32 v[54:55], v[38:39], v[80:81]
	v_fma_f64 v[84:85], -v[38:39], v[82:83], v[86:87]
	v_fmac_f64_e32 v[54:55], v[36:37], v[82:83]
	global_load_dwordx4 v[36:39], v[72:73], off offset:48
	global_load_dwordx4 v[80:83], v[72:73], off offset:64
	s_waitcnt vmcnt(2)
	v_fmac_f64_e32 v[26:27], v[8:9], v[16:17]
	v_fmac_f64_e32 v[56:57], v[10:11], v[16:17]
	v_fma_f64 v[26:27], -v[10:11], v[18:19], v[26:27]
	v_fmac_f64_e32 v[56:57], v[8:9], v[18:19]
	global_load_dwordx4 v[8:11], v[72:73], off offset:80
	v_fmac_f64_e32 v[84:85], v[32:33], v[16:17]
	v_fmac_f64_e32 v[54:55], v[34:35], v[16:17]
	v_fma_f64 v[84:85], -v[34:35], v[18:19], v[84:85]
	v_fmac_f64_e32 v[54:55], v[32:33], v[18:19]
	global_load_dwordx4 v[16:19], v[72:73], off offset:96
	global_load_dwordx4 v[32:35], v[72:73], off offset:112
	s_waitcnt vmcnt(4)
	v_fmac_f64_e32 v[26:27], v[0:1], v[36:37]
	v_fmac_f64_e32 v[56:57], v[2:3], v[36:37]
	v_fmac_f64_e32 v[84:85], v[4:5], v[36:37]
	v_fmac_f64_e32 v[54:55], v[6:7], v[36:37]
	v_fma_f64 v[2:3], -v[2:3], v[38:39], v[26:27]
	v_fmac_f64_e32 v[56:57], v[0:1], v[38:39]
	v_fma_f64 v[0:1], -v[6:7], v[38:39], v[84:85]
	v_fmac_f64_e32 v[54:55], v[4:5], v[38:39]
	s_waitcnt vmcnt(3)
	v_fmac_f64_e32 v[2:3], v[68:69], v[80:81]
	v_fmac_f64_e32 v[56:57], v[70:71], v[80:81]
	v_fmac_f64_e32 v[0:1], v[76:77], v[80:81]
	v_fmac_f64_e32 v[54:55], v[78:79], v[80:81]
	v_fma_f64 v[2:3], -v[70:71], v[82:83], v[2:3]
	v_fmac_f64_e32 v[56:57], v[68:69], v[82:83]
	v_fma_f64 v[0:1], -v[78:79], v[82:83], v[0:1]
	v_fmac_f64_e32 v[54:55], v[76:77], v[82:83]
	;; [unrolled: 9-line block ×5, first 2 shown]
	s_andn2_b64 exec, exec, s[0:1]
	s_cbranch_execnz .LBB261_17
; %bb.18:
	s_or_b64 exec, exec, s[0:1]
.LBB261_19:
	s_or_b64 exec, exec, s[4:5]
.LBB261_20:
	v_mov_b32_dpp v4, v56 row_shr:1 row_mask:0xf bank_mask:0xf
	v_mov_b32_dpp v5, v57 row_shr:1 row_mask:0xf bank_mask:0xf
	v_add_f64 v[4:5], v[56:57], v[4:5]
	v_mov_b32_dpp v0, v62 row_shr:1 row_mask:0xf bank_mask:0xf
	v_mov_b32_dpp v1, v63 row_shr:1 row_mask:0xf bank_mask:0xf
	;; [unrolled: 1-line block ×4, first 2 shown]
	v_add_f64 v[4:5], v[4:5], v[6:7]
	v_add_f64 v[0:1], v[62:63], v[0:1]
	v_cmp_eq_u32_e32 vcc, 31, v53
	v_mov_b32_dpp v6, v4 row_shr:4 row_mask:0xf bank_mask:0xe
	v_mov_b32_dpp v7, v5 row_shr:4 row_mask:0xf bank_mask:0xe
	v_add_f64 v[4:5], v[4:5], v[6:7]
	v_mov_b32_dpp v2, v0 row_shr:2 row_mask:0xf bank_mask:0xf
	v_mov_b32_dpp v3, v1 row_shr:2 row_mask:0xf bank_mask:0xf
	;; [unrolled: 1-line block ×4, first 2 shown]
	v_add_f64 v[6:7], v[4:5], v[6:7]
	v_mov_b32_dpp v4, v60 row_shr:1 row_mask:0xf bank_mask:0xf
	v_mov_b32_dpp v5, v61 row_shr:1 row_mask:0xf bank_mask:0xf
	v_add_f64 v[4:5], v[60:61], v[4:5]
	v_add_f64 v[0:1], v[0:1], v[2:3]
	v_mov_b32_dpp v8, v6 row_bcast:15 row_mask:0xa bank_mask:0xf
	v_mov_b32_dpp v10, v4 row_shr:2 row_mask:0xf bank_mask:0xf
	v_mov_b32_dpp v11, v5 row_shr:2 row_mask:0xf bank_mask:0xf
	v_add_f64 v[4:5], v[4:5], v[10:11]
	v_mov_b32_dpp v2, v0 row_shr:4 row_mask:0xf bank_mask:0xe
	v_mov_b32_dpp v3, v1 row_shr:4 row_mask:0xf bank_mask:0xe
	;; [unrolled: 1-line block ×4, first 2 shown]
	v_add_f64 v[4:5], v[4:5], v[10:11]
	v_add_f64 v[0:1], v[0:1], v[2:3]
	v_mov_b32_dpp v9, v7 row_bcast:15 row_mask:0xa bank_mask:0xf
	v_mov_b32_dpp v10, v4 row_shr:8 row_mask:0xf bank_mask:0xc
	v_mov_b32_dpp v11, v5 row_shr:8 row_mask:0xf bank_mask:0xc
	v_add_f64 v[10:11], v[4:5], v[10:11]
	v_mov_b32_dpp v4, v54 row_shr:1 row_mask:0xf bank_mask:0xf
	v_mov_b32_dpp v5, v55 row_shr:1 row_mask:0xf bank_mask:0xf
	v_add_f64 v[4:5], v[54:55], v[4:5]
	v_mov_b32_dpp v2, v0 row_shr:8 row_mask:0xf bank_mask:0xc
	v_mov_b32_dpp v3, v1 row_shr:8 row_mask:0xf bank_mask:0xc
	v_mov_b32_dpp v14, v4 row_shr:2 row_mask:0xf bank_mask:0xf
	v_mov_b32_dpp v15, v5 row_shr:2 row_mask:0xf bank_mask:0xf
	v_add_f64 v[4:5], v[4:5], v[14:15]
	v_add_f64 v[0:1], v[0:1], v[2:3]
	v_mov_b32_dpp v12, v10 row_bcast:15 row_mask:0xa bank_mask:0xf
	v_mov_b32_dpp v14, v4 row_shr:4 row_mask:0xf bank_mask:0xe
	v_mov_b32_dpp v15, v5 row_shr:4 row_mask:0xf bank_mask:0xe
	v_add_f64 v[4:5], v[4:5], v[14:15]
	v_mov_b32_dpp v2, v0 row_bcast:15 row_mask:0xa bank_mask:0xf
	v_mov_b32_dpp v3, v1 row_bcast:15 row_mask:0xa bank_mask:0xf
	v_mov_b32_dpp v14, v4 row_shr:8 row_mask:0xf bank_mask:0xc
	v_mov_b32_dpp v15, v5 row_shr:8 row_mask:0xf bank_mask:0xc
	v_add_f64 v[14:15], v[4:5], v[14:15]
	v_mov_b32_dpp v13, v11 row_bcast:15 row_mask:0xa bank_mask:0xf
	s_nop 0
	v_mov_b32_dpp v16, v14 row_bcast:15 row_mask:0xa bank_mask:0xf
	v_mov_b32_dpp v17, v15 row_bcast:15 row_mask:0xa bank_mask:0xf
	s_and_b64 exec, exec, vcc
	s_cbranch_execz .LBB261_25
; %bb.21:
	s_load_dwordx2 s[2:3], s[2:3], 0x48
	v_cmp_eq_f64_e32 vcc, 0, v[48:49]
	v_cmp_eq_f64_e64 s[0:1], 0, v[50:51]
	v_add_f64 v[4:5], v[0:1], v[2:3]
	v_add_f64 v[6:7], v[6:7], v[8:9]
	;; [unrolled: 1-line block ×4, first 2 shown]
	s_and_b64 s[0:1], vcc, s[0:1]
	s_and_saveexec_b64 s[4:5], s[0:1]
	s_xor_b64 s[0:1], exec, s[4:5]
	s_cbranch_execz .LBB261_23
; %bb.22:
	v_mul_f64 v[8:9], v[6:7], -v[46:47]
	v_mul_f64 v[10:11], v[44:45], v[6:7]
	v_fmac_f64_e32 v[8:9], v[44:45], v[4:5]
	v_fmac_f64_e32 v[10:11], v[46:47], v[4:5]
	v_lshlrev_b32_e32 v4, 1, v52
	v_ashrrev_i32_e32 v5, 31, v4
	s_waitcnt lgkmcnt(0)
	v_lshl_add_u64 v[12:13], v[4:5], 4, s[2:3]
	v_mul_f64 v[4:5], v[2:3], -v[46:47]
	v_mul_f64 v[6:7], v[44:45], v[2:3]
	v_fmac_f64_e32 v[4:5], v[44:45], v[0:1]
	v_fmac_f64_e32 v[6:7], v[46:47], v[0:1]
	global_store_dwordx4 v[12:13], v[8:11], off
	global_store_dwordx4 v[12:13], v[4:7], off offset:16
                                        ; implicit-def: $vgpr44_vgpr45
                                        ; implicit-def: $vgpr46_vgpr47
                                        ; implicit-def: $vgpr48_vgpr49
                                        ; implicit-def: $vgpr50_vgpr51
                                        ; implicit-def: $vgpr52
                                        ; implicit-def: $vgpr4_vgpr5
                                        ; implicit-def: $vgpr6_vgpr7
                                        ; implicit-def: $vgpr0_vgpr1
                                        ; implicit-def: $vgpr2_vgpr3
.LBB261_23:
	s_andn2_saveexec_b64 s[0:1], s[0:1]
	s_cbranch_execz .LBB261_25
; %bb.24:
	v_lshlrev_b32_e32 v8, 1, v52
	v_ashrrev_i32_e32 v9, 31, v8
	s_waitcnt lgkmcnt(0)
	v_lshl_add_u64 v[16:17], v[8:9], 4, s[2:3]
	global_load_dwordx4 v[8:11], v[16:17], off
	global_load_dwordx4 v[12:15], v[16:17], off offset:16
	v_mul_f64 v[18:19], v[6:7], -v[46:47]
	v_mul_f64 v[6:7], v[44:45], v[6:7]
	v_mul_f64 v[20:21], v[2:3], -v[46:47]
	v_mul_f64 v[2:3], v[44:45], v[2:3]
	v_fmac_f64_e32 v[18:19], v[44:45], v[4:5]
	v_fmac_f64_e32 v[6:7], v[46:47], v[4:5]
	;; [unrolled: 1-line block ×4, first 2 shown]
	s_waitcnt vmcnt(1)
	v_fmac_f64_e32 v[18:19], v[48:49], v[8:9]
	v_fmac_f64_e32 v[6:7], v[50:51], v[8:9]
	s_waitcnt vmcnt(0)
	v_fmac_f64_e32 v[20:21], v[48:49], v[12:13]
	v_fmac_f64_e32 v[2:3], v[50:51], v[12:13]
	v_fma_f64 v[4:5], -v[50:51], v[10:11], v[18:19]
	v_fmac_f64_e32 v[6:7], v[48:49], v[10:11]
	v_fma_f64 v[0:1], -v[50:51], v[14:15], v[20:21]
	v_fmac_f64_e32 v[2:3], v[48:49], v[14:15]
	global_store_dwordx4 v[16:17], v[4:7], off
	global_store_dwordx4 v[16:17], v[0:3], off offset:16
.LBB261_25:
	s_endpgm
	.section	.rodata,"a",@progbits
	.p2align	6, 0x0
	.amdhsa_kernel _ZN9rocsparseL19gebsrmvn_2xn_kernelILj128ELj8ELj32E21rocsparse_complex_numIdEEEvi20rocsparse_direction_NS_24const_host_device_scalarIT2_EEPKiS8_PKS5_SA_S6_PS5_21rocsparse_index_base_b
		.amdhsa_group_segment_fixed_size 2048
		.amdhsa_private_segment_fixed_size 0
		.amdhsa_kernarg_size 88
		.amdhsa_user_sgpr_count 4
		.amdhsa_user_sgpr_dispatch_ptr 1
		.amdhsa_user_sgpr_queue_ptr 0
		.amdhsa_user_sgpr_kernarg_segment_ptr 1
		.amdhsa_user_sgpr_dispatch_id 0
		.amdhsa_user_sgpr_kernarg_preload_length 0
		.amdhsa_user_sgpr_kernarg_preload_offset 0
		.amdhsa_user_sgpr_private_segment_size 0
		.amdhsa_uses_dynamic_stack 0
		.amdhsa_enable_private_segment 0
		.amdhsa_system_sgpr_workgroup_id_x 1
		.amdhsa_system_sgpr_workgroup_id_y 0
		.amdhsa_system_sgpr_workgroup_id_z 0
		.amdhsa_system_sgpr_workgroup_info 0
		.amdhsa_system_vgpr_workitem_id 2
		.amdhsa_next_free_vgpr 106
		.amdhsa_next_free_sgpr 20
		.amdhsa_accum_offset 108
		.amdhsa_reserve_vcc 1
		.amdhsa_float_round_mode_32 0
		.amdhsa_float_round_mode_16_64 0
		.amdhsa_float_denorm_mode_32 3
		.amdhsa_float_denorm_mode_16_64 3
		.amdhsa_dx10_clamp 1
		.amdhsa_ieee_mode 1
		.amdhsa_fp16_overflow 0
		.amdhsa_tg_split 0
		.amdhsa_exception_fp_ieee_invalid_op 0
		.amdhsa_exception_fp_denorm_src 0
		.amdhsa_exception_fp_ieee_div_zero 0
		.amdhsa_exception_fp_ieee_overflow 0
		.amdhsa_exception_fp_ieee_underflow 0
		.amdhsa_exception_fp_ieee_inexact 0
		.amdhsa_exception_int_div_zero 0
	.end_amdhsa_kernel
	.section	.text._ZN9rocsparseL19gebsrmvn_2xn_kernelILj128ELj8ELj32E21rocsparse_complex_numIdEEEvi20rocsparse_direction_NS_24const_host_device_scalarIT2_EEPKiS8_PKS5_SA_S6_PS5_21rocsparse_index_base_b,"axG",@progbits,_ZN9rocsparseL19gebsrmvn_2xn_kernelILj128ELj8ELj32E21rocsparse_complex_numIdEEEvi20rocsparse_direction_NS_24const_host_device_scalarIT2_EEPKiS8_PKS5_SA_S6_PS5_21rocsparse_index_base_b,comdat
.Lfunc_end261:
	.size	_ZN9rocsparseL19gebsrmvn_2xn_kernelILj128ELj8ELj32E21rocsparse_complex_numIdEEEvi20rocsparse_direction_NS_24const_host_device_scalarIT2_EEPKiS8_PKS5_SA_S6_PS5_21rocsparse_index_base_b, .Lfunc_end261-_ZN9rocsparseL19gebsrmvn_2xn_kernelILj128ELj8ELj32E21rocsparse_complex_numIdEEEvi20rocsparse_direction_NS_24const_host_device_scalarIT2_EEPKiS8_PKS5_SA_S6_PS5_21rocsparse_index_base_b
                                        ; -- End function
	.section	.AMDGPU.csdata,"",@progbits
; Kernel info:
; codeLenInByte = 2564
; NumSgprs: 26
; NumVgprs: 106
; NumAgprs: 0
; TotalNumVgprs: 106
; ScratchSize: 0
; MemoryBound: 1
; FloatMode: 240
; IeeeMode: 1
; LDSByteSize: 2048 bytes/workgroup (compile time only)
; SGPRBlocks: 3
; VGPRBlocks: 13
; NumSGPRsForWavesPerEU: 26
; NumVGPRsForWavesPerEU: 106
; AccumOffset: 108
; Occupancy: 4
; WaveLimiterHint : 1
; COMPUTE_PGM_RSRC2:SCRATCH_EN: 0
; COMPUTE_PGM_RSRC2:USER_SGPR: 4
; COMPUTE_PGM_RSRC2:TRAP_HANDLER: 0
; COMPUTE_PGM_RSRC2:TGID_X_EN: 1
; COMPUTE_PGM_RSRC2:TGID_Y_EN: 0
; COMPUTE_PGM_RSRC2:TGID_Z_EN: 0
; COMPUTE_PGM_RSRC2:TIDIG_COMP_CNT: 2
; COMPUTE_PGM_RSRC3_GFX90A:ACCUM_OFFSET: 26
; COMPUTE_PGM_RSRC3_GFX90A:TG_SPLIT: 0
	.section	.text._ZN9rocsparseL19gebsrmvn_2xn_kernelILj128ELj8ELj64E21rocsparse_complex_numIdEEEvi20rocsparse_direction_NS_24const_host_device_scalarIT2_EEPKiS8_PKS5_SA_S6_PS5_21rocsparse_index_base_b,"axG",@progbits,_ZN9rocsparseL19gebsrmvn_2xn_kernelILj128ELj8ELj64E21rocsparse_complex_numIdEEEvi20rocsparse_direction_NS_24const_host_device_scalarIT2_EEPKiS8_PKS5_SA_S6_PS5_21rocsparse_index_base_b,comdat
	.globl	_ZN9rocsparseL19gebsrmvn_2xn_kernelILj128ELj8ELj64E21rocsparse_complex_numIdEEEvi20rocsparse_direction_NS_24const_host_device_scalarIT2_EEPKiS8_PKS5_SA_S6_PS5_21rocsparse_index_base_b ; -- Begin function _ZN9rocsparseL19gebsrmvn_2xn_kernelILj128ELj8ELj64E21rocsparse_complex_numIdEEEvi20rocsparse_direction_NS_24const_host_device_scalarIT2_EEPKiS8_PKS5_SA_S6_PS5_21rocsparse_index_base_b
	.p2align	8
	.type	_ZN9rocsparseL19gebsrmvn_2xn_kernelILj128ELj8ELj64E21rocsparse_complex_numIdEEEvi20rocsparse_direction_NS_24const_host_device_scalarIT2_EEPKiS8_PKS5_SA_S6_PS5_21rocsparse_index_base_b,@function
_ZN9rocsparseL19gebsrmvn_2xn_kernelILj128ELj8ELj64E21rocsparse_complex_numIdEEEvi20rocsparse_direction_NS_24const_host_device_scalarIT2_EEPKiS8_PKS5_SA_S6_PS5_21rocsparse_index_base_b: ; @_ZN9rocsparseL19gebsrmvn_2xn_kernelILj128ELj8ELj64E21rocsparse_complex_numIdEEEvi20rocsparse_direction_NS_24const_host_device_scalarIT2_EEPKiS8_PKS5_SA_S6_PS5_21rocsparse_index_base_b
; %bb.0:
	s_load_dwordx2 s[16:17], s[2:3], 0x50
	s_load_dwordx4 s[12:15], s[2:3], 0x8
	s_load_dwordx4 s[8:11], s[2:3], 0x38
	s_load_dwordx2 s[18:19], s[0:1], 0x4
	s_mov_b64 s[6:7], src_shared_base
	s_waitcnt lgkmcnt(0)
	s_bitcmp1_b32 s17, 0
	s_cselect_b64 s[0:1], -1, 0
	s_and_b64 vcc, s[0:1], exec
	s_cselect_b32 s5, s7, s13
	s_lshr_b32 s6, s18, 16
	v_bfe_u32 v2, v0, 10, 10
	v_and_b32_e32 v1, 0x3ff, v0
	s_mul_i32 s6, s6, s19
	v_mul_u32_u24_e32 v2, s19, v2
	v_mad_u32_u24 v2, s6, v1, v2
	v_bfe_u32 v0, v0, 20, 10
	v_add_lshl_u32 v0, v2, v0, 3
	v_mov_b32_e32 v6, s12
	v_add_u32_e32 v7, 0x400, v0
	v_mov_b64_e32 v[2:3], s[12:13]
	v_mov_b64_e32 v[4:5], s[8:9]
	ds_write2st64_b64 v0, v[4:5], v[2:3] offset1:2
	v_cndmask_b32_e64 v2, v6, v7, s[0:1]
	v_mov_b32_e32 v3, s5
	flat_load_dwordx2 v[44:45], v[2:3]
	s_xor_b64 s[18:19], s[0:1], -1
	v_mov_b64_e32 v[46:47], s[14:15]
	s_cbranch_vccnz .LBB262_2
; %bb.1:
	v_mov_b64_e32 v[2:3], s[12:13]
	flat_load_dwordx2 v[46:47], v[2:3] offset:8
.LBB262_2:
	s_and_b64 s[12:13], s[0:1], exec
	s_cselect_b32 s5, s7, s9
	v_mov_b32_e32 v2, s8
	v_cndmask_b32_e64 v2, v2, v0, s[0:1]
	v_mov_b32_e32 v3, s5
	flat_load_dwordx2 v[48:49], v[2:3]
	s_andn2_b64 vcc, exec, s[18:19]
	v_mov_b64_e32 v[50:51], s[10:11]
	s_cbranch_vccnz .LBB262_4
; %bb.3:
	v_mov_b64_e32 v[2:3], s[8:9]
	flat_load_dwordx2 v[50:51], v[2:3] offset:8
.LBB262_4:
	s_waitcnt vmcnt(0) lgkmcnt(0)
	v_cmp_eq_f64_e32 vcc, 0, v[44:45]
	v_cmp_eq_f64_e64 s[0:1], 0, v[46:47]
	s_and_b64 s[8:9], vcc, s[0:1]
	s_mov_b64 s[0:1], -1
	s_and_saveexec_b64 s[6:7], s[8:9]
; %bb.5:
	v_cmp_neq_f64_e32 vcc, 1.0, v[48:49]
	v_cmp_neq_f64_e64 s[0:1], 0, v[50:51]
	s_or_b64 s[0:1], vcc, s[0:1]
	s_orn2_b64 s[0:1], s[0:1], exec
; %bb.6:
	s_or_b64 exec, exec, s[6:7]
	s_and_saveexec_b64 s[6:7], s[0:1]
	s_cbranch_execz .LBB262_25
; %bb.7:
	s_load_dwordx2 s[0:1], s[2:3], 0x0
	v_lshrrev_b32_e32 v0, 6, v1
	v_lshl_or_b32 v52, s4, 1, v0
	s_waitcnt lgkmcnt(0)
	v_cmp_gt_i32_e32 vcc, s0, v52
	s_and_b64 exec, exec, vcc
	s_cbranch_execz .LBB262_25
; %bb.8:
	s_load_dwordx8 s[4:11], s[2:3], 0x18
	v_ashrrev_i32_e32 v53, 31, v52
	s_cmp_lg_u32 s1, 0
	s_waitcnt lgkmcnt(0)
	v_lshl_add_u64 v[2:3], v[52:53], 2, s[4:5]
	global_load_dwordx2 v[2:3], v[2:3], off
	v_and_b32_e32 v53, 63, v1
	s_waitcnt vmcnt(0)
	v_subrev_u32_e32 v0, s16, v2
	v_subrev_u32_e32 v74, s16, v3
	v_add_u32_e32 v58, v0, v53
	v_cmp_lt_i32_e64 s[0:1], v58, v74
	s_cbranch_scc0 .LBB262_14
; %bb.9:
	v_mov_b64_e32 v[56:57], 0
	s_mov_b64 s[4:5], 0
	v_mov_b64_e32 v[62:63], v[56:57]
	v_mov_b64_e32 v[60:61], v[56:57]
	;; [unrolled: 1-line block ×3, first 2 shown]
	s_and_saveexec_b64 s[12:13], s[0:1]
	s_cbranch_execz .LBB262_13
; %bb.10:
	v_mov_b64_e32 v[56:57], 0
	v_lshlrev_b32_e32 v64, 4, v58
	s_mov_b64 s[14:15], 0
	v_mov_b32_e32 v65, 0
	v_mov_b32_e32 v66, v58
	v_mov_b64_e32 v[62:63], v[56:57]
	v_mov_b64_e32 v[60:61], v[56:57]
	;; [unrolled: 1-line block ×3, first 2 shown]
.LBB262_11:                             ; =>This Inner Loop Header: Depth=1
	v_ashrrev_i32_e32 v67, 31, v66
	v_lshl_add_u64 v[68:69], v[64:65], 4, s[8:9]
	v_lshl_add_u64 v[72:73], v[66:67], 2, s[6:7]
	global_load_dwordx4 v[0:3], v[68:69], off offset:48
	global_load_dwordx4 v[8:11], v[68:69], off offset:32
	;; [unrolled: 1-line block ×3, first 2 shown]
	global_load_dwordx4 v[28:31], v[68:69], off
	global_load_dwordx4 v[4:7], v[68:69], off offset:112
	global_load_dwordx4 v[12:15], v[68:69], off offset:96
	;; [unrolled: 1-line block ×12, first 2 shown]
	global_load_dword v59, v[72:73], off
	v_mov_b32_e32 v71, v65
	v_add_u32_e32 v66, 64, v66
	v_cmp_ge_i32_e32 vcc, v66, v74
	v_add_u32_e32 v64, 0x400, v64
	s_or_b64 s[14:15], vcc, s[14:15]
	s_waitcnt vmcnt(0)
	v_subrev_u32_e32 v59, s16, v59
	v_lshlrev_b32_e32 v70, 3, v59
	v_lshl_add_u64 v[72:73], v[70:71], 4, s[10:11]
	global_load_dwordx4 v[68:71], v[72:73], off
	global_load_dwordx4 v[96:99], v[72:73], off offset:16
	global_load_dwordx4 v[100:103], v[72:73], off offset:32
	s_waitcnt vmcnt(2)
	v_fmac_f64_e32 v[62:63], v[28:29], v[68:69]
	v_fmac_f64_e32 v[56:57], v[30:31], v[68:69]
	v_fma_f64 v[104:105], -v[30:31], v[70:71], v[62:63]
	v_fmac_f64_e32 v[56:57], v[28:29], v[70:71]
	global_load_dwordx4 v[28:31], v[72:73], off offset:48
	v_fmac_f64_e32 v[60:61], v[20:21], v[68:69]
	v_fmac_f64_e32 v[54:55], v[22:23], v[68:69]
	v_fma_f64 v[68:69], -v[22:23], v[70:71], v[60:61]
	v_fmac_f64_e32 v[54:55], v[20:21], v[70:71]
	global_load_dwordx4 v[20:23], v[72:73], off offset:64
	global_load_dwordx4 v[60:63], v[72:73], off offset:80
	s_waitcnt vmcnt(4)
	v_fmac_f64_e32 v[104:105], v[8:9], v[96:97]
	v_fmac_f64_e32 v[56:57], v[10:11], v[96:97]
	v_fma_f64 v[70:71], -v[10:11], v[98:99], v[104:105]
	v_fmac_f64_e32 v[56:57], v[8:9], v[98:99]
	global_load_dwordx4 v[8:11], v[72:73], off offset:96
	v_fmac_f64_e32 v[68:69], v[0:1], v[96:97]
	v_fmac_f64_e32 v[54:55], v[2:3], v[96:97]
	v_fma_f64 v[68:69], -v[2:3], v[98:99], v[68:69]
	v_fmac_f64_e32 v[54:55], v[0:1], v[98:99]
	global_load_dwordx4 v[0:3], v[72:73], off offset:112
	s_waitcnt vmcnt(5)
	v_fmac_f64_e32 v[70:71], v[24:25], v[100:101]
	v_fmac_f64_e32 v[56:57], v[26:27], v[100:101]
	v_fmac_f64_e32 v[68:69], v[16:17], v[100:101]
	v_fmac_f64_e32 v[54:55], v[18:19], v[100:101]
	v_fma_f64 v[26:27], -v[26:27], v[102:103], v[70:71]
	v_fmac_f64_e32 v[56:57], v[24:25], v[102:103]
	v_fma_f64 v[18:19], -v[18:19], v[102:103], v[68:69]
	v_fmac_f64_e32 v[54:55], v[16:17], v[102:103]
	s_waitcnt vmcnt(4)
	v_fmac_f64_e32 v[26:27], v[12:13], v[28:29]
	v_fmac_f64_e32 v[56:57], v[14:15], v[28:29]
	v_fmac_f64_e32 v[18:19], v[4:5], v[28:29]
	v_fmac_f64_e32 v[54:55], v[6:7], v[28:29]
	v_fma_f64 v[14:15], -v[14:15], v[30:31], v[26:27]
	v_fmac_f64_e32 v[56:57], v[12:13], v[30:31]
	v_fma_f64 v[6:7], -v[6:7], v[30:31], v[18:19]
	v_fmac_f64_e32 v[54:55], v[4:5], v[30:31]
	;; [unrolled: 9-line block ×6, first 2 shown]
	s_andn2_b64 exec, exec, s[14:15]
	s_cbranch_execnz .LBB262_11
; %bb.12:
	s_or_b64 exec, exec, s[14:15]
.LBB262_13:
	s_or_b64 exec, exec, s[12:13]
	s_andn2_b64 vcc, exec, s[4:5]
	s_cbranch_vccz .LBB262_15
	s_branch .LBB262_20
.LBB262_14:
                                        ; implicit-def: $vgpr56_vgpr57
                                        ; implicit-def: $vgpr62_vgpr63
                                        ; implicit-def: $vgpr60_vgpr61
                                        ; implicit-def: $vgpr54_vgpr55
.LBB262_15:
	v_mov_b64_e32 v[56:57], 0
	v_mov_b64_e32 v[62:63], v[56:57]
	;; [unrolled: 1-line block ×4, first 2 shown]
	s_and_saveexec_b64 s[4:5], s[0:1]
	s_cbranch_execz .LBB262_19
; %bb.16:
	v_mov_b64_e32 v[56:57], 0
	v_lshlrev_b32_e32 v24, 4, v58
	s_mov_b64 s[0:1], 0
	v_mov_b32_e32 v25, 0
	v_mov_b64_e32 v[62:63], v[56:57]
	v_mov_b64_e32 v[60:61], v[56:57]
	;; [unrolled: 1-line block ×3, first 2 shown]
.LBB262_17:                             ; =>This Inner Loop Header: Depth=1
	v_ashrrev_i32_e32 v59, 31, v58
	v_lshl_add_u64 v[26:27], v[24:25], 4, s[8:9]
	v_lshl_add_u64 v[76:77], v[58:59], 2, s[6:7]
	global_load_dwordx4 v[0:3], v[26:27], off offset:48
	global_load_dwordx4 v[8:11], v[26:27], off offset:32
	;; [unrolled: 1-line block ×3, first 2 shown]
	global_load_dwordx4 v[28:31], v[26:27], off
	global_load_dwordx4 v[4:7], v[26:27], off offset:176
	global_load_dwordx4 v[32:35], v[26:27], off offset:160
	;; [unrolled: 1-line block ×8, first 2 shown]
	global_load_dword v59, v[76:77], off
	v_mov_b32_e32 v73, v25
	v_add_u32_e32 v58, 64, v58
	v_cmp_ge_i32_e32 vcc, v58, v74
	v_add_u32_e32 v24, 0x400, v24
	s_or_b64 s[0:1], vcc, s[0:1]
	s_waitcnt vmcnt(0)
	v_subrev_u32_e32 v59, s16, v59
	v_lshlrev_b32_e32 v72, 3, v59
	v_lshl_add_u64 v[72:73], v[72:73], 4, s[10:11]
	global_load_dwordx4 v[76:79], v[72:73], off
	global_load_dwordx4 v[80:83], v[72:73], off offset:16
	s_waitcnt vmcnt(1)
	v_fmac_f64_e32 v[62:63], v[28:29], v[76:77]
	v_fmac_f64_e32 v[56:57], v[30:31], v[76:77]
	v_fma_f64 v[84:85], -v[30:31], v[78:79], v[62:63]
	v_fmac_f64_e32 v[56:57], v[28:29], v[78:79]
	v_fmac_f64_e32 v[60:61], v[40:41], v[76:77]
	;; [unrolled: 1-line block ×3, first 2 shown]
	s_waitcnt vmcnt(0)
	v_fmac_f64_e32 v[84:85], v[16:17], v[80:81]
	v_fmac_f64_e32 v[56:57], v[18:19], v[80:81]
	global_load_dwordx4 v[28:31], v[26:27], off offset:240
	v_fma_f64 v[86:87], -v[42:43], v[78:79], v[60:61]
	v_fmac_f64_e32 v[54:55], v[40:41], v[78:79]
	global_load_dwordx4 v[40:43], v[26:27], off offset:224
	global_load_dwordx4 v[60:63], v[26:27], off offset:208
	;; [unrolled: 1-line block ×3, first 2 shown]
	v_fma_f64 v[26:27], -v[18:19], v[82:83], v[84:85]
	v_fmac_f64_e32 v[56:57], v[16:17], v[82:83]
	global_load_dwordx4 v[16:19], v[72:73], off offset:32
	v_fmac_f64_e32 v[86:87], v[36:37], v[80:81]
	v_fmac_f64_e32 v[54:55], v[38:39], v[80:81]
	v_fma_f64 v[84:85], -v[38:39], v[82:83], v[86:87]
	v_fmac_f64_e32 v[54:55], v[36:37], v[82:83]
	global_load_dwordx4 v[36:39], v[72:73], off offset:48
	global_load_dwordx4 v[80:83], v[72:73], off offset:64
	s_waitcnt vmcnt(2)
	v_fmac_f64_e32 v[26:27], v[8:9], v[16:17]
	v_fmac_f64_e32 v[56:57], v[10:11], v[16:17]
	v_fma_f64 v[26:27], -v[10:11], v[18:19], v[26:27]
	v_fmac_f64_e32 v[56:57], v[8:9], v[18:19]
	global_load_dwordx4 v[8:11], v[72:73], off offset:80
	v_fmac_f64_e32 v[84:85], v[32:33], v[16:17]
	v_fmac_f64_e32 v[54:55], v[34:35], v[16:17]
	v_fma_f64 v[84:85], -v[34:35], v[18:19], v[84:85]
	v_fmac_f64_e32 v[54:55], v[32:33], v[18:19]
	global_load_dwordx4 v[16:19], v[72:73], off offset:96
	global_load_dwordx4 v[32:35], v[72:73], off offset:112
	s_waitcnt vmcnt(4)
	v_fmac_f64_e32 v[26:27], v[0:1], v[36:37]
	v_fmac_f64_e32 v[56:57], v[2:3], v[36:37]
	v_fmac_f64_e32 v[84:85], v[4:5], v[36:37]
	v_fmac_f64_e32 v[54:55], v[6:7], v[36:37]
	v_fma_f64 v[2:3], -v[2:3], v[38:39], v[26:27]
	v_fmac_f64_e32 v[56:57], v[0:1], v[38:39]
	v_fma_f64 v[0:1], -v[6:7], v[38:39], v[84:85]
	v_fmac_f64_e32 v[54:55], v[4:5], v[38:39]
	s_waitcnt vmcnt(3)
	v_fmac_f64_e32 v[2:3], v[68:69], v[80:81]
	v_fmac_f64_e32 v[56:57], v[70:71], v[80:81]
	v_fmac_f64_e32 v[0:1], v[76:77], v[80:81]
	v_fmac_f64_e32 v[54:55], v[78:79], v[80:81]
	v_fma_f64 v[2:3], -v[70:71], v[82:83], v[2:3]
	v_fmac_f64_e32 v[56:57], v[68:69], v[82:83]
	v_fma_f64 v[0:1], -v[78:79], v[82:83], v[0:1]
	v_fmac_f64_e32 v[54:55], v[76:77], v[82:83]
	;; [unrolled: 9-line block ×5, first 2 shown]
	s_andn2_b64 exec, exec, s[0:1]
	s_cbranch_execnz .LBB262_17
; %bb.18:
	s_or_b64 exec, exec, s[0:1]
.LBB262_19:
	s_or_b64 exec, exec, s[4:5]
.LBB262_20:
	v_mov_b32_dpp v4, v56 row_shr:1 row_mask:0xf bank_mask:0xf
	v_mov_b32_dpp v5, v57 row_shr:1 row_mask:0xf bank_mask:0xf
	v_add_f64 v[4:5], v[56:57], v[4:5]
	v_mov_b32_dpp v0, v62 row_shr:1 row_mask:0xf bank_mask:0xf
	v_mov_b32_dpp v1, v63 row_shr:1 row_mask:0xf bank_mask:0xf
	;; [unrolled: 1-line block ×4, first 2 shown]
	v_add_f64 v[4:5], v[4:5], v[6:7]
	v_add_f64 v[0:1], v[62:63], v[0:1]
	v_cmp_eq_u32_e32 vcc, 63, v53
	v_mov_b32_dpp v6, v4 row_shr:4 row_mask:0xf bank_mask:0xe
	v_mov_b32_dpp v7, v5 row_shr:4 row_mask:0xf bank_mask:0xe
	v_add_f64 v[4:5], v[4:5], v[6:7]
	v_mov_b32_dpp v2, v0 row_shr:2 row_mask:0xf bank_mask:0xf
	v_mov_b32_dpp v3, v1 row_shr:2 row_mask:0xf bank_mask:0xf
	;; [unrolled: 1-line block ×4, first 2 shown]
	v_add_f64 v[4:5], v[4:5], v[6:7]
	v_add_f64 v[0:1], v[0:1], v[2:3]
	s_nop 0
	v_mov_b32_dpp v6, v4 row_bcast:15 row_mask:0xa bank_mask:0xf
	v_mov_b32_dpp v7, v5 row_bcast:15 row_mask:0xa bank_mask:0xf
	v_add_f64 v[6:7], v[4:5], v[6:7]
	v_mov_b32_dpp v4, v60 row_shr:1 row_mask:0xf bank_mask:0xf
	v_mov_b32_dpp v5, v61 row_shr:1 row_mask:0xf bank_mask:0xf
	v_add_f64 v[4:5], v[60:61], v[4:5]
	v_mov_b32_dpp v2, v0 row_shr:4 row_mask:0xf bank_mask:0xe
	v_mov_b32_dpp v3, v1 row_shr:4 row_mask:0xf bank_mask:0xe
	;; [unrolled: 1-line block ×4, first 2 shown]
	v_add_f64 v[4:5], v[4:5], v[10:11]
	v_add_f64 v[0:1], v[0:1], v[2:3]
	v_mov_b32_dpp v8, v6 row_bcast:31 row_mask:0xc bank_mask:0xf
	v_mov_b32_dpp v10, v4 row_shr:4 row_mask:0xf bank_mask:0xe
	v_mov_b32_dpp v11, v5 row_shr:4 row_mask:0xf bank_mask:0xe
	v_add_f64 v[4:5], v[4:5], v[10:11]
	v_mov_b32_dpp v2, v0 row_shr:8 row_mask:0xf bank_mask:0xc
	v_mov_b32_dpp v3, v1 row_shr:8 row_mask:0xf bank_mask:0xc
	;; [unrolled: 1-line block ×4, first 2 shown]
	v_add_f64 v[4:5], v[4:5], v[10:11]
	v_add_f64 v[0:1], v[0:1], v[2:3]
	v_mov_b32_dpp v9, v7 row_bcast:31 row_mask:0xc bank_mask:0xf
	v_mov_b32_dpp v10, v4 row_bcast:15 row_mask:0xa bank_mask:0xf
	;; [unrolled: 1-line block ×3, first 2 shown]
	v_add_f64 v[10:11], v[4:5], v[10:11]
	v_mov_b32_dpp v4, v54 row_shr:1 row_mask:0xf bank_mask:0xf
	v_mov_b32_dpp v5, v55 row_shr:1 row_mask:0xf bank_mask:0xf
	v_add_f64 v[4:5], v[54:55], v[4:5]
	v_mov_b32_dpp v2, v0 row_bcast:15 row_mask:0xa bank_mask:0xf
	v_mov_b32_dpp v3, v1 row_bcast:15 row_mask:0xa bank_mask:0xf
	v_mov_b32_dpp v14, v4 row_shr:2 row_mask:0xf bank_mask:0xf
	v_mov_b32_dpp v15, v5 row_shr:2 row_mask:0xf bank_mask:0xf
	v_add_f64 v[4:5], v[4:5], v[14:15]
	v_add_f64 v[0:1], v[0:1], v[2:3]
	v_mov_b32_dpp v12, v10 row_bcast:31 row_mask:0xc bank_mask:0xf
	v_mov_b32_dpp v14, v4 row_shr:4 row_mask:0xf bank_mask:0xe
	v_mov_b32_dpp v15, v5 row_shr:4 row_mask:0xf bank_mask:0xe
	v_add_f64 v[4:5], v[4:5], v[14:15]
	v_mov_b32_dpp v2, v0 row_bcast:31 row_mask:0xc bank_mask:0xf
	v_mov_b32_dpp v3, v1 row_bcast:31 row_mask:0xc bank_mask:0xf
	v_mov_b32_dpp v14, v4 row_shr:8 row_mask:0xf bank_mask:0xc
	v_mov_b32_dpp v15, v5 row_shr:8 row_mask:0xf bank_mask:0xc
	v_add_f64 v[4:5], v[4:5], v[14:15]
	v_mov_b32_dpp v13, v11 row_bcast:31 row_mask:0xc bank_mask:0xf
	s_nop 0
	v_mov_b32_dpp v14, v4 row_bcast:15 row_mask:0xa bank_mask:0xf
	v_mov_b32_dpp v15, v5 row_bcast:15 row_mask:0xa bank_mask:0xf
	v_add_f64 v[14:15], v[4:5], v[14:15]
	s_nop 1
	v_mov_b32_dpp v16, v14 row_bcast:31 row_mask:0xc bank_mask:0xf
	v_mov_b32_dpp v17, v15 row_bcast:31 row_mask:0xc bank_mask:0xf
	s_and_b64 exec, exec, vcc
	s_cbranch_execz .LBB262_25
; %bb.21:
	s_load_dwordx2 s[2:3], s[2:3], 0x48
	v_cmp_eq_f64_e32 vcc, 0, v[48:49]
	v_cmp_eq_f64_e64 s[0:1], 0, v[50:51]
	v_add_f64 v[4:5], v[0:1], v[2:3]
	v_add_f64 v[6:7], v[6:7], v[8:9]
	;; [unrolled: 1-line block ×4, first 2 shown]
	s_and_b64 s[0:1], vcc, s[0:1]
	s_and_saveexec_b64 s[4:5], s[0:1]
	s_xor_b64 s[0:1], exec, s[4:5]
	s_cbranch_execz .LBB262_23
; %bb.22:
	v_mul_f64 v[8:9], v[6:7], -v[46:47]
	v_mul_f64 v[10:11], v[44:45], v[6:7]
	v_fmac_f64_e32 v[8:9], v[44:45], v[4:5]
	v_fmac_f64_e32 v[10:11], v[46:47], v[4:5]
	v_lshlrev_b32_e32 v4, 1, v52
	v_ashrrev_i32_e32 v5, 31, v4
	s_waitcnt lgkmcnt(0)
	v_lshl_add_u64 v[12:13], v[4:5], 4, s[2:3]
	v_mul_f64 v[4:5], v[2:3], -v[46:47]
	v_mul_f64 v[6:7], v[44:45], v[2:3]
	v_fmac_f64_e32 v[4:5], v[44:45], v[0:1]
	v_fmac_f64_e32 v[6:7], v[46:47], v[0:1]
	global_store_dwordx4 v[12:13], v[8:11], off
	global_store_dwordx4 v[12:13], v[4:7], off offset:16
                                        ; implicit-def: $vgpr44_vgpr45
                                        ; implicit-def: $vgpr46_vgpr47
                                        ; implicit-def: $vgpr48_vgpr49
                                        ; implicit-def: $vgpr50_vgpr51
                                        ; implicit-def: $vgpr52
                                        ; implicit-def: $vgpr4_vgpr5
                                        ; implicit-def: $vgpr6_vgpr7
                                        ; implicit-def: $vgpr0_vgpr1
                                        ; implicit-def: $vgpr2_vgpr3
.LBB262_23:
	s_andn2_saveexec_b64 s[0:1], s[0:1]
	s_cbranch_execz .LBB262_25
; %bb.24:
	v_lshlrev_b32_e32 v8, 1, v52
	v_ashrrev_i32_e32 v9, 31, v8
	s_waitcnt lgkmcnt(0)
	v_lshl_add_u64 v[16:17], v[8:9], 4, s[2:3]
	global_load_dwordx4 v[8:11], v[16:17], off
	global_load_dwordx4 v[12:15], v[16:17], off offset:16
	v_mul_f64 v[18:19], v[6:7], -v[46:47]
	v_mul_f64 v[6:7], v[44:45], v[6:7]
	v_mul_f64 v[20:21], v[2:3], -v[46:47]
	v_mul_f64 v[2:3], v[44:45], v[2:3]
	v_fmac_f64_e32 v[18:19], v[44:45], v[4:5]
	v_fmac_f64_e32 v[6:7], v[46:47], v[4:5]
	;; [unrolled: 1-line block ×4, first 2 shown]
	s_waitcnt vmcnt(1)
	v_fmac_f64_e32 v[18:19], v[48:49], v[8:9]
	v_fmac_f64_e32 v[6:7], v[50:51], v[8:9]
	s_waitcnt vmcnt(0)
	v_fmac_f64_e32 v[20:21], v[48:49], v[12:13]
	v_fmac_f64_e32 v[2:3], v[50:51], v[12:13]
	v_fma_f64 v[4:5], -v[50:51], v[10:11], v[18:19]
	v_fmac_f64_e32 v[6:7], v[48:49], v[10:11]
	v_fma_f64 v[0:1], -v[50:51], v[14:15], v[20:21]
	v_fmac_f64_e32 v[2:3], v[48:49], v[14:15]
	global_store_dwordx4 v[16:17], v[4:7], off
	global_store_dwordx4 v[16:17], v[0:3], off offset:16
.LBB262_25:
	s_endpgm
	.section	.rodata,"a",@progbits
	.p2align	6, 0x0
	.amdhsa_kernel _ZN9rocsparseL19gebsrmvn_2xn_kernelILj128ELj8ELj64E21rocsparse_complex_numIdEEEvi20rocsparse_direction_NS_24const_host_device_scalarIT2_EEPKiS8_PKS5_SA_S6_PS5_21rocsparse_index_base_b
		.amdhsa_group_segment_fixed_size 2048
		.amdhsa_private_segment_fixed_size 0
		.amdhsa_kernarg_size 88
		.amdhsa_user_sgpr_count 4
		.amdhsa_user_sgpr_dispatch_ptr 1
		.amdhsa_user_sgpr_queue_ptr 0
		.amdhsa_user_sgpr_kernarg_segment_ptr 1
		.amdhsa_user_sgpr_dispatch_id 0
		.amdhsa_user_sgpr_kernarg_preload_length 0
		.amdhsa_user_sgpr_kernarg_preload_offset 0
		.amdhsa_user_sgpr_private_segment_size 0
		.amdhsa_uses_dynamic_stack 0
		.amdhsa_enable_private_segment 0
		.amdhsa_system_sgpr_workgroup_id_x 1
		.amdhsa_system_sgpr_workgroup_id_y 0
		.amdhsa_system_sgpr_workgroup_id_z 0
		.amdhsa_system_sgpr_workgroup_info 0
		.amdhsa_system_vgpr_workitem_id 2
		.amdhsa_next_free_vgpr 106
		.amdhsa_next_free_sgpr 20
		.amdhsa_accum_offset 108
		.amdhsa_reserve_vcc 1
		.amdhsa_float_round_mode_32 0
		.amdhsa_float_round_mode_16_64 0
		.amdhsa_float_denorm_mode_32 3
		.amdhsa_float_denorm_mode_16_64 3
		.amdhsa_dx10_clamp 1
		.amdhsa_ieee_mode 1
		.amdhsa_fp16_overflow 0
		.amdhsa_tg_split 0
		.amdhsa_exception_fp_ieee_invalid_op 0
		.amdhsa_exception_fp_denorm_src 0
		.amdhsa_exception_fp_ieee_div_zero 0
		.amdhsa_exception_fp_ieee_overflow 0
		.amdhsa_exception_fp_ieee_underflow 0
		.amdhsa_exception_fp_ieee_inexact 0
		.amdhsa_exception_int_div_zero 0
	.end_amdhsa_kernel
	.section	.text._ZN9rocsparseL19gebsrmvn_2xn_kernelILj128ELj8ELj64E21rocsparse_complex_numIdEEEvi20rocsparse_direction_NS_24const_host_device_scalarIT2_EEPKiS8_PKS5_SA_S6_PS5_21rocsparse_index_base_b,"axG",@progbits,_ZN9rocsparseL19gebsrmvn_2xn_kernelILj128ELj8ELj64E21rocsparse_complex_numIdEEEvi20rocsparse_direction_NS_24const_host_device_scalarIT2_EEPKiS8_PKS5_SA_S6_PS5_21rocsparse_index_base_b,comdat
.Lfunc_end262:
	.size	_ZN9rocsparseL19gebsrmvn_2xn_kernelILj128ELj8ELj64E21rocsparse_complex_numIdEEEvi20rocsparse_direction_NS_24const_host_device_scalarIT2_EEPKiS8_PKS5_SA_S6_PS5_21rocsparse_index_base_b, .Lfunc_end262-_ZN9rocsparseL19gebsrmvn_2xn_kernelILj128ELj8ELj64E21rocsparse_complex_numIdEEEvi20rocsparse_direction_NS_24const_host_device_scalarIT2_EEPKiS8_PKS5_SA_S6_PS5_21rocsparse_index_base_b
                                        ; -- End function
	.section	.AMDGPU.csdata,"",@progbits
; Kernel info:
; codeLenInByte = 2668
; NumSgprs: 26
; NumVgprs: 106
; NumAgprs: 0
; TotalNumVgprs: 106
; ScratchSize: 0
; MemoryBound: 1
; FloatMode: 240
; IeeeMode: 1
; LDSByteSize: 2048 bytes/workgroup (compile time only)
; SGPRBlocks: 3
; VGPRBlocks: 13
; NumSGPRsForWavesPerEU: 26
; NumVGPRsForWavesPerEU: 106
; AccumOffset: 108
; Occupancy: 4
; WaveLimiterHint : 1
; COMPUTE_PGM_RSRC2:SCRATCH_EN: 0
; COMPUTE_PGM_RSRC2:USER_SGPR: 4
; COMPUTE_PGM_RSRC2:TRAP_HANDLER: 0
; COMPUTE_PGM_RSRC2:TGID_X_EN: 1
; COMPUTE_PGM_RSRC2:TGID_Y_EN: 0
; COMPUTE_PGM_RSRC2:TGID_Z_EN: 0
; COMPUTE_PGM_RSRC2:TIDIG_COMP_CNT: 2
; COMPUTE_PGM_RSRC3_GFX90A:ACCUM_OFFSET: 26
; COMPUTE_PGM_RSRC3_GFX90A:TG_SPLIT: 0
	.section	.text._ZN9rocsparseL19gebsrmvn_2xn_kernelILj128ELj9ELj4E21rocsparse_complex_numIdEEEvi20rocsparse_direction_NS_24const_host_device_scalarIT2_EEPKiS8_PKS5_SA_S6_PS5_21rocsparse_index_base_b,"axG",@progbits,_ZN9rocsparseL19gebsrmvn_2xn_kernelILj128ELj9ELj4E21rocsparse_complex_numIdEEEvi20rocsparse_direction_NS_24const_host_device_scalarIT2_EEPKiS8_PKS5_SA_S6_PS5_21rocsparse_index_base_b,comdat
	.globl	_ZN9rocsparseL19gebsrmvn_2xn_kernelILj128ELj9ELj4E21rocsparse_complex_numIdEEEvi20rocsparse_direction_NS_24const_host_device_scalarIT2_EEPKiS8_PKS5_SA_S6_PS5_21rocsparse_index_base_b ; -- Begin function _ZN9rocsparseL19gebsrmvn_2xn_kernelILj128ELj9ELj4E21rocsparse_complex_numIdEEEvi20rocsparse_direction_NS_24const_host_device_scalarIT2_EEPKiS8_PKS5_SA_S6_PS5_21rocsparse_index_base_b
	.p2align	8
	.type	_ZN9rocsparseL19gebsrmvn_2xn_kernelILj128ELj9ELj4E21rocsparse_complex_numIdEEEvi20rocsparse_direction_NS_24const_host_device_scalarIT2_EEPKiS8_PKS5_SA_S6_PS5_21rocsparse_index_base_b,@function
_ZN9rocsparseL19gebsrmvn_2xn_kernelILj128ELj9ELj4E21rocsparse_complex_numIdEEEvi20rocsparse_direction_NS_24const_host_device_scalarIT2_EEPKiS8_PKS5_SA_S6_PS5_21rocsparse_index_base_b: ; @_ZN9rocsparseL19gebsrmvn_2xn_kernelILj128ELj9ELj4E21rocsparse_complex_numIdEEEvi20rocsparse_direction_NS_24const_host_device_scalarIT2_EEPKiS8_PKS5_SA_S6_PS5_21rocsparse_index_base_b
; %bb.0:
	s_load_dwordx2 s[16:17], s[2:3], 0x50
	s_load_dwordx4 s[12:15], s[2:3], 0x8
	s_load_dwordx4 s[8:11], s[2:3], 0x38
	s_load_dwordx2 s[18:19], s[0:1], 0x4
	s_mov_b64 s[6:7], src_shared_base
	s_waitcnt lgkmcnt(0)
	s_bitcmp1_b32 s17, 0
	s_cselect_b64 s[0:1], -1, 0
	s_and_b64 vcc, s[0:1], exec
	s_cselect_b32 s5, s7, s13
	s_lshr_b32 s6, s18, 16
	v_bfe_u32 v2, v0, 10, 10
	v_and_b32_e32 v1, 0x3ff, v0
	s_mul_i32 s6, s6, s19
	v_mul_u32_u24_e32 v2, s19, v2
	v_mad_u32_u24 v2, s6, v1, v2
	v_bfe_u32 v0, v0, 20, 10
	v_add_lshl_u32 v0, v2, v0, 3
	v_mov_b32_e32 v6, s12
	v_add_u32_e32 v7, 0x400, v0
	v_mov_b64_e32 v[2:3], s[12:13]
	v_mov_b64_e32 v[4:5], s[8:9]
	ds_write2st64_b64 v0, v[4:5], v[2:3] offset1:2
	v_cndmask_b32_e64 v2, v6, v7, s[0:1]
	v_mov_b32_e32 v3, s5
	flat_load_dwordx2 v[4:5], v[2:3]
	s_xor_b64 s[18:19], s[0:1], -1
	v_mov_b64_e32 v[6:7], s[14:15]
	s_cbranch_vccnz .LBB263_2
; %bb.1:
	v_mov_b64_e32 v[2:3], s[12:13]
	flat_load_dwordx2 v[6:7], v[2:3] offset:8
.LBB263_2:
	s_and_b64 s[12:13], s[0:1], exec
	s_cselect_b32 s5, s7, s9
	v_mov_b32_e32 v2, s8
	v_cndmask_b32_e64 v2, v2, v0, s[0:1]
	v_mov_b32_e32 v3, s5
	flat_load_dwordx2 v[8:9], v[2:3]
	s_andn2_b64 vcc, exec, s[18:19]
	v_mov_b64_e32 v[10:11], s[10:11]
	s_cbranch_vccnz .LBB263_4
; %bb.3:
	v_mov_b64_e32 v[2:3], s[8:9]
	flat_load_dwordx2 v[10:11], v[2:3] offset:8
.LBB263_4:
	s_waitcnt vmcnt(0) lgkmcnt(0)
	v_cmp_eq_f64_e32 vcc, 0, v[4:5]
	v_cmp_eq_f64_e64 s[0:1], 0, v[6:7]
	s_and_b64 s[8:9], vcc, s[0:1]
	s_mov_b64 s[0:1], -1
	s_and_saveexec_b64 s[6:7], s[8:9]
; %bb.5:
	v_cmp_neq_f64_e32 vcc, 1.0, v[8:9]
	v_cmp_neq_f64_e64 s[0:1], 0, v[10:11]
	s_or_b64 s[0:1], vcc, s[0:1]
	s_orn2_b64 s[0:1], s[0:1], exec
; %bb.6:
	s_or_b64 exec, exec, s[6:7]
	s_and_saveexec_b64 s[6:7], s[0:1]
	s_cbranch_execz .LBB263_25
; %bb.7:
	s_load_dwordx2 s[0:1], s[2:3], 0x0
	v_lshrrev_b32_e32 v0, 2, v1
	v_lshl_or_b32 v12, s4, 5, v0
	s_waitcnt lgkmcnt(0)
	v_cmp_gt_i32_e32 vcc, s0, v12
	s_and_b64 exec, exec, vcc
	s_cbranch_execz .LBB263_25
; %bb.8:
	s_load_dwordx8 s[4:11], s[2:3], 0x18
	v_ashrrev_i32_e32 v13, 31, v12
	s_cmp_lg_u32 s1, 0
	s_waitcnt lgkmcnt(0)
	v_lshl_add_u64 v[2:3], v[12:13], 2, s[4:5]
	global_load_dwordx2 v[2:3], v[2:3], off
	v_and_b32_e32 v13, 3, v1
	s_waitcnt vmcnt(0)
	v_subrev_u32_e32 v0, s16, v2
	v_subrev_u32_e32 v32, s16, v3
	v_add_u32_e32 v18, v0, v13
	v_cmp_lt_i32_e64 s[0:1], v18, v32
	s_cbranch_scc0 .LBB263_14
; %bb.9:
	v_mov_b64_e32 v[14:15], 0
	s_mov_b64 s[4:5], 0
	v_mov_b64_e32 v[22:23], v[14:15]
	v_mov_b64_e32 v[20:21], v[14:15]
	;; [unrolled: 1-line block ×3, first 2 shown]
	s_and_saveexec_b64 s[12:13], s[0:1]
	s_cbranch_execz .LBB263_13
; %bb.10:
	v_mad_u64_u32 v[24:25], s[14:15], v18, 18, 16
	v_mov_b64_e32 v[14:15], 0
	s_mov_b64 s[14:15], 0
	v_mov_b32_e32 v27, 0
	v_mov_b32_e32 v28, v18
	v_mov_b64_e32 v[22:23], v[14:15]
	v_mov_b64_e32 v[20:21], v[14:15]
	;; [unrolled: 1-line block ×3, first 2 shown]
.LBB263_11:                             ; =>This Inner Loop Header: Depth=1
	v_ashrrev_i32_e32 v29, 31, v28
	v_add_u32_e32 v26, -16, v24
	v_lshl_add_u64 v[0:1], v[28:29], 2, s[6:7]
	v_lshl_add_u64 v[2:3], v[26:27], 4, s[8:9]
	global_load_dword v19, v[0:1], off
	global_load_dwordx4 v[34:37], v[2:3], off offset:16
	global_load_dwordx4 v[38:41], v[2:3], off
	v_mov_b32_e32 v25, v27
	v_mov_b32_e32 v31, v27
	v_add_u32_e32 v26, -14, v24
	v_lshl_add_u64 v[54:55], v[24:25], 4, s[8:9]
	v_lshl_add_u64 v[56:57], v[26:27], 4, s[8:9]
	global_load_dwordx4 v[0:3], v[54:55], off offset:16
	global_load_dwordx4 v[42:45], v[54:55], off
	global_load_dwordx4 v[46:49], v[56:57], off offset:16
	global_load_dwordx4 v[50:53], v[56:57], off
	v_add_u32_e32 v28, 4, v28
	v_cmp_ge_i32_e32 vcc, v28, v32
	s_or_b64 s[14:15], vcc, s[14:15]
	s_waitcnt vmcnt(6)
	v_subrev_u32_e32 v19, s16, v19
	v_lshl_add_u32 v30, v19, 3, v19
	v_lshl_add_u64 v[54:55], v[30:31], 4, s[10:11]
	v_add_u32_e32 v26, 1, v30
	global_load_dwordx4 v[54:57], v[54:55], off
	v_lshl_add_u64 v[58:59], v[26:27], 4, s[10:11]
	global_load_dwordx4 v[58:61], v[58:59], off
	v_add_u32_e32 v26, -12, v24
	v_lshl_add_u64 v[70:71], v[26:27], 4, s[8:9]
	v_add_u32_e32 v26, 2, v30
	global_load_dwordx4 v[62:65], v[70:71], off offset:16
	global_load_dwordx4 v[66:69], v[70:71], off
	v_lshl_add_u64 v[70:71], v[26:27], 4, s[10:11]
	v_add_u32_e32 v26, -10, v24
	global_load_dwordx4 v[70:73], v[70:71], off
	v_lshl_add_u64 v[82:83], v[26:27], 4, s[8:9]
	v_add_u32_e32 v26, 3, v30
	global_load_dwordx4 v[74:77], v[82:83], off offset:16
	global_load_dwordx4 v[78:81], v[82:83], off
	v_lshl_add_u64 v[82:83], v[26:27], 4, s[10:11]
	global_load_dwordx4 v[82:85], v[82:83], off
	v_add_u32_e32 v26, -8, v24
	v_lshl_add_u64 v[86:87], v[26:27], 4, s[8:9]
	v_add_u32_e32 v26, 4, v30
	s_waitcnt vmcnt(7)
	v_fmac_f64_e32 v[22:23], v[38:39], v[54:55]
	v_fmac_f64_e32 v[14:15], v[40:41], v[54:55]
	;; [unrolled: 1-line block ×4, first 2 shown]
	v_fma_f64 v[88:89], -v[40:41], v[56:57], v[22:23]
	v_fmac_f64_e32 v[14:15], v[38:39], v[56:57]
	v_fma_f64 v[54:55], -v[36:37], v[56:57], v[20:21]
	v_fmac_f64_e32 v[16:17], v[34:35], v[56:57]
	v_lshl_add_u64 v[34:35], v[26:27], 4, s[10:11]
	v_add_u32_e32 v26, -6, v24
	global_load_dwordx4 v[38:41], v[86:87], off offset:16
	global_load_dwordx4 v[20:23], v[86:87], off
	v_lshl_add_u64 v[56:57], v[26:27], 4, s[8:9]
	global_load_dwordx4 v[34:37], v[34:35], off
	v_add_u32_e32 v26, 5, v30
	s_waitcnt vmcnt(9)
	v_fmac_f64_e32 v[88:89], v[50:51], v[58:59]
	v_fmac_f64_e32 v[14:15], v[52:53], v[58:59]
	v_fmac_f64_e32 v[54:55], v[46:47], v[58:59]
	v_fma_f64 v[86:87], -v[52:53], v[60:61], v[88:89]
	v_fmac_f64_e32 v[14:15], v[50:51], v[60:61]
	v_fmac_f64_e32 v[16:17], v[48:49], v[58:59]
	v_fma_f64 v[88:89], -v[48:49], v[60:61], v[54:55]
	v_lshl_add_u64 v[54:55], v[26:27], 4, s[10:11]
	v_add_u32_e32 v26, -4, v24
	global_load_dwordx4 v[50:53], v[56:57], off offset:16
	v_fmac_f64_e32 v[16:17], v[46:47], v[60:61]
	global_load_dwordx4 v[46:49], v[56:57], off
	v_lshl_add_u64 v[90:91], v[26:27], 4, s[8:9]
	global_load_dwordx4 v[54:57], v[54:55], off
	v_add_u32_e32 v26, 6, v30
	s_waitcnt vmcnt(9)
	v_fmac_f64_e32 v[14:15], v[68:69], v[70:71]
	v_fmac_f64_e32 v[86:87], v[66:67], v[70:71]
	;; [unrolled: 1-line block ×5, first 2 shown]
	v_lshl_add_u64 v[66:67], v[26:27], 4, s[10:11]
	v_add_u32_e32 v26, -2, v24
	v_fma_f64 v[86:87], -v[68:69], v[72:73], v[86:87]
	global_load_dwordx4 v[66:69], v[66:67], off
	v_fma_f64 v[88:89], -v[64:65], v[72:73], v[88:89]
	global_load_dwordx4 v[58:61], v[90:91], off offset:16
	v_fmac_f64_e32 v[16:17], v[62:63], v[72:73]
	global_load_dwordx4 v[62:65], v[90:91], off
	v_lshl_add_u64 v[90:91], v[26:27], 4, s[8:9]
	v_add_u32_e32 v26, 7, v30
	s_waitcnt vmcnt(9)
	v_fmac_f64_e32 v[14:15], v[80:81], v[82:83]
	v_fmac_f64_e32 v[86:87], v[78:79], v[82:83]
	;; [unrolled: 1-line block ×5, first 2 shown]
	v_lshl_add_u64 v[78:79], v[26:27], 4, s[10:11]
	v_fma_f64 v[86:87], -v[80:81], v[84:85], v[86:87]
	global_load_dwordx4 v[70:73], v[90:91], off offset:16
	v_fma_f64 v[88:89], -v[76:77], v[84:85], v[88:89]
	v_fmac_f64_e32 v[16:17], v[74:75], v[84:85]
	global_load_dwordx4 v[74:77], v[90:91], off
	v_add_u32_e32 v26, 8, v30
	global_load_dwordx4 v[78:81], v[78:79], off
	v_lshl_add_u64 v[30:31], v[26:27], 4, s[10:11]
	global_load_dwordx4 v[82:85], v[30:31], off
	v_add_u32_e32 v24, 0x48, v24
	s_waitcnt vmcnt(10)
	v_fmac_f64_e32 v[86:87], v[20:21], v[34:35]
	v_fmac_f64_e32 v[14:15], v[22:23], v[34:35]
	;; [unrolled: 1-line block ×4, first 2 shown]
	v_fma_f64 v[22:23], -v[22:23], v[36:37], v[86:87]
	v_fmac_f64_e32 v[14:15], v[20:21], v[36:37]
	v_fma_f64 v[20:21], -v[40:41], v[36:37], v[88:89]
	v_fmac_f64_e32 v[16:17], v[38:39], v[36:37]
	s_waitcnt vmcnt(7)
	v_fmac_f64_e32 v[22:23], v[46:47], v[54:55]
	v_fmac_f64_e32 v[14:15], v[48:49], v[54:55]
	;; [unrolled: 1-line block ×4, first 2 shown]
	v_fma_f64 v[22:23], -v[48:49], v[56:57], v[22:23]
	v_fmac_f64_e32 v[14:15], v[46:47], v[56:57]
	v_fma_f64 v[20:21], -v[52:53], v[56:57], v[20:21]
	v_fmac_f64_e32 v[16:17], v[50:51], v[56:57]
	s_waitcnt vmcnt(5)
	v_fmac_f64_e32 v[20:21], v[58:59], v[66:67]
	v_fmac_f64_e32 v[16:17], v[60:61], v[66:67]
	s_waitcnt vmcnt(4)
	v_fmac_f64_e32 v[22:23], v[62:63], v[66:67]
	v_fmac_f64_e32 v[14:15], v[64:65], v[66:67]
	v_fma_f64 v[22:23], -v[64:65], v[68:69], v[22:23]
	v_fmac_f64_e32 v[14:15], v[62:63], v[68:69]
	v_fma_f64 v[20:21], -v[60:61], v[68:69], v[20:21]
	v_fmac_f64_e32 v[16:17], v[58:59], v[68:69]
	s_waitcnt vmcnt(1)
	v_fmac_f64_e32 v[22:23], v[74:75], v[78:79]
	v_fmac_f64_e32 v[14:15], v[76:77], v[78:79]
	;; [unrolled: 1-line block ×4, first 2 shown]
	v_fma_f64 v[22:23], -v[76:77], v[80:81], v[22:23]
	v_fmac_f64_e32 v[14:15], v[74:75], v[80:81]
	v_fma_f64 v[20:21], -v[72:73], v[80:81], v[20:21]
	v_fmac_f64_e32 v[16:17], v[70:71], v[80:81]
	s_waitcnt vmcnt(0)
	v_fmac_f64_e32 v[22:23], v[42:43], v[82:83]
	v_fmac_f64_e32 v[14:15], v[44:45], v[82:83]
	;; [unrolled: 1-line block ×4, first 2 shown]
	v_fma_f64 v[22:23], -v[44:45], v[84:85], v[22:23]
	v_fmac_f64_e32 v[14:15], v[42:43], v[84:85]
	v_fma_f64 v[20:21], -v[2:3], v[84:85], v[20:21]
	v_fmac_f64_e32 v[16:17], v[0:1], v[84:85]
	s_andn2_b64 exec, exec, s[14:15]
	s_cbranch_execnz .LBB263_11
; %bb.12:
	s_or_b64 exec, exec, s[14:15]
.LBB263_13:
	s_or_b64 exec, exec, s[12:13]
	s_andn2_b64 vcc, exec, s[4:5]
	s_cbranch_vccz .LBB263_15
	s_branch .LBB263_20
.LBB263_14:
                                        ; implicit-def: $vgpr14_vgpr15
                                        ; implicit-def: $vgpr22_vgpr23
                                        ; implicit-def: $vgpr20_vgpr21
                                        ; implicit-def: $vgpr16_vgpr17
.LBB263_15:
	v_mov_b64_e32 v[14:15], 0
	v_mov_b64_e32 v[22:23], v[14:15]
	;; [unrolled: 1-line block ×4, first 2 shown]
	s_and_saveexec_b64 s[4:5], s[0:1]
	s_cbranch_execz .LBB263_19
; %bb.16:
	v_mad_u64_u32 v[0:1], s[0:1], v18, 18, 17
	v_mov_b64_e32 v[14:15], 0
	s_mov_b64 s[0:1], 0
	v_mov_b32_e32 v3, 0
	v_mov_b64_e32 v[22:23], v[14:15]
	v_mov_b64_e32 v[20:21], v[14:15]
	;; [unrolled: 1-line block ×3, first 2 shown]
.LBB263_17:                             ; =>This Inner Loop Header: Depth=1
	v_ashrrev_i32_e32 v19, 31, v18
	v_subrev_u32_e32 v2, 17, v0
	v_add_u32_e32 v26, -8, v0
	v_mov_b32_e32 v27, v3
	v_mov_b32_e32 v1, v3
	v_lshl_add_u64 v[30:31], v[18:19], 2, s[6:7]
	v_lshl_add_u64 v[46:47], v[2:3], 4, s[8:9]
	;; [unrolled: 1-line block ×4, first 2 shown]
	global_load_dword v1, v[30:31], off
	global_load_dwordx4 v[26:29], v[46:47], off offset:16
	global_load_dwordx4 v[34:37], v[46:47], off
	global_load_dwordx4 v[38:41], v[48:49], off
	;; [unrolled: 1-line block ×3, first 2 shown]
	v_mov_b32_e32 v25, v3
	v_add_u32_e32 v18, 4, v18
	v_cmp_ge_i32_e32 vcc, v18, v32
	s_or_b64 s[0:1], vcc, s[0:1]
	s_waitcnt vmcnt(4)
	v_subrev_u32_e32 v1, s16, v1
	v_lshl_add_u32 v24, v1, 3, v1
	v_lshl_add_u64 v[30:31], v[24:25], 4, s[10:11]
	global_load_dwordx4 v[46:49], v[30:31], off
	v_add_u32_e32 v2, 1, v24
	v_lshl_add_u64 v[30:31], v[2:3], 4, s[10:11]
	global_load_dwordx4 v[50:53], v[30:31], off
	v_add_u32_e32 v2, -7, v0
	v_lshl_add_u64 v[30:31], v[2:3], 4, s[8:9]
	v_add_u32_e32 v2, -15, v0
	global_load_dwordx4 v[54:57], v[30:31], off
	v_lshl_add_u64 v[30:31], v[2:3], 4, s[8:9]
	v_add_u32_e32 v2, 2, v24
	global_load_dwordx4 v[58:61], v[30:31], off
	v_lshl_add_u64 v[30:31], v[2:3], 4, s[10:11]
	v_add_u32_e32 v2, -6, v0
	global_load_dwordx4 v[62:65], v[30:31], off
	v_lshl_add_u64 v[30:31], v[2:3], 4, s[8:9]
	v_add_u32_e32 v2, -14, v0
	global_load_dwordx4 v[66:69], v[30:31], off
	v_lshl_add_u64 v[30:31], v[2:3], 4, s[8:9]
	v_add_u32_e32 v2, 3, v24
	global_load_dwordx4 v[70:73], v[30:31], off
	v_lshl_add_u64 v[30:31], v[2:3], 4, s[10:11]
	v_add_u32_e32 v2, -5, v0
	global_load_dwordx4 v[74:77], v[30:31], off
	v_lshl_add_u64 v[30:31], v[2:3], 4, s[8:9]
	v_add_u32_e32 v2, -13, v0
	s_waitcnt vmcnt(7)
	v_fmac_f64_e32 v[22:23], v[34:35], v[46:47]
	v_fmac_f64_e32 v[14:15], v[36:37], v[46:47]
	v_fma_f64 v[78:79], -v[36:37], v[48:49], v[22:23]
	v_fmac_f64_e32 v[14:15], v[34:35], v[48:49]
	global_load_dwordx4 v[34:37], v[30:31], off
	v_lshl_add_u64 v[22:23], v[2:3], 4, s[8:9]
	v_add_u32_e32 v2, 4, v24
	v_fmac_f64_e32 v[16:17], v[40:41], v[46:47]
	v_fmac_f64_e32 v[20:21], v[38:39], v[46:47]
	v_fmac_f64_e32 v[16:17], v[38:39], v[48:49]
	v_lshl_add_u64 v[38:39], v[2:3], 4, s[10:11]
	v_add_u32_e32 v2, -4, v0
	v_lshl_add_u64 v[46:47], v[2:3], 4, s[8:9]
	s_waitcnt vmcnt(7)
	v_fmac_f64_e32 v[78:79], v[26:27], v[50:51]
	v_fmac_f64_e32 v[14:15], v[28:29], v[50:51]
	v_fma_f64 v[78:79], -v[28:29], v[52:53], v[78:79]
	v_fmac_f64_e32 v[14:15], v[26:27], v[52:53]
	global_load_dwordx4 v[26:29], v[46:47], off
	v_fma_f64 v[30:31], -v[40:41], v[48:49], v[20:21]
	global_load_dwordx4 v[20:23], v[22:23], off
	v_add_u32_e32 v2, -12, v0
	global_load_dwordx4 v[38:41], v[38:39], off
	v_lshl_add_u64 v[46:47], v[2:3], 4, s[8:9]
	v_add_u32_e32 v2, 5, v24
	s_waitcnt vmcnt(9)
	v_fmac_f64_e32 v[30:31], v[54:55], v[50:51]
	v_fmac_f64_e32 v[16:17], v[56:57], v[50:51]
	v_lshl_add_u64 v[50:51], v[2:3], 4, s[10:11]
	v_add_u32_e32 v2, -3, v0
	v_fmac_f64_e32 v[16:17], v[54:55], v[52:53]
	v_lshl_add_u64 v[54:55], v[2:3], 4, s[8:9]
	v_add_u32_e32 v2, -11, v0
	s_waitcnt vmcnt(7)
	v_fmac_f64_e32 v[14:15], v[60:61], v[62:63]
	v_fma_f64 v[30:31], -v[56:57], v[52:53], v[30:31]
	v_fmac_f64_e32 v[78:79], v[58:59], v[62:63]
	v_fmac_f64_e32 v[14:15], v[58:59], v[64:65]
	v_lshl_add_u64 v[58:59], v[2:3], 4, s[8:9]
	v_add_u32_e32 v2, 6, v24
	s_waitcnt vmcnt(6)
	v_fmac_f64_e32 v[30:31], v[66:67], v[62:63]
	v_fmac_f64_e32 v[16:17], v[68:69], v[62:63]
	v_lshl_add_u64 v[62:63], v[2:3], 4, s[10:11]
	v_add_u32_e32 v2, -2, v0
	global_load_dwordx4 v[46:49], v[46:47], off
	v_fma_f64 v[78:79], -v[60:61], v[64:65], v[78:79]
	global_load_dwordx4 v[50:53], v[50:51], off
	v_fma_f64 v[30:31], -v[68:69], v[64:65], v[30:31]
	global_load_dwordx4 v[54:57], v[54:55], off
	v_fmac_f64_e32 v[16:17], v[66:67], v[64:65]
	global_load_dwordx4 v[58:61], v[58:59], off
	v_lshl_add_u64 v[66:67], v[2:3], 4, s[8:9]
	v_add_u32_e32 v2, -10, v0
	s_waitcnt vmcnt(8)
	v_fmac_f64_e32 v[14:15], v[72:73], v[74:75]
	v_fmac_f64_e32 v[78:79], v[70:71], v[74:75]
	;; [unrolled: 1-line block ×3, first 2 shown]
	v_lshl_add_u64 v[70:71], v[2:3], 4, s[8:9]
	v_add_u32_e32 v2, 7, v24
	global_load_dwordx4 v[62:65], v[62:63], off
	v_fma_f64 v[78:79], -v[72:73], v[76:77], v[78:79]
	global_load_dwordx4 v[66:69], v[66:67], off
	s_waitcnt vmcnt(9)
	v_fmac_f64_e32 v[30:31], v[34:35], v[74:75]
	v_fmac_f64_e32 v[16:17], v[36:37], v[74:75]
	v_fma_f64 v[30:31], -v[36:37], v[76:77], v[30:31]
	v_fmac_f64_e32 v[16:17], v[34:35], v[76:77]
	global_load_dwordx4 v[34:37], v[70:71], off
	v_lshl_add_u64 v[70:71], v[2:3], 4, s[10:11]
	v_add_u32_e32 v2, -1, v0
	v_lshl_add_u64 v[80:81], v[2:3], 4, s[8:9]
	v_add_u32_e32 v2, -9, v0
	v_lshl_add_u64 v[82:83], v[2:3], 4, s[8:9]
	v_add_u32_e32 v2, 8, v24
	global_load_dwordx4 v[70:73], v[70:71], off
	v_lshl_add_u64 v[24:25], v[2:3], 4, s[10:11]
	v_add_u32_e32 v0, 0x48, v0
	s_waitcnt vmcnt(8)
	v_fmac_f64_e32 v[78:79], v[20:21], v[38:39]
	v_fmac_f64_e32 v[14:15], v[22:23], v[38:39]
	v_fma_f64 v[78:79], -v[22:23], v[40:41], v[78:79]
	v_fmac_f64_e32 v[14:15], v[20:21], v[40:41]
	global_load_dwordx4 v[20:23], v[80:81], off
	global_load_dwordx4 v[74:77], v[82:83], off
	v_fmac_f64_e32 v[16:17], v[28:29], v[38:39]
	v_fmac_f64_e32 v[30:31], v[26:27], v[38:39]
	;; [unrolled: 1-line block ×3, first 2 shown]
	global_load_dwordx4 v[24:27], v[24:25], off
	v_fma_f64 v[28:29], -v[28:29], v[40:41], v[30:31]
	s_waitcnt vmcnt(9)
	v_fmac_f64_e32 v[78:79], v[46:47], v[50:51]
	v_fmac_f64_e32 v[14:15], v[48:49], v[50:51]
	s_waitcnt vmcnt(8)
	v_fmac_f64_e32 v[28:29], v[54:55], v[50:51]
	v_fmac_f64_e32 v[16:17], v[56:57], v[50:51]
	v_fma_f64 v[30:31], -v[48:49], v[52:53], v[78:79]
	v_fmac_f64_e32 v[14:15], v[46:47], v[52:53]
	v_fma_f64 v[28:29], -v[56:57], v[52:53], v[28:29]
	v_fmac_f64_e32 v[16:17], v[54:55], v[52:53]
	s_waitcnt vmcnt(6)
	v_fmac_f64_e32 v[30:31], v[58:59], v[62:63]
	v_fmac_f64_e32 v[14:15], v[60:61], v[62:63]
	s_waitcnt vmcnt(5)
	v_fmac_f64_e32 v[28:29], v[66:67], v[62:63]
	v_fmac_f64_e32 v[16:17], v[68:69], v[62:63]
	v_fma_f64 v[30:31], -v[60:61], v[64:65], v[30:31]
	v_fmac_f64_e32 v[14:15], v[58:59], v[64:65]
	v_fma_f64 v[28:29], -v[68:69], v[64:65], v[28:29]
	v_fmac_f64_e32 v[16:17], v[66:67], v[64:65]
	s_waitcnt vmcnt(3)
	v_fmac_f64_e32 v[30:31], v[34:35], v[70:71]
	v_fmac_f64_e32 v[14:15], v[36:37], v[70:71]
	v_fma_f64 v[30:31], -v[36:37], v[72:73], v[30:31]
	v_fmac_f64_e32 v[14:15], v[34:35], v[72:73]
	s_waitcnt vmcnt(2)
	v_fmac_f64_e32 v[28:29], v[20:21], v[70:71]
	v_fmac_f64_e32 v[16:17], v[22:23], v[70:71]
	v_fma_f64 v[28:29], -v[22:23], v[72:73], v[28:29]
	v_fmac_f64_e32 v[16:17], v[20:21], v[72:73]
	s_waitcnt vmcnt(0)
	v_fmac_f64_e32 v[30:31], v[74:75], v[24:25]
	v_fmac_f64_e32 v[14:15], v[76:77], v[24:25]
	v_fmac_f64_e32 v[28:29], v[42:43], v[24:25]
	;; [unrolled: 1-line block ×3, first 2 shown]
	v_fma_f64 v[22:23], -v[76:77], v[26:27], v[30:31]
	v_fmac_f64_e32 v[14:15], v[74:75], v[26:27]
	v_fma_f64 v[20:21], -v[44:45], v[26:27], v[28:29]
	v_fmac_f64_e32 v[16:17], v[42:43], v[26:27]
	s_andn2_b64 exec, exec, s[0:1]
	s_cbranch_execnz .LBB263_17
; %bb.18:
	s_or_b64 exec, exec, s[0:1]
.LBB263_19:
	s_or_b64 exec, exec, s[4:5]
.LBB263_20:
	v_mov_b32_dpp v18, v14 row_shr:1 row_mask:0xf bank_mask:0xf
	v_mov_b32_dpp v19, v15 row_shr:1 row_mask:0xf bank_mask:0xf
	v_add_f64 v[18:19], v[14:15], v[18:19]
	v_mov_b32_dpp v14, v20 row_shr:1 row_mask:0xf bank_mask:0xf
	v_mov_b32_dpp v15, v21 row_shr:1 row_mask:0xf bank_mask:0xf
	;; [unrolled: 1-line block ×4, first 2 shown]
	v_add_f64 v[20:21], v[20:21], v[14:15]
	v_mov_b32_dpp v14, v16 row_shr:1 row_mask:0xf bank_mask:0xf
	v_mov_b32_dpp v15, v17 row_shr:1 row_mask:0xf bank_mask:0xf
	v_add_f64 v[0:1], v[22:23], v[0:1]
	v_add_f64 v[26:27], v[16:17], v[14:15]
	v_mov_b32_dpp v22, v18 row_shr:2 row_mask:0xf bank_mask:0xf
	v_mov_b32_dpp v2, v0 row_shr:2 row_mask:0xf bank_mask:0xf
	;; [unrolled: 1-line block ×8, first 2 shown]
	v_cmp_eq_u32_e32 vcc, 3, v13
	s_and_b64 exec, exec, vcc
	s_cbranch_execz .LBB263_25
; %bb.21:
	s_load_dwordx2 s[2:3], s[2:3], 0x48
	v_cmp_eq_f64_e32 vcc, 0, v[8:9]
	v_cmp_eq_f64_e64 s[0:1], 0, v[10:11]
	v_add_f64 v[14:15], v[0:1], v[2:3]
	v_add_f64 v[16:17], v[18:19], v[22:23]
	;; [unrolled: 1-line block ×4, first 2 shown]
	s_and_b64 s[0:1], vcc, s[0:1]
	s_and_saveexec_b64 s[4:5], s[0:1]
	s_xor_b64 s[0:1], exec, s[4:5]
	s_cbranch_execz .LBB263_23
; %bb.22:
	v_lshlrev_b32_e32 v12, 1, v12
	v_mul_f64 v[8:9], v[16:17], -v[6:7]
	v_mul_f64 v[10:11], v[4:5], v[16:17]
	v_ashrrev_i32_e32 v13, 31, v12
	v_fmac_f64_e32 v[8:9], v[4:5], v[14:15]
	v_fmac_f64_e32 v[10:11], v[6:7], v[14:15]
	s_waitcnt lgkmcnt(0)
	v_lshl_add_u64 v[12:13], v[12:13], 4, s[2:3]
	global_store_dwordx4 v[12:13], v[8:11], off
                                        ; implicit-def: $vgpr14_vgpr15
                                        ; implicit-def: $vgpr16_vgpr17
	s_nop 1
	v_mul_f64 v[8:9], v[2:3], -v[6:7]
	v_mul_f64 v[10:11], v[4:5], v[2:3]
	v_fmac_f64_e32 v[8:9], v[4:5], v[0:1]
	v_fmac_f64_e32 v[10:11], v[6:7], v[0:1]
	global_store_dwordx4 v[12:13], v[8:11], off offset:16
                                        ; implicit-def: $vgpr4_vgpr5
                                        ; implicit-def: $vgpr6_vgpr7
                                        ; implicit-def: $vgpr8_vgpr9
                                        ; implicit-def: $vgpr10_vgpr11
                                        ; implicit-def: $vgpr12
                                        ; implicit-def: $vgpr0_vgpr1
                                        ; implicit-def: $vgpr2_vgpr3
.LBB263_23:
	s_andn2_saveexec_b64 s[0:1], s[0:1]
	s_cbranch_execz .LBB263_25
; %bb.24:
	v_lshlrev_b32_e32 v12, 1, v12
	v_ashrrev_i32_e32 v13, 31, v12
	s_waitcnt lgkmcnt(0)
	v_lshl_add_u64 v[12:13], v[12:13], 4, s[2:3]
	global_load_dwordx4 v[18:21], v[12:13], off
	global_load_dwordx4 v[22:25], v[12:13], off offset:16
	v_mul_f64 v[26:27], v[16:17], -v[6:7]
	v_mul_f64 v[16:17], v[4:5], v[16:17]
	v_mul_f64 v[28:29], v[2:3], -v[6:7]
	v_mul_f64 v[2:3], v[4:5], v[2:3]
	v_fmac_f64_e32 v[26:27], v[4:5], v[14:15]
	v_fmac_f64_e32 v[16:17], v[6:7], v[14:15]
	;; [unrolled: 1-line block ×4, first 2 shown]
	s_waitcnt vmcnt(1)
	v_fmac_f64_e32 v[26:27], v[8:9], v[18:19]
	v_fmac_f64_e32 v[16:17], v[10:11], v[18:19]
	s_waitcnt vmcnt(0)
	v_fmac_f64_e32 v[28:29], v[8:9], v[22:23]
	v_fmac_f64_e32 v[2:3], v[10:11], v[22:23]
	v_fma_f64 v[14:15], -v[10:11], v[20:21], v[26:27]
	v_fmac_f64_e32 v[16:17], v[8:9], v[20:21]
	v_fma_f64 v[0:1], -v[10:11], v[24:25], v[28:29]
	v_fmac_f64_e32 v[2:3], v[8:9], v[24:25]
	global_store_dwordx4 v[12:13], v[14:17], off
	global_store_dwordx4 v[12:13], v[0:3], off offset:16
.LBB263_25:
	s_endpgm
	.section	.rodata,"a",@progbits
	.p2align	6, 0x0
	.amdhsa_kernel _ZN9rocsparseL19gebsrmvn_2xn_kernelILj128ELj9ELj4E21rocsparse_complex_numIdEEEvi20rocsparse_direction_NS_24const_host_device_scalarIT2_EEPKiS8_PKS5_SA_S6_PS5_21rocsparse_index_base_b
		.amdhsa_group_segment_fixed_size 2048
		.amdhsa_private_segment_fixed_size 0
		.amdhsa_kernarg_size 88
		.amdhsa_user_sgpr_count 4
		.amdhsa_user_sgpr_dispatch_ptr 1
		.amdhsa_user_sgpr_queue_ptr 0
		.amdhsa_user_sgpr_kernarg_segment_ptr 1
		.amdhsa_user_sgpr_dispatch_id 0
		.amdhsa_user_sgpr_kernarg_preload_length 0
		.amdhsa_user_sgpr_kernarg_preload_offset 0
		.amdhsa_user_sgpr_private_segment_size 0
		.amdhsa_uses_dynamic_stack 0
		.amdhsa_enable_private_segment 0
		.amdhsa_system_sgpr_workgroup_id_x 1
		.amdhsa_system_sgpr_workgroup_id_y 0
		.amdhsa_system_sgpr_workgroup_id_z 0
		.amdhsa_system_sgpr_workgroup_info 0
		.amdhsa_system_vgpr_workitem_id 2
		.amdhsa_next_free_vgpr 92
		.amdhsa_next_free_sgpr 20
		.amdhsa_accum_offset 92
		.amdhsa_reserve_vcc 1
		.amdhsa_float_round_mode_32 0
		.amdhsa_float_round_mode_16_64 0
		.amdhsa_float_denorm_mode_32 3
		.amdhsa_float_denorm_mode_16_64 3
		.amdhsa_dx10_clamp 1
		.amdhsa_ieee_mode 1
		.amdhsa_fp16_overflow 0
		.amdhsa_tg_split 0
		.amdhsa_exception_fp_ieee_invalid_op 0
		.amdhsa_exception_fp_denorm_src 0
		.amdhsa_exception_fp_ieee_div_zero 0
		.amdhsa_exception_fp_ieee_overflow 0
		.amdhsa_exception_fp_ieee_underflow 0
		.amdhsa_exception_fp_ieee_inexact 0
		.amdhsa_exception_int_div_zero 0
	.end_amdhsa_kernel
	.section	.text._ZN9rocsparseL19gebsrmvn_2xn_kernelILj128ELj9ELj4E21rocsparse_complex_numIdEEEvi20rocsparse_direction_NS_24const_host_device_scalarIT2_EEPKiS8_PKS5_SA_S6_PS5_21rocsparse_index_base_b,"axG",@progbits,_ZN9rocsparseL19gebsrmvn_2xn_kernelILj128ELj9ELj4E21rocsparse_complex_numIdEEEvi20rocsparse_direction_NS_24const_host_device_scalarIT2_EEPKiS8_PKS5_SA_S6_PS5_21rocsparse_index_base_b,comdat
.Lfunc_end263:
	.size	_ZN9rocsparseL19gebsrmvn_2xn_kernelILj128ELj9ELj4E21rocsparse_complex_numIdEEEvi20rocsparse_direction_NS_24const_host_device_scalarIT2_EEPKiS8_PKS5_SA_S6_PS5_21rocsparse_index_base_b, .Lfunc_end263-_ZN9rocsparseL19gebsrmvn_2xn_kernelILj128ELj9ELj4E21rocsparse_complex_numIdEEEvi20rocsparse_direction_NS_24const_host_device_scalarIT2_EEPKiS8_PKS5_SA_S6_PS5_21rocsparse_index_base_b
                                        ; -- End function
	.section	.AMDGPU.csdata,"",@progbits
; Kernel info:
; codeLenInByte = 2948
; NumSgprs: 26
; NumVgprs: 92
; NumAgprs: 0
; TotalNumVgprs: 92
; ScratchSize: 0
; MemoryBound: 0
; FloatMode: 240
; IeeeMode: 1
; LDSByteSize: 2048 bytes/workgroup (compile time only)
; SGPRBlocks: 3
; VGPRBlocks: 11
; NumSGPRsForWavesPerEU: 26
; NumVGPRsForWavesPerEU: 92
; AccumOffset: 92
; Occupancy: 5
; WaveLimiterHint : 1
; COMPUTE_PGM_RSRC2:SCRATCH_EN: 0
; COMPUTE_PGM_RSRC2:USER_SGPR: 4
; COMPUTE_PGM_RSRC2:TRAP_HANDLER: 0
; COMPUTE_PGM_RSRC2:TGID_X_EN: 1
; COMPUTE_PGM_RSRC2:TGID_Y_EN: 0
; COMPUTE_PGM_RSRC2:TGID_Z_EN: 0
; COMPUTE_PGM_RSRC2:TIDIG_COMP_CNT: 2
; COMPUTE_PGM_RSRC3_GFX90A:ACCUM_OFFSET: 22
; COMPUTE_PGM_RSRC3_GFX90A:TG_SPLIT: 0
	.section	.text._ZN9rocsparseL19gebsrmvn_2xn_kernelILj128ELj9ELj8E21rocsparse_complex_numIdEEEvi20rocsparse_direction_NS_24const_host_device_scalarIT2_EEPKiS8_PKS5_SA_S6_PS5_21rocsparse_index_base_b,"axG",@progbits,_ZN9rocsparseL19gebsrmvn_2xn_kernelILj128ELj9ELj8E21rocsparse_complex_numIdEEEvi20rocsparse_direction_NS_24const_host_device_scalarIT2_EEPKiS8_PKS5_SA_S6_PS5_21rocsparse_index_base_b,comdat
	.globl	_ZN9rocsparseL19gebsrmvn_2xn_kernelILj128ELj9ELj8E21rocsparse_complex_numIdEEEvi20rocsparse_direction_NS_24const_host_device_scalarIT2_EEPKiS8_PKS5_SA_S6_PS5_21rocsparse_index_base_b ; -- Begin function _ZN9rocsparseL19gebsrmvn_2xn_kernelILj128ELj9ELj8E21rocsparse_complex_numIdEEEvi20rocsparse_direction_NS_24const_host_device_scalarIT2_EEPKiS8_PKS5_SA_S6_PS5_21rocsparse_index_base_b
	.p2align	8
	.type	_ZN9rocsparseL19gebsrmvn_2xn_kernelILj128ELj9ELj8E21rocsparse_complex_numIdEEEvi20rocsparse_direction_NS_24const_host_device_scalarIT2_EEPKiS8_PKS5_SA_S6_PS5_21rocsparse_index_base_b,@function
_ZN9rocsparseL19gebsrmvn_2xn_kernelILj128ELj9ELj8E21rocsparse_complex_numIdEEEvi20rocsparse_direction_NS_24const_host_device_scalarIT2_EEPKiS8_PKS5_SA_S6_PS5_21rocsparse_index_base_b: ; @_ZN9rocsparseL19gebsrmvn_2xn_kernelILj128ELj9ELj8E21rocsparse_complex_numIdEEEvi20rocsparse_direction_NS_24const_host_device_scalarIT2_EEPKiS8_PKS5_SA_S6_PS5_21rocsparse_index_base_b
; %bb.0:
	s_load_dwordx2 s[16:17], s[2:3], 0x50
	s_load_dwordx4 s[12:15], s[2:3], 0x8
	s_load_dwordx4 s[8:11], s[2:3], 0x38
	s_load_dwordx2 s[18:19], s[0:1], 0x4
	s_mov_b64 s[6:7], src_shared_base
	s_waitcnt lgkmcnt(0)
	s_bitcmp1_b32 s17, 0
	s_cselect_b64 s[0:1], -1, 0
	s_and_b64 vcc, s[0:1], exec
	s_cselect_b32 s5, s7, s13
	s_lshr_b32 s6, s18, 16
	v_bfe_u32 v2, v0, 10, 10
	v_and_b32_e32 v1, 0x3ff, v0
	s_mul_i32 s6, s6, s19
	v_mul_u32_u24_e32 v2, s19, v2
	v_mad_u32_u24 v2, s6, v1, v2
	v_bfe_u32 v0, v0, 20, 10
	v_add_lshl_u32 v0, v2, v0, 3
	v_mov_b32_e32 v6, s12
	v_add_u32_e32 v7, 0x400, v0
	v_mov_b64_e32 v[2:3], s[12:13]
	v_mov_b64_e32 v[4:5], s[8:9]
	ds_write2st64_b64 v0, v[4:5], v[2:3] offset1:2
	v_cndmask_b32_e64 v2, v6, v7, s[0:1]
	v_mov_b32_e32 v3, s5
	flat_load_dwordx2 v[4:5], v[2:3]
	s_xor_b64 s[18:19], s[0:1], -1
	v_mov_b64_e32 v[6:7], s[14:15]
	s_cbranch_vccnz .LBB264_2
; %bb.1:
	v_mov_b64_e32 v[2:3], s[12:13]
	flat_load_dwordx2 v[6:7], v[2:3] offset:8
.LBB264_2:
	s_and_b64 s[12:13], s[0:1], exec
	s_cselect_b32 s5, s7, s9
	v_mov_b32_e32 v2, s8
	v_cndmask_b32_e64 v2, v2, v0, s[0:1]
	v_mov_b32_e32 v3, s5
	flat_load_dwordx2 v[8:9], v[2:3]
	s_andn2_b64 vcc, exec, s[18:19]
	v_mov_b64_e32 v[10:11], s[10:11]
	s_cbranch_vccnz .LBB264_4
; %bb.3:
	v_mov_b64_e32 v[2:3], s[8:9]
	flat_load_dwordx2 v[10:11], v[2:3] offset:8
.LBB264_4:
	s_waitcnt vmcnt(0) lgkmcnt(0)
	v_cmp_eq_f64_e32 vcc, 0, v[4:5]
	v_cmp_eq_f64_e64 s[0:1], 0, v[6:7]
	s_and_b64 s[8:9], vcc, s[0:1]
	s_mov_b64 s[0:1], -1
	s_and_saveexec_b64 s[6:7], s[8:9]
; %bb.5:
	v_cmp_neq_f64_e32 vcc, 1.0, v[8:9]
	v_cmp_neq_f64_e64 s[0:1], 0, v[10:11]
	s_or_b64 s[0:1], vcc, s[0:1]
	s_orn2_b64 s[0:1], s[0:1], exec
; %bb.6:
	s_or_b64 exec, exec, s[6:7]
	s_and_saveexec_b64 s[6:7], s[0:1]
	s_cbranch_execz .LBB264_25
; %bb.7:
	s_load_dwordx2 s[0:1], s[2:3], 0x0
	v_lshrrev_b32_e32 v0, 3, v1
	v_lshl_or_b32 v12, s4, 4, v0
	s_waitcnt lgkmcnt(0)
	v_cmp_gt_i32_e32 vcc, s0, v12
	s_and_b64 exec, exec, vcc
	s_cbranch_execz .LBB264_25
; %bb.8:
	s_load_dwordx8 s[4:11], s[2:3], 0x18
	v_ashrrev_i32_e32 v13, 31, v12
	s_cmp_lg_u32 s1, 0
	s_waitcnt lgkmcnt(0)
	v_lshl_add_u64 v[2:3], v[12:13], 2, s[4:5]
	global_load_dwordx2 v[2:3], v[2:3], off
	v_and_b32_e32 v13, 7, v1
	s_waitcnt vmcnt(0)
	v_subrev_u32_e32 v0, s16, v2
	v_subrev_u32_e32 v32, s16, v3
	v_add_u32_e32 v18, v0, v13
	v_cmp_lt_i32_e64 s[0:1], v18, v32
	s_cbranch_scc0 .LBB264_14
; %bb.9:
	v_mov_b64_e32 v[14:15], 0
	s_mov_b64 s[4:5], 0
	v_mov_b64_e32 v[22:23], v[14:15]
	v_mov_b64_e32 v[20:21], v[14:15]
	;; [unrolled: 1-line block ×3, first 2 shown]
	s_and_saveexec_b64 s[12:13], s[0:1]
	s_cbranch_execz .LBB264_13
; %bb.10:
	v_mad_u64_u32 v[24:25], s[14:15], v18, 18, 16
	v_mov_b64_e32 v[14:15], 0
	s_mov_b64 s[14:15], 0
	v_mov_b32_e32 v27, 0
	v_mov_b32_e32 v28, v18
	v_mov_b64_e32 v[22:23], v[14:15]
	v_mov_b64_e32 v[20:21], v[14:15]
	;; [unrolled: 1-line block ×3, first 2 shown]
.LBB264_11:                             ; =>This Inner Loop Header: Depth=1
	v_ashrrev_i32_e32 v29, 31, v28
	v_add_u32_e32 v26, -16, v24
	v_lshl_add_u64 v[0:1], v[28:29], 2, s[6:7]
	v_lshl_add_u64 v[2:3], v[26:27], 4, s[8:9]
	global_load_dword v19, v[0:1], off
	global_load_dwordx4 v[34:37], v[2:3], off offset:16
	global_load_dwordx4 v[38:41], v[2:3], off
	v_mov_b32_e32 v25, v27
	v_mov_b32_e32 v31, v27
	v_add_u32_e32 v26, -14, v24
	v_lshl_add_u64 v[54:55], v[24:25], 4, s[8:9]
	v_lshl_add_u64 v[56:57], v[26:27], 4, s[8:9]
	global_load_dwordx4 v[0:3], v[54:55], off offset:16
	global_load_dwordx4 v[42:45], v[54:55], off
	global_load_dwordx4 v[46:49], v[56:57], off offset:16
	global_load_dwordx4 v[50:53], v[56:57], off
	v_add_u32_e32 v28, 8, v28
	v_cmp_ge_i32_e32 vcc, v28, v32
	s_or_b64 s[14:15], vcc, s[14:15]
	s_waitcnt vmcnt(6)
	v_subrev_u32_e32 v19, s16, v19
	v_lshl_add_u32 v30, v19, 3, v19
	v_lshl_add_u64 v[54:55], v[30:31], 4, s[10:11]
	v_add_u32_e32 v26, 1, v30
	global_load_dwordx4 v[54:57], v[54:55], off
	v_lshl_add_u64 v[58:59], v[26:27], 4, s[10:11]
	global_load_dwordx4 v[58:61], v[58:59], off
	v_add_u32_e32 v26, -12, v24
	v_lshl_add_u64 v[70:71], v[26:27], 4, s[8:9]
	v_add_u32_e32 v26, 2, v30
	global_load_dwordx4 v[62:65], v[70:71], off offset:16
	global_load_dwordx4 v[66:69], v[70:71], off
	v_lshl_add_u64 v[70:71], v[26:27], 4, s[10:11]
	v_add_u32_e32 v26, -10, v24
	global_load_dwordx4 v[70:73], v[70:71], off
	v_lshl_add_u64 v[82:83], v[26:27], 4, s[8:9]
	v_add_u32_e32 v26, 3, v30
	global_load_dwordx4 v[74:77], v[82:83], off offset:16
	global_load_dwordx4 v[78:81], v[82:83], off
	v_lshl_add_u64 v[82:83], v[26:27], 4, s[10:11]
	global_load_dwordx4 v[82:85], v[82:83], off
	v_add_u32_e32 v26, -8, v24
	v_lshl_add_u64 v[86:87], v[26:27], 4, s[8:9]
	v_add_u32_e32 v26, 4, v30
	s_waitcnt vmcnt(7)
	v_fmac_f64_e32 v[22:23], v[38:39], v[54:55]
	v_fmac_f64_e32 v[14:15], v[40:41], v[54:55]
	;; [unrolled: 1-line block ×4, first 2 shown]
	v_fma_f64 v[88:89], -v[40:41], v[56:57], v[22:23]
	v_fmac_f64_e32 v[14:15], v[38:39], v[56:57]
	v_fma_f64 v[54:55], -v[36:37], v[56:57], v[20:21]
	v_fmac_f64_e32 v[16:17], v[34:35], v[56:57]
	v_lshl_add_u64 v[34:35], v[26:27], 4, s[10:11]
	v_add_u32_e32 v26, -6, v24
	global_load_dwordx4 v[38:41], v[86:87], off offset:16
	global_load_dwordx4 v[20:23], v[86:87], off
	v_lshl_add_u64 v[56:57], v[26:27], 4, s[8:9]
	global_load_dwordx4 v[34:37], v[34:35], off
	v_add_u32_e32 v26, 5, v30
	s_waitcnt vmcnt(9)
	v_fmac_f64_e32 v[88:89], v[50:51], v[58:59]
	v_fmac_f64_e32 v[14:15], v[52:53], v[58:59]
	;; [unrolled: 1-line block ×3, first 2 shown]
	v_fma_f64 v[86:87], -v[52:53], v[60:61], v[88:89]
	v_fmac_f64_e32 v[14:15], v[50:51], v[60:61]
	v_fmac_f64_e32 v[16:17], v[48:49], v[58:59]
	v_fma_f64 v[88:89], -v[48:49], v[60:61], v[54:55]
	v_lshl_add_u64 v[54:55], v[26:27], 4, s[10:11]
	v_add_u32_e32 v26, -4, v24
	global_load_dwordx4 v[50:53], v[56:57], off offset:16
	v_fmac_f64_e32 v[16:17], v[46:47], v[60:61]
	global_load_dwordx4 v[46:49], v[56:57], off
	v_lshl_add_u64 v[90:91], v[26:27], 4, s[8:9]
	global_load_dwordx4 v[54:57], v[54:55], off
	v_add_u32_e32 v26, 6, v30
	s_waitcnt vmcnt(9)
	v_fmac_f64_e32 v[14:15], v[68:69], v[70:71]
	v_fmac_f64_e32 v[86:87], v[66:67], v[70:71]
	;; [unrolled: 1-line block ×5, first 2 shown]
	v_lshl_add_u64 v[66:67], v[26:27], 4, s[10:11]
	v_add_u32_e32 v26, -2, v24
	v_fma_f64 v[86:87], -v[68:69], v[72:73], v[86:87]
	global_load_dwordx4 v[66:69], v[66:67], off
	v_fma_f64 v[88:89], -v[64:65], v[72:73], v[88:89]
	global_load_dwordx4 v[58:61], v[90:91], off offset:16
	v_fmac_f64_e32 v[16:17], v[62:63], v[72:73]
	global_load_dwordx4 v[62:65], v[90:91], off
	v_lshl_add_u64 v[90:91], v[26:27], 4, s[8:9]
	v_add_u32_e32 v26, 7, v30
	s_waitcnt vmcnt(9)
	v_fmac_f64_e32 v[14:15], v[80:81], v[82:83]
	v_fmac_f64_e32 v[86:87], v[78:79], v[82:83]
	;; [unrolled: 1-line block ×5, first 2 shown]
	v_lshl_add_u64 v[78:79], v[26:27], 4, s[10:11]
	v_fma_f64 v[86:87], -v[80:81], v[84:85], v[86:87]
	global_load_dwordx4 v[70:73], v[90:91], off offset:16
	v_fma_f64 v[88:89], -v[76:77], v[84:85], v[88:89]
	v_fmac_f64_e32 v[16:17], v[74:75], v[84:85]
	global_load_dwordx4 v[74:77], v[90:91], off
	v_add_u32_e32 v26, 8, v30
	global_load_dwordx4 v[78:81], v[78:79], off
	v_lshl_add_u64 v[30:31], v[26:27], 4, s[10:11]
	global_load_dwordx4 v[82:85], v[30:31], off
	v_add_u32_e32 v24, 0x90, v24
	s_waitcnt vmcnt(10)
	v_fmac_f64_e32 v[86:87], v[20:21], v[34:35]
	v_fmac_f64_e32 v[14:15], v[22:23], v[34:35]
	;; [unrolled: 1-line block ×4, first 2 shown]
	v_fma_f64 v[22:23], -v[22:23], v[36:37], v[86:87]
	v_fmac_f64_e32 v[14:15], v[20:21], v[36:37]
	v_fma_f64 v[20:21], -v[40:41], v[36:37], v[88:89]
	v_fmac_f64_e32 v[16:17], v[38:39], v[36:37]
	s_waitcnt vmcnt(7)
	v_fmac_f64_e32 v[22:23], v[46:47], v[54:55]
	v_fmac_f64_e32 v[14:15], v[48:49], v[54:55]
	v_fmac_f64_e32 v[20:21], v[50:51], v[54:55]
	v_fmac_f64_e32 v[16:17], v[52:53], v[54:55]
	v_fma_f64 v[22:23], -v[48:49], v[56:57], v[22:23]
	v_fmac_f64_e32 v[14:15], v[46:47], v[56:57]
	v_fma_f64 v[20:21], -v[52:53], v[56:57], v[20:21]
	v_fmac_f64_e32 v[16:17], v[50:51], v[56:57]
	s_waitcnt vmcnt(5)
	v_fmac_f64_e32 v[20:21], v[58:59], v[66:67]
	v_fmac_f64_e32 v[16:17], v[60:61], v[66:67]
	s_waitcnt vmcnt(4)
	v_fmac_f64_e32 v[22:23], v[62:63], v[66:67]
	v_fmac_f64_e32 v[14:15], v[64:65], v[66:67]
	v_fma_f64 v[22:23], -v[64:65], v[68:69], v[22:23]
	v_fmac_f64_e32 v[14:15], v[62:63], v[68:69]
	v_fma_f64 v[20:21], -v[60:61], v[68:69], v[20:21]
	v_fmac_f64_e32 v[16:17], v[58:59], v[68:69]
	s_waitcnt vmcnt(1)
	v_fmac_f64_e32 v[22:23], v[74:75], v[78:79]
	v_fmac_f64_e32 v[14:15], v[76:77], v[78:79]
	;; [unrolled: 1-line block ×4, first 2 shown]
	v_fma_f64 v[22:23], -v[76:77], v[80:81], v[22:23]
	v_fmac_f64_e32 v[14:15], v[74:75], v[80:81]
	v_fma_f64 v[20:21], -v[72:73], v[80:81], v[20:21]
	v_fmac_f64_e32 v[16:17], v[70:71], v[80:81]
	s_waitcnt vmcnt(0)
	v_fmac_f64_e32 v[22:23], v[42:43], v[82:83]
	v_fmac_f64_e32 v[14:15], v[44:45], v[82:83]
	;; [unrolled: 1-line block ×4, first 2 shown]
	v_fma_f64 v[22:23], -v[44:45], v[84:85], v[22:23]
	v_fmac_f64_e32 v[14:15], v[42:43], v[84:85]
	v_fma_f64 v[20:21], -v[2:3], v[84:85], v[20:21]
	v_fmac_f64_e32 v[16:17], v[0:1], v[84:85]
	s_andn2_b64 exec, exec, s[14:15]
	s_cbranch_execnz .LBB264_11
; %bb.12:
	s_or_b64 exec, exec, s[14:15]
.LBB264_13:
	s_or_b64 exec, exec, s[12:13]
	s_andn2_b64 vcc, exec, s[4:5]
	s_cbranch_vccz .LBB264_15
	s_branch .LBB264_20
.LBB264_14:
                                        ; implicit-def: $vgpr14_vgpr15
                                        ; implicit-def: $vgpr22_vgpr23
                                        ; implicit-def: $vgpr20_vgpr21
                                        ; implicit-def: $vgpr16_vgpr17
.LBB264_15:
	v_mov_b64_e32 v[14:15], 0
	v_mov_b64_e32 v[22:23], v[14:15]
	;; [unrolled: 1-line block ×4, first 2 shown]
	s_and_saveexec_b64 s[4:5], s[0:1]
	s_cbranch_execz .LBB264_19
; %bb.16:
	v_mad_u64_u32 v[0:1], s[0:1], v18, 18, 17
	v_mov_b64_e32 v[14:15], 0
	s_mov_b64 s[0:1], 0
	v_mov_b32_e32 v3, 0
	v_mov_b64_e32 v[22:23], v[14:15]
	v_mov_b64_e32 v[20:21], v[14:15]
	;; [unrolled: 1-line block ×3, first 2 shown]
.LBB264_17:                             ; =>This Inner Loop Header: Depth=1
	v_ashrrev_i32_e32 v19, 31, v18
	v_subrev_u32_e32 v2, 17, v0
	v_add_u32_e32 v26, -8, v0
	v_mov_b32_e32 v27, v3
	v_mov_b32_e32 v1, v3
	v_lshl_add_u64 v[30:31], v[18:19], 2, s[6:7]
	v_lshl_add_u64 v[46:47], v[2:3], 4, s[8:9]
	;; [unrolled: 1-line block ×4, first 2 shown]
	global_load_dword v1, v[30:31], off
	global_load_dwordx4 v[26:29], v[46:47], off offset:16
	global_load_dwordx4 v[34:37], v[46:47], off
	global_load_dwordx4 v[38:41], v[48:49], off
	;; [unrolled: 1-line block ×3, first 2 shown]
	v_mov_b32_e32 v25, v3
	v_add_u32_e32 v18, 8, v18
	v_cmp_ge_i32_e32 vcc, v18, v32
	s_or_b64 s[0:1], vcc, s[0:1]
	s_waitcnt vmcnt(4)
	v_subrev_u32_e32 v1, s16, v1
	v_lshl_add_u32 v24, v1, 3, v1
	v_lshl_add_u64 v[30:31], v[24:25], 4, s[10:11]
	global_load_dwordx4 v[46:49], v[30:31], off
	v_add_u32_e32 v2, 1, v24
	v_lshl_add_u64 v[30:31], v[2:3], 4, s[10:11]
	global_load_dwordx4 v[50:53], v[30:31], off
	v_add_u32_e32 v2, -7, v0
	v_lshl_add_u64 v[30:31], v[2:3], 4, s[8:9]
	v_add_u32_e32 v2, -15, v0
	global_load_dwordx4 v[54:57], v[30:31], off
	v_lshl_add_u64 v[30:31], v[2:3], 4, s[8:9]
	v_add_u32_e32 v2, 2, v24
	global_load_dwordx4 v[58:61], v[30:31], off
	v_lshl_add_u64 v[30:31], v[2:3], 4, s[10:11]
	v_add_u32_e32 v2, -6, v0
	global_load_dwordx4 v[62:65], v[30:31], off
	v_lshl_add_u64 v[30:31], v[2:3], 4, s[8:9]
	v_add_u32_e32 v2, -14, v0
	global_load_dwordx4 v[66:69], v[30:31], off
	v_lshl_add_u64 v[30:31], v[2:3], 4, s[8:9]
	v_add_u32_e32 v2, 3, v24
	global_load_dwordx4 v[70:73], v[30:31], off
	v_lshl_add_u64 v[30:31], v[2:3], 4, s[10:11]
	v_add_u32_e32 v2, -5, v0
	global_load_dwordx4 v[74:77], v[30:31], off
	v_lshl_add_u64 v[30:31], v[2:3], 4, s[8:9]
	v_add_u32_e32 v2, -13, v0
	s_waitcnt vmcnt(7)
	v_fmac_f64_e32 v[22:23], v[34:35], v[46:47]
	v_fmac_f64_e32 v[14:15], v[36:37], v[46:47]
	v_fma_f64 v[78:79], -v[36:37], v[48:49], v[22:23]
	v_fmac_f64_e32 v[14:15], v[34:35], v[48:49]
	global_load_dwordx4 v[34:37], v[30:31], off
	v_lshl_add_u64 v[22:23], v[2:3], 4, s[8:9]
	v_add_u32_e32 v2, 4, v24
	v_fmac_f64_e32 v[16:17], v[40:41], v[46:47]
	v_fmac_f64_e32 v[20:21], v[38:39], v[46:47]
	v_fmac_f64_e32 v[16:17], v[38:39], v[48:49]
	v_lshl_add_u64 v[38:39], v[2:3], 4, s[10:11]
	v_add_u32_e32 v2, -4, v0
	v_lshl_add_u64 v[46:47], v[2:3], 4, s[8:9]
	s_waitcnt vmcnt(7)
	v_fmac_f64_e32 v[78:79], v[26:27], v[50:51]
	v_fmac_f64_e32 v[14:15], v[28:29], v[50:51]
	v_fma_f64 v[78:79], -v[28:29], v[52:53], v[78:79]
	v_fmac_f64_e32 v[14:15], v[26:27], v[52:53]
	global_load_dwordx4 v[26:29], v[46:47], off
	v_fma_f64 v[30:31], -v[40:41], v[48:49], v[20:21]
	global_load_dwordx4 v[20:23], v[22:23], off
	v_add_u32_e32 v2, -12, v0
	global_load_dwordx4 v[38:41], v[38:39], off
	v_lshl_add_u64 v[46:47], v[2:3], 4, s[8:9]
	v_add_u32_e32 v2, 5, v24
	s_waitcnt vmcnt(9)
	v_fmac_f64_e32 v[30:31], v[54:55], v[50:51]
	v_fmac_f64_e32 v[16:17], v[56:57], v[50:51]
	v_lshl_add_u64 v[50:51], v[2:3], 4, s[10:11]
	v_add_u32_e32 v2, -3, v0
	v_fmac_f64_e32 v[16:17], v[54:55], v[52:53]
	v_lshl_add_u64 v[54:55], v[2:3], 4, s[8:9]
	v_add_u32_e32 v2, -11, v0
	s_waitcnt vmcnt(7)
	v_fmac_f64_e32 v[14:15], v[60:61], v[62:63]
	v_fma_f64 v[30:31], -v[56:57], v[52:53], v[30:31]
	v_fmac_f64_e32 v[78:79], v[58:59], v[62:63]
	v_fmac_f64_e32 v[14:15], v[58:59], v[64:65]
	v_lshl_add_u64 v[58:59], v[2:3], 4, s[8:9]
	v_add_u32_e32 v2, 6, v24
	s_waitcnt vmcnt(6)
	v_fmac_f64_e32 v[30:31], v[66:67], v[62:63]
	v_fmac_f64_e32 v[16:17], v[68:69], v[62:63]
	v_lshl_add_u64 v[62:63], v[2:3], 4, s[10:11]
	v_add_u32_e32 v2, -2, v0
	global_load_dwordx4 v[46:49], v[46:47], off
	v_fma_f64 v[78:79], -v[60:61], v[64:65], v[78:79]
	global_load_dwordx4 v[50:53], v[50:51], off
	v_fma_f64 v[30:31], -v[68:69], v[64:65], v[30:31]
	global_load_dwordx4 v[54:57], v[54:55], off
	v_fmac_f64_e32 v[16:17], v[66:67], v[64:65]
	global_load_dwordx4 v[58:61], v[58:59], off
	v_lshl_add_u64 v[66:67], v[2:3], 4, s[8:9]
	v_add_u32_e32 v2, -10, v0
	s_waitcnt vmcnt(8)
	v_fmac_f64_e32 v[14:15], v[72:73], v[74:75]
	v_fmac_f64_e32 v[78:79], v[70:71], v[74:75]
	;; [unrolled: 1-line block ×3, first 2 shown]
	v_lshl_add_u64 v[70:71], v[2:3], 4, s[8:9]
	v_add_u32_e32 v2, 7, v24
	global_load_dwordx4 v[62:65], v[62:63], off
	v_fma_f64 v[78:79], -v[72:73], v[76:77], v[78:79]
	global_load_dwordx4 v[66:69], v[66:67], off
	s_waitcnt vmcnt(9)
	v_fmac_f64_e32 v[30:31], v[34:35], v[74:75]
	v_fmac_f64_e32 v[16:17], v[36:37], v[74:75]
	v_fma_f64 v[30:31], -v[36:37], v[76:77], v[30:31]
	v_fmac_f64_e32 v[16:17], v[34:35], v[76:77]
	global_load_dwordx4 v[34:37], v[70:71], off
	v_lshl_add_u64 v[70:71], v[2:3], 4, s[10:11]
	v_add_u32_e32 v2, -1, v0
	v_lshl_add_u64 v[80:81], v[2:3], 4, s[8:9]
	v_add_u32_e32 v2, -9, v0
	v_lshl_add_u64 v[82:83], v[2:3], 4, s[8:9]
	v_add_u32_e32 v2, 8, v24
	global_load_dwordx4 v[70:73], v[70:71], off
	v_lshl_add_u64 v[24:25], v[2:3], 4, s[10:11]
	v_add_u32_e32 v0, 0x90, v0
	s_waitcnt vmcnt(8)
	v_fmac_f64_e32 v[78:79], v[20:21], v[38:39]
	v_fmac_f64_e32 v[14:15], v[22:23], v[38:39]
	v_fma_f64 v[78:79], -v[22:23], v[40:41], v[78:79]
	v_fmac_f64_e32 v[14:15], v[20:21], v[40:41]
	global_load_dwordx4 v[20:23], v[80:81], off
	global_load_dwordx4 v[74:77], v[82:83], off
	v_fmac_f64_e32 v[16:17], v[28:29], v[38:39]
	v_fmac_f64_e32 v[30:31], v[26:27], v[38:39]
	;; [unrolled: 1-line block ×3, first 2 shown]
	global_load_dwordx4 v[24:27], v[24:25], off
	v_fma_f64 v[28:29], -v[28:29], v[40:41], v[30:31]
	s_waitcnt vmcnt(9)
	v_fmac_f64_e32 v[78:79], v[46:47], v[50:51]
	v_fmac_f64_e32 v[14:15], v[48:49], v[50:51]
	s_waitcnt vmcnt(8)
	v_fmac_f64_e32 v[28:29], v[54:55], v[50:51]
	v_fmac_f64_e32 v[16:17], v[56:57], v[50:51]
	v_fma_f64 v[30:31], -v[48:49], v[52:53], v[78:79]
	v_fmac_f64_e32 v[14:15], v[46:47], v[52:53]
	v_fma_f64 v[28:29], -v[56:57], v[52:53], v[28:29]
	v_fmac_f64_e32 v[16:17], v[54:55], v[52:53]
	s_waitcnt vmcnt(6)
	v_fmac_f64_e32 v[30:31], v[58:59], v[62:63]
	v_fmac_f64_e32 v[14:15], v[60:61], v[62:63]
	s_waitcnt vmcnt(5)
	v_fmac_f64_e32 v[28:29], v[66:67], v[62:63]
	v_fmac_f64_e32 v[16:17], v[68:69], v[62:63]
	v_fma_f64 v[30:31], -v[60:61], v[64:65], v[30:31]
	v_fmac_f64_e32 v[14:15], v[58:59], v[64:65]
	v_fma_f64 v[28:29], -v[68:69], v[64:65], v[28:29]
	v_fmac_f64_e32 v[16:17], v[66:67], v[64:65]
	s_waitcnt vmcnt(3)
	v_fmac_f64_e32 v[30:31], v[34:35], v[70:71]
	v_fmac_f64_e32 v[14:15], v[36:37], v[70:71]
	v_fma_f64 v[30:31], -v[36:37], v[72:73], v[30:31]
	v_fmac_f64_e32 v[14:15], v[34:35], v[72:73]
	s_waitcnt vmcnt(2)
	v_fmac_f64_e32 v[28:29], v[20:21], v[70:71]
	;; [unrolled: 5-line block ×3, first 2 shown]
	v_fmac_f64_e32 v[14:15], v[76:77], v[24:25]
	v_fmac_f64_e32 v[28:29], v[42:43], v[24:25]
	;; [unrolled: 1-line block ×3, first 2 shown]
	v_fma_f64 v[22:23], -v[76:77], v[26:27], v[30:31]
	v_fmac_f64_e32 v[14:15], v[74:75], v[26:27]
	v_fma_f64 v[20:21], -v[44:45], v[26:27], v[28:29]
	v_fmac_f64_e32 v[16:17], v[42:43], v[26:27]
	s_andn2_b64 exec, exec, s[0:1]
	s_cbranch_execnz .LBB264_17
; %bb.18:
	s_or_b64 exec, exec, s[0:1]
.LBB264_19:
	s_or_b64 exec, exec, s[4:5]
.LBB264_20:
	v_mov_b32_dpp v18, v14 row_shr:1 row_mask:0xf bank_mask:0xf
	v_mov_b32_dpp v19, v15 row_shr:1 row_mask:0xf bank_mask:0xf
	v_add_f64 v[14:15], v[14:15], v[18:19]
	v_mov_b32_dpp v0, v22 row_shr:1 row_mask:0xf bank_mask:0xf
	v_mov_b32_dpp v1, v23 row_shr:1 row_mask:0xf bank_mask:0xf
	;; [unrolled: 1-line block ×4, first 2 shown]
	v_add_f64 v[18:19], v[14:15], v[18:19]
	v_mov_b32_dpp v14, v20 row_shr:1 row_mask:0xf bank_mask:0xf
	v_mov_b32_dpp v15, v21 row_shr:1 row_mask:0xf bank_mask:0xf
	v_add_f64 v[14:15], v[20:21], v[14:15]
	v_add_f64 v[0:1], v[22:23], v[0:1]
	v_mov_b32_dpp v22, v18 row_shr:4 row_mask:0xf bank_mask:0xe
	v_mov_b32_dpp v20, v14 row_shr:2 row_mask:0xf bank_mask:0xf
	;; [unrolled: 1-line block ×3, first 2 shown]
	v_add_f64 v[20:21], v[14:15], v[20:21]
	v_mov_b32_dpp v14, v16 row_shr:1 row_mask:0xf bank_mask:0xf
	v_mov_b32_dpp v15, v17 row_shr:1 row_mask:0xf bank_mask:0xf
	v_add_f64 v[14:15], v[16:17], v[14:15]
	v_mov_b32_dpp v2, v0 row_shr:2 row_mask:0xf bank_mask:0xf
	v_mov_b32_dpp v3, v1 row_shr:2 row_mask:0xf bank_mask:0xf
	;; [unrolled: 1-line block ×4, first 2 shown]
	v_add_f64 v[0:1], v[0:1], v[2:3]
	v_add_f64 v[26:27], v[14:15], v[16:17]
	v_mov_b32_dpp v23, v19 row_shr:4 row_mask:0xf bank_mask:0xe
	v_mov_b32_dpp v2, v0 row_shr:4 row_mask:0xf bank_mask:0xe
	;; [unrolled: 1-line block ×7, first 2 shown]
	v_cmp_eq_u32_e32 vcc, 7, v13
	s_and_b64 exec, exec, vcc
	s_cbranch_execz .LBB264_25
; %bb.21:
	s_load_dwordx2 s[2:3], s[2:3], 0x48
	v_cmp_eq_f64_e32 vcc, 0, v[8:9]
	v_cmp_eq_f64_e64 s[0:1], 0, v[10:11]
	v_add_f64 v[14:15], v[0:1], v[2:3]
	v_add_f64 v[16:17], v[18:19], v[22:23]
	;; [unrolled: 1-line block ×4, first 2 shown]
	s_and_b64 s[0:1], vcc, s[0:1]
	s_and_saveexec_b64 s[4:5], s[0:1]
	s_xor_b64 s[0:1], exec, s[4:5]
	s_cbranch_execz .LBB264_23
; %bb.22:
	v_lshlrev_b32_e32 v12, 1, v12
	v_mul_f64 v[8:9], v[16:17], -v[6:7]
	v_mul_f64 v[10:11], v[4:5], v[16:17]
	v_ashrrev_i32_e32 v13, 31, v12
	v_fmac_f64_e32 v[8:9], v[4:5], v[14:15]
	v_fmac_f64_e32 v[10:11], v[6:7], v[14:15]
	s_waitcnt lgkmcnt(0)
	v_lshl_add_u64 v[12:13], v[12:13], 4, s[2:3]
	global_store_dwordx4 v[12:13], v[8:11], off
                                        ; implicit-def: $vgpr14_vgpr15
                                        ; implicit-def: $vgpr16_vgpr17
	s_nop 1
	v_mul_f64 v[8:9], v[2:3], -v[6:7]
	v_mul_f64 v[10:11], v[4:5], v[2:3]
	v_fmac_f64_e32 v[8:9], v[4:5], v[0:1]
	v_fmac_f64_e32 v[10:11], v[6:7], v[0:1]
	global_store_dwordx4 v[12:13], v[8:11], off offset:16
                                        ; implicit-def: $vgpr4_vgpr5
                                        ; implicit-def: $vgpr6_vgpr7
                                        ; implicit-def: $vgpr8_vgpr9
                                        ; implicit-def: $vgpr10_vgpr11
                                        ; implicit-def: $vgpr12
                                        ; implicit-def: $vgpr0_vgpr1
                                        ; implicit-def: $vgpr2_vgpr3
.LBB264_23:
	s_andn2_saveexec_b64 s[0:1], s[0:1]
	s_cbranch_execz .LBB264_25
; %bb.24:
	v_lshlrev_b32_e32 v12, 1, v12
	v_ashrrev_i32_e32 v13, 31, v12
	s_waitcnt lgkmcnt(0)
	v_lshl_add_u64 v[12:13], v[12:13], 4, s[2:3]
	global_load_dwordx4 v[18:21], v[12:13], off
	global_load_dwordx4 v[22:25], v[12:13], off offset:16
	v_mul_f64 v[26:27], v[16:17], -v[6:7]
	v_mul_f64 v[16:17], v[4:5], v[16:17]
	v_mul_f64 v[28:29], v[2:3], -v[6:7]
	v_mul_f64 v[2:3], v[4:5], v[2:3]
	v_fmac_f64_e32 v[26:27], v[4:5], v[14:15]
	v_fmac_f64_e32 v[16:17], v[6:7], v[14:15]
	;; [unrolled: 1-line block ×4, first 2 shown]
	s_waitcnt vmcnt(1)
	v_fmac_f64_e32 v[26:27], v[8:9], v[18:19]
	v_fmac_f64_e32 v[16:17], v[10:11], v[18:19]
	s_waitcnt vmcnt(0)
	v_fmac_f64_e32 v[28:29], v[8:9], v[22:23]
	v_fmac_f64_e32 v[2:3], v[10:11], v[22:23]
	v_fma_f64 v[14:15], -v[10:11], v[20:21], v[26:27]
	v_fmac_f64_e32 v[16:17], v[8:9], v[20:21]
	v_fma_f64 v[0:1], -v[10:11], v[24:25], v[28:29]
	v_fmac_f64_e32 v[2:3], v[8:9], v[24:25]
	global_store_dwordx4 v[12:13], v[14:17], off
	global_store_dwordx4 v[12:13], v[0:3], off offset:16
.LBB264_25:
	s_endpgm
	.section	.rodata,"a",@progbits
	.p2align	6, 0x0
	.amdhsa_kernel _ZN9rocsparseL19gebsrmvn_2xn_kernelILj128ELj9ELj8E21rocsparse_complex_numIdEEEvi20rocsparse_direction_NS_24const_host_device_scalarIT2_EEPKiS8_PKS5_SA_S6_PS5_21rocsparse_index_base_b
		.amdhsa_group_segment_fixed_size 2048
		.amdhsa_private_segment_fixed_size 0
		.amdhsa_kernarg_size 88
		.amdhsa_user_sgpr_count 4
		.amdhsa_user_sgpr_dispatch_ptr 1
		.amdhsa_user_sgpr_queue_ptr 0
		.amdhsa_user_sgpr_kernarg_segment_ptr 1
		.amdhsa_user_sgpr_dispatch_id 0
		.amdhsa_user_sgpr_kernarg_preload_length 0
		.amdhsa_user_sgpr_kernarg_preload_offset 0
		.amdhsa_user_sgpr_private_segment_size 0
		.amdhsa_uses_dynamic_stack 0
		.amdhsa_enable_private_segment 0
		.amdhsa_system_sgpr_workgroup_id_x 1
		.amdhsa_system_sgpr_workgroup_id_y 0
		.amdhsa_system_sgpr_workgroup_id_z 0
		.amdhsa_system_sgpr_workgroup_info 0
		.amdhsa_system_vgpr_workitem_id 2
		.amdhsa_next_free_vgpr 92
		.amdhsa_next_free_sgpr 20
		.amdhsa_accum_offset 92
		.amdhsa_reserve_vcc 1
		.amdhsa_float_round_mode_32 0
		.amdhsa_float_round_mode_16_64 0
		.amdhsa_float_denorm_mode_32 3
		.amdhsa_float_denorm_mode_16_64 3
		.amdhsa_dx10_clamp 1
		.amdhsa_ieee_mode 1
		.amdhsa_fp16_overflow 0
		.amdhsa_tg_split 0
		.amdhsa_exception_fp_ieee_invalid_op 0
		.amdhsa_exception_fp_denorm_src 0
		.amdhsa_exception_fp_ieee_div_zero 0
		.amdhsa_exception_fp_ieee_overflow 0
		.amdhsa_exception_fp_ieee_underflow 0
		.amdhsa_exception_fp_ieee_inexact 0
		.amdhsa_exception_int_div_zero 0
	.end_amdhsa_kernel
	.section	.text._ZN9rocsparseL19gebsrmvn_2xn_kernelILj128ELj9ELj8E21rocsparse_complex_numIdEEEvi20rocsparse_direction_NS_24const_host_device_scalarIT2_EEPKiS8_PKS5_SA_S6_PS5_21rocsparse_index_base_b,"axG",@progbits,_ZN9rocsparseL19gebsrmvn_2xn_kernelILj128ELj9ELj8E21rocsparse_complex_numIdEEEvi20rocsparse_direction_NS_24const_host_device_scalarIT2_EEPKiS8_PKS5_SA_S6_PS5_21rocsparse_index_base_b,comdat
.Lfunc_end264:
	.size	_ZN9rocsparseL19gebsrmvn_2xn_kernelILj128ELj9ELj8E21rocsparse_complex_numIdEEEvi20rocsparse_direction_NS_24const_host_device_scalarIT2_EEPKiS8_PKS5_SA_S6_PS5_21rocsparse_index_base_b, .Lfunc_end264-_ZN9rocsparseL19gebsrmvn_2xn_kernelILj128ELj9ELj8E21rocsparse_complex_numIdEEEvi20rocsparse_direction_NS_24const_host_device_scalarIT2_EEPKiS8_PKS5_SA_S6_PS5_21rocsparse_index_base_b
                                        ; -- End function
	.section	.AMDGPU.csdata,"",@progbits
; Kernel info:
; codeLenInByte = 3044
; NumSgprs: 26
; NumVgprs: 92
; NumAgprs: 0
; TotalNumVgprs: 92
; ScratchSize: 0
; MemoryBound: 0
; FloatMode: 240
; IeeeMode: 1
; LDSByteSize: 2048 bytes/workgroup (compile time only)
; SGPRBlocks: 3
; VGPRBlocks: 11
; NumSGPRsForWavesPerEU: 26
; NumVGPRsForWavesPerEU: 92
; AccumOffset: 92
; Occupancy: 5
; WaveLimiterHint : 1
; COMPUTE_PGM_RSRC2:SCRATCH_EN: 0
; COMPUTE_PGM_RSRC2:USER_SGPR: 4
; COMPUTE_PGM_RSRC2:TRAP_HANDLER: 0
; COMPUTE_PGM_RSRC2:TGID_X_EN: 1
; COMPUTE_PGM_RSRC2:TGID_Y_EN: 0
; COMPUTE_PGM_RSRC2:TGID_Z_EN: 0
; COMPUTE_PGM_RSRC2:TIDIG_COMP_CNT: 2
; COMPUTE_PGM_RSRC3_GFX90A:ACCUM_OFFSET: 22
; COMPUTE_PGM_RSRC3_GFX90A:TG_SPLIT: 0
	.section	.text._ZN9rocsparseL19gebsrmvn_2xn_kernelILj128ELj9ELj16E21rocsparse_complex_numIdEEEvi20rocsparse_direction_NS_24const_host_device_scalarIT2_EEPKiS8_PKS5_SA_S6_PS5_21rocsparse_index_base_b,"axG",@progbits,_ZN9rocsparseL19gebsrmvn_2xn_kernelILj128ELj9ELj16E21rocsparse_complex_numIdEEEvi20rocsparse_direction_NS_24const_host_device_scalarIT2_EEPKiS8_PKS5_SA_S6_PS5_21rocsparse_index_base_b,comdat
	.globl	_ZN9rocsparseL19gebsrmvn_2xn_kernelILj128ELj9ELj16E21rocsparse_complex_numIdEEEvi20rocsparse_direction_NS_24const_host_device_scalarIT2_EEPKiS8_PKS5_SA_S6_PS5_21rocsparse_index_base_b ; -- Begin function _ZN9rocsparseL19gebsrmvn_2xn_kernelILj128ELj9ELj16E21rocsparse_complex_numIdEEEvi20rocsparse_direction_NS_24const_host_device_scalarIT2_EEPKiS8_PKS5_SA_S6_PS5_21rocsparse_index_base_b
	.p2align	8
	.type	_ZN9rocsparseL19gebsrmvn_2xn_kernelILj128ELj9ELj16E21rocsparse_complex_numIdEEEvi20rocsparse_direction_NS_24const_host_device_scalarIT2_EEPKiS8_PKS5_SA_S6_PS5_21rocsparse_index_base_b,@function
_ZN9rocsparseL19gebsrmvn_2xn_kernelILj128ELj9ELj16E21rocsparse_complex_numIdEEEvi20rocsparse_direction_NS_24const_host_device_scalarIT2_EEPKiS8_PKS5_SA_S6_PS5_21rocsparse_index_base_b: ; @_ZN9rocsparseL19gebsrmvn_2xn_kernelILj128ELj9ELj16E21rocsparse_complex_numIdEEEvi20rocsparse_direction_NS_24const_host_device_scalarIT2_EEPKiS8_PKS5_SA_S6_PS5_21rocsparse_index_base_b
; %bb.0:
	s_load_dwordx2 s[16:17], s[2:3], 0x50
	s_load_dwordx4 s[12:15], s[2:3], 0x8
	s_load_dwordx4 s[8:11], s[2:3], 0x38
	s_load_dwordx2 s[18:19], s[0:1], 0x4
	s_mov_b64 s[6:7], src_shared_base
	s_waitcnt lgkmcnt(0)
	s_bitcmp1_b32 s17, 0
	s_cselect_b64 s[0:1], -1, 0
	s_and_b64 vcc, s[0:1], exec
	s_cselect_b32 s5, s7, s13
	s_lshr_b32 s6, s18, 16
	v_bfe_u32 v2, v0, 10, 10
	v_and_b32_e32 v1, 0x3ff, v0
	s_mul_i32 s6, s6, s19
	v_mul_u32_u24_e32 v2, s19, v2
	v_mad_u32_u24 v2, s6, v1, v2
	v_bfe_u32 v0, v0, 20, 10
	v_add_lshl_u32 v0, v2, v0, 3
	v_mov_b32_e32 v6, s12
	v_add_u32_e32 v7, 0x400, v0
	v_mov_b64_e32 v[2:3], s[12:13]
	v_mov_b64_e32 v[4:5], s[8:9]
	ds_write2st64_b64 v0, v[4:5], v[2:3] offset1:2
	v_cndmask_b32_e64 v2, v6, v7, s[0:1]
	v_mov_b32_e32 v3, s5
	flat_load_dwordx2 v[4:5], v[2:3]
	s_xor_b64 s[18:19], s[0:1], -1
	v_mov_b64_e32 v[6:7], s[14:15]
	s_cbranch_vccnz .LBB265_2
; %bb.1:
	v_mov_b64_e32 v[2:3], s[12:13]
	flat_load_dwordx2 v[6:7], v[2:3] offset:8
.LBB265_2:
	s_and_b64 s[12:13], s[0:1], exec
	s_cselect_b32 s5, s7, s9
	v_mov_b32_e32 v2, s8
	v_cndmask_b32_e64 v2, v2, v0, s[0:1]
	v_mov_b32_e32 v3, s5
	flat_load_dwordx2 v[8:9], v[2:3]
	s_andn2_b64 vcc, exec, s[18:19]
	v_mov_b64_e32 v[10:11], s[10:11]
	s_cbranch_vccnz .LBB265_4
; %bb.3:
	v_mov_b64_e32 v[2:3], s[8:9]
	flat_load_dwordx2 v[10:11], v[2:3] offset:8
.LBB265_4:
	s_waitcnt vmcnt(0) lgkmcnt(0)
	v_cmp_eq_f64_e32 vcc, 0, v[4:5]
	v_cmp_eq_f64_e64 s[0:1], 0, v[6:7]
	s_and_b64 s[8:9], vcc, s[0:1]
	s_mov_b64 s[0:1], -1
	s_and_saveexec_b64 s[6:7], s[8:9]
; %bb.5:
	v_cmp_neq_f64_e32 vcc, 1.0, v[8:9]
	v_cmp_neq_f64_e64 s[0:1], 0, v[10:11]
	s_or_b64 s[0:1], vcc, s[0:1]
	s_orn2_b64 s[0:1], s[0:1], exec
; %bb.6:
	s_or_b64 exec, exec, s[6:7]
	s_and_saveexec_b64 s[6:7], s[0:1]
	s_cbranch_execz .LBB265_25
; %bb.7:
	s_load_dwordx2 s[0:1], s[2:3], 0x0
	v_lshrrev_b32_e32 v0, 4, v1
	v_lshl_or_b32 v12, s4, 3, v0
	s_waitcnt lgkmcnt(0)
	v_cmp_gt_i32_e32 vcc, s0, v12
	s_and_b64 exec, exec, vcc
	s_cbranch_execz .LBB265_25
; %bb.8:
	s_load_dwordx8 s[4:11], s[2:3], 0x18
	v_ashrrev_i32_e32 v13, 31, v12
	s_cmp_lg_u32 s1, 0
	s_waitcnt lgkmcnt(0)
	v_lshl_add_u64 v[2:3], v[12:13], 2, s[4:5]
	global_load_dwordx2 v[2:3], v[2:3], off
	v_and_b32_e32 v13, 15, v1
	s_waitcnt vmcnt(0)
	v_subrev_u32_e32 v0, s16, v2
	v_subrev_u32_e32 v32, s16, v3
	v_add_u32_e32 v18, v0, v13
	v_cmp_lt_i32_e64 s[0:1], v18, v32
	s_cbranch_scc0 .LBB265_14
; %bb.9:
	v_mov_b64_e32 v[16:17], 0
	s_mov_b64 s[4:5], 0
	v_mov_b64_e32 v[22:23], v[16:17]
	v_mov_b64_e32 v[20:21], v[16:17]
	v_mov_b64_e32 v[14:15], v[16:17]
	s_and_saveexec_b64 s[12:13], s[0:1]
	s_cbranch_execz .LBB265_13
; %bb.10:
	v_mad_u64_u32 v[24:25], s[14:15], v18, 18, 16
	v_mov_b64_e32 v[16:17], 0
	s_mov_b64 s[14:15], 0
	v_mov_b32_e32 v27, 0
	v_mov_b32_e32 v28, v18
	v_mov_b64_e32 v[22:23], v[16:17]
	v_mov_b64_e32 v[20:21], v[16:17]
	;; [unrolled: 1-line block ×3, first 2 shown]
.LBB265_11:                             ; =>This Inner Loop Header: Depth=1
	v_ashrrev_i32_e32 v29, 31, v28
	v_add_u32_e32 v26, -16, v24
	v_lshl_add_u64 v[0:1], v[28:29], 2, s[6:7]
	v_lshl_add_u64 v[2:3], v[26:27], 4, s[8:9]
	global_load_dword v19, v[0:1], off
	global_load_dwordx4 v[34:37], v[2:3], off offset:16
	global_load_dwordx4 v[38:41], v[2:3], off
	v_mov_b32_e32 v25, v27
	v_mov_b32_e32 v31, v27
	v_add_u32_e32 v26, -14, v24
	v_lshl_add_u64 v[54:55], v[24:25], 4, s[8:9]
	v_lshl_add_u64 v[56:57], v[26:27], 4, s[8:9]
	global_load_dwordx4 v[0:3], v[54:55], off offset:16
	global_load_dwordx4 v[42:45], v[54:55], off
	global_load_dwordx4 v[46:49], v[56:57], off offset:16
	global_load_dwordx4 v[50:53], v[56:57], off
	v_add_u32_e32 v28, 16, v28
	v_cmp_ge_i32_e32 vcc, v28, v32
	s_or_b64 s[14:15], vcc, s[14:15]
	s_waitcnt vmcnt(6)
	v_subrev_u32_e32 v19, s16, v19
	v_lshl_add_u32 v30, v19, 3, v19
	v_lshl_add_u64 v[54:55], v[30:31], 4, s[10:11]
	v_add_u32_e32 v26, 1, v30
	global_load_dwordx4 v[54:57], v[54:55], off
	v_lshl_add_u64 v[58:59], v[26:27], 4, s[10:11]
	global_load_dwordx4 v[58:61], v[58:59], off
	v_add_u32_e32 v26, -12, v24
	v_lshl_add_u64 v[70:71], v[26:27], 4, s[8:9]
	v_add_u32_e32 v26, 2, v30
	global_load_dwordx4 v[62:65], v[70:71], off offset:16
	global_load_dwordx4 v[66:69], v[70:71], off
	v_lshl_add_u64 v[70:71], v[26:27], 4, s[10:11]
	v_add_u32_e32 v26, -10, v24
	global_load_dwordx4 v[70:73], v[70:71], off
	v_lshl_add_u64 v[82:83], v[26:27], 4, s[8:9]
	v_add_u32_e32 v26, 3, v30
	global_load_dwordx4 v[74:77], v[82:83], off offset:16
	global_load_dwordx4 v[78:81], v[82:83], off
	v_lshl_add_u64 v[82:83], v[26:27], 4, s[10:11]
	global_load_dwordx4 v[82:85], v[82:83], off
	v_add_u32_e32 v26, -8, v24
	v_lshl_add_u64 v[86:87], v[26:27], 4, s[8:9]
	v_add_u32_e32 v26, 4, v30
	s_waitcnt vmcnt(7)
	v_fmac_f64_e32 v[22:23], v[38:39], v[54:55]
	v_fmac_f64_e32 v[16:17], v[40:41], v[54:55]
	;; [unrolled: 1-line block ×4, first 2 shown]
	v_fma_f64 v[88:89], -v[40:41], v[56:57], v[22:23]
	v_fmac_f64_e32 v[16:17], v[38:39], v[56:57]
	v_fma_f64 v[54:55], -v[36:37], v[56:57], v[20:21]
	v_fmac_f64_e32 v[14:15], v[34:35], v[56:57]
	v_lshl_add_u64 v[34:35], v[26:27], 4, s[10:11]
	v_add_u32_e32 v26, -6, v24
	global_load_dwordx4 v[38:41], v[86:87], off offset:16
	global_load_dwordx4 v[20:23], v[86:87], off
	v_lshl_add_u64 v[56:57], v[26:27], 4, s[8:9]
	global_load_dwordx4 v[34:37], v[34:35], off
	v_add_u32_e32 v26, 5, v30
	s_waitcnt vmcnt(9)
	v_fmac_f64_e32 v[88:89], v[50:51], v[58:59]
	v_fmac_f64_e32 v[16:17], v[52:53], v[58:59]
	;; [unrolled: 1-line block ×3, first 2 shown]
	v_fma_f64 v[86:87], -v[52:53], v[60:61], v[88:89]
	v_fmac_f64_e32 v[16:17], v[50:51], v[60:61]
	v_fmac_f64_e32 v[14:15], v[48:49], v[58:59]
	v_fma_f64 v[88:89], -v[48:49], v[60:61], v[54:55]
	v_lshl_add_u64 v[54:55], v[26:27], 4, s[10:11]
	v_add_u32_e32 v26, -4, v24
	global_load_dwordx4 v[50:53], v[56:57], off offset:16
	v_fmac_f64_e32 v[14:15], v[46:47], v[60:61]
	global_load_dwordx4 v[46:49], v[56:57], off
	v_lshl_add_u64 v[90:91], v[26:27], 4, s[8:9]
	global_load_dwordx4 v[54:57], v[54:55], off
	v_add_u32_e32 v26, 6, v30
	s_waitcnt vmcnt(9)
	v_fmac_f64_e32 v[16:17], v[68:69], v[70:71]
	v_fmac_f64_e32 v[86:87], v[66:67], v[70:71]
	;; [unrolled: 1-line block ×5, first 2 shown]
	v_lshl_add_u64 v[66:67], v[26:27], 4, s[10:11]
	v_add_u32_e32 v26, -2, v24
	v_fma_f64 v[86:87], -v[68:69], v[72:73], v[86:87]
	global_load_dwordx4 v[66:69], v[66:67], off
	v_fma_f64 v[88:89], -v[64:65], v[72:73], v[88:89]
	global_load_dwordx4 v[58:61], v[90:91], off offset:16
	v_fmac_f64_e32 v[14:15], v[62:63], v[72:73]
	global_load_dwordx4 v[62:65], v[90:91], off
	v_lshl_add_u64 v[90:91], v[26:27], 4, s[8:9]
	v_add_u32_e32 v26, 7, v30
	s_waitcnt vmcnt(9)
	v_fmac_f64_e32 v[16:17], v[80:81], v[82:83]
	v_fmac_f64_e32 v[86:87], v[78:79], v[82:83]
	;; [unrolled: 1-line block ×5, first 2 shown]
	v_lshl_add_u64 v[78:79], v[26:27], 4, s[10:11]
	v_fma_f64 v[86:87], -v[80:81], v[84:85], v[86:87]
	global_load_dwordx4 v[70:73], v[90:91], off offset:16
	v_fma_f64 v[88:89], -v[76:77], v[84:85], v[88:89]
	v_fmac_f64_e32 v[14:15], v[74:75], v[84:85]
	global_load_dwordx4 v[74:77], v[90:91], off
	v_add_u32_e32 v26, 8, v30
	global_load_dwordx4 v[78:81], v[78:79], off
	v_lshl_add_u64 v[30:31], v[26:27], 4, s[10:11]
	global_load_dwordx4 v[82:85], v[30:31], off
	v_add_u32_e32 v24, 0x120, v24
	s_waitcnt vmcnt(10)
	v_fmac_f64_e32 v[86:87], v[20:21], v[34:35]
	v_fmac_f64_e32 v[16:17], v[22:23], v[34:35]
	;; [unrolled: 1-line block ×4, first 2 shown]
	v_fma_f64 v[22:23], -v[22:23], v[36:37], v[86:87]
	v_fmac_f64_e32 v[16:17], v[20:21], v[36:37]
	v_fma_f64 v[20:21], -v[40:41], v[36:37], v[88:89]
	v_fmac_f64_e32 v[14:15], v[38:39], v[36:37]
	s_waitcnt vmcnt(7)
	v_fmac_f64_e32 v[22:23], v[46:47], v[54:55]
	v_fmac_f64_e32 v[16:17], v[48:49], v[54:55]
	;; [unrolled: 1-line block ×4, first 2 shown]
	v_fma_f64 v[22:23], -v[48:49], v[56:57], v[22:23]
	v_fmac_f64_e32 v[16:17], v[46:47], v[56:57]
	v_fma_f64 v[20:21], -v[52:53], v[56:57], v[20:21]
	v_fmac_f64_e32 v[14:15], v[50:51], v[56:57]
	s_waitcnt vmcnt(5)
	v_fmac_f64_e32 v[20:21], v[58:59], v[66:67]
	v_fmac_f64_e32 v[14:15], v[60:61], v[66:67]
	s_waitcnt vmcnt(4)
	v_fmac_f64_e32 v[22:23], v[62:63], v[66:67]
	v_fmac_f64_e32 v[16:17], v[64:65], v[66:67]
	v_fma_f64 v[22:23], -v[64:65], v[68:69], v[22:23]
	v_fmac_f64_e32 v[16:17], v[62:63], v[68:69]
	v_fma_f64 v[20:21], -v[60:61], v[68:69], v[20:21]
	v_fmac_f64_e32 v[14:15], v[58:59], v[68:69]
	s_waitcnt vmcnt(1)
	v_fmac_f64_e32 v[22:23], v[74:75], v[78:79]
	v_fmac_f64_e32 v[16:17], v[76:77], v[78:79]
	;; [unrolled: 1-line block ×4, first 2 shown]
	v_fma_f64 v[22:23], -v[76:77], v[80:81], v[22:23]
	v_fmac_f64_e32 v[16:17], v[74:75], v[80:81]
	v_fma_f64 v[20:21], -v[72:73], v[80:81], v[20:21]
	v_fmac_f64_e32 v[14:15], v[70:71], v[80:81]
	s_waitcnt vmcnt(0)
	v_fmac_f64_e32 v[22:23], v[42:43], v[82:83]
	v_fmac_f64_e32 v[16:17], v[44:45], v[82:83]
	;; [unrolled: 1-line block ×4, first 2 shown]
	v_fma_f64 v[22:23], -v[44:45], v[84:85], v[22:23]
	v_fmac_f64_e32 v[16:17], v[42:43], v[84:85]
	v_fma_f64 v[20:21], -v[2:3], v[84:85], v[20:21]
	v_fmac_f64_e32 v[14:15], v[0:1], v[84:85]
	s_andn2_b64 exec, exec, s[14:15]
	s_cbranch_execnz .LBB265_11
; %bb.12:
	s_or_b64 exec, exec, s[14:15]
.LBB265_13:
	s_or_b64 exec, exec, s[12:13]
	s_andn2_b64 vcc, exec, s[4:5]
	s_cbranch_vccz .LBB265_15
	s_branch .LBB265_20
.LBB265_14:
                                        ; implicit-def: $vgpr16_vgpr17
                                        ; implicit-def: $vgpr22_vgpr23
                                        ; implicit-def: $vgpr20_vgpr21
                                        ; implicit-def: $vgpr14_vgpr15
.LBB265_15:
	v_mov_b64_e32 v[16:17], 0
	v_mov_b64_e32 v[22:23], v[16:17]
	;; [unrolled: 1-line block ×4, first 2 shown]
	s_and_saveexec_b64 s[4:5], s[0:1]
	s_cbranch_execz .LBB265_19
; %bb.16:
	v_mad_u64_u32 v[0:1], s[0:1], v18, 18, 17
	v_mov_b64_e32 v[16:17], 0
	s_mov_b64 s[0:1], 0
	v_mov_b32_e32 v3, 0
	v_mov_b64_e32 v[22:23], v[16:17]
	v_mov_b64_e32 v[20:21], v[16:17]
	;; [unrolled: 1-line block ×3, first 2 shown]
.LBB265_17:                             ; =>This Inner Loop Header: Depth=1
	v_ashrrev_i32_e32 v19, 31, v18
	v_subrev_u32_e32 v2, 17, v0
	v_add_u32_e32 v26, -8, v0
	v_mov_b32_e32 v27, v3
	v_mov_b32_e32 v1, v3
	v_lshl_add_u64 v[30:31], v[18:19], 2, s[6:7]
	v_lshl_add_u64 v[46:47], v[2:3], 4, s[8:9]
	;; [unrolled: 1-line block ×4, first 2 shown]
	global_load_dword v1, v[30:31], off
	global_load_dwordx4 v[26:29], v[46:47], off offset:16
	global_load_dwordx4 v[34:37], v[46:47], off
	global_load_dwordx4 v[38:41], v[48:49], off
	;; [unrolled: 1-line block ×3, first 2 shown]
	v_mov_b32_e32 v25, v3
	v_add_u32_e32 v18, 16, v18
	v_cmp_ge_i32_e32 vcc, v18, v32
	s_or_b64 s[0:1], vcc, s[0:1]
	s_waitcnt vmcnt(4)
	v_subrev_u32_e32 v1, s16, v1
	v_lshl_add_u32 v24, v1, 3, v1
	v_lshl_add_u64 v[30:31], v[24:25], 4, s[10:11]
	global_load_dwordx4 v[46:49], v[30:31], off
	v_add_u32_e32 v2, 1, v24
	v_lshl_add_u64 v[30:31], v[2:3], 4, s[10:11]
	global_load_dwordx4 v[50:53], v[30:31], off
	v_add_u32_e32 v2, -7, v0
	v_lshl_add_u64 v[30:31], v[2:3], 4, s[8:9]
	v_add_u32_e32 v2, -15, v0
	global_load_dwordx4 v[54:57], v[30:31], off
	v_lshl_add_u64 v[30:31], v[2:3], 4, s[8:9]
	v_add_u32_e32 v2, 2, v24
	global_load_dwordx4 v[58:61], v[30:31], off
	v_lshl_add_u64 v[30:31], v[2:3], 4, s[10:11]
	v_add_u32_e32 v2, -6, v0
	global_load_dwordx4 v[62:65], v[30:31], off
	v_lshl_add_u64 v[30:31], v[2:3], 4, s[8:9]
	v_add_u32_e32 v2, -14, v0
	global_load_dwordx4 v[66:69], v[30:31], off
	v_lshl_add_u64 v[30:31], v[2:3], 4, s[8:9]
	v_add_u32_e32 v2, 3, v24
	global_load_dwordx4 v[70:73], v[30:31], off
	v_lshl_add_u64 v[30:31], v[2:3], 4, s[10:11]
	v_add_u32_e32 v2, -5, v0
	global_load_dwordx4 v[74:77], v[30:31], off
	v_lshl_add_u64 v[30:31], v[2:3], 4, s[8:9]
	v_add_u32_e32 v2, -13, v0
	s_waitcnt vmcnt(7)
	v_fmac_f64_e32 v[22:23], v[34:35], v[46:47]
	v_fmac_f64_e32 v[16:17], v[36:37], v[46:47]
	v_fma_f64 v[78:79], -v[36:37], v[48:49], v[22:23]
	v_fmac_f64_e32 v[16:17], v[34:35], v[48:49]
	global_load_dwordx4 v[34:37], v[30:31], off
	v_lshl_add_u64 v[22:23], v[2:3], 4, s[8:9]
	v_add_u32_e32 v2, 4, v24
	v_fmac_f64_e32 v[14:15], v[40:41], v[46:47]
	v_fmac_f64_e32 v[20:21], v[38:39], v[46:47]
	;; [unrolled: 1-line block ×3, first 2 shown]
	v_lshl_add_u64 v[38:39], v[2:3], 4, s[10:11]
	v_add_u32_e32 v2, -4, v0
	v_lshl_add_u64 v[46:47], v[2:3], 4, s[8:9]
	s_waitcnt vmcnt(7)
	v_fmac_f64_e32 v[78:79], v[26:27], v[50:51]
	v_fmac_f64_e32 v[16:17], v[28:29], v[50:51]
	v_fma_f64 v[78:79], -v[28:29], v[52:53], v[78:79]
	v_fmac_f64_e32 v[16:17], v[26:27], v[52:53]
	global_load_dwordx4 v[26:29], v[46:47], off
	v_fma_f64 v[30:31], -v[40:41], v[48:49], v[20:21]
	global_load_dwordx4 v[20:23], v[22:23], off
	v_add_u32_e32 v2, -12, v0
	global_load_dwordx4 v[38:41], v[38:39], off
	v_lshl_add_u64 v[46:47], v[2:3], 4, s[8:9]
	v_add_u32_e32 v2, 5, v24
	s_waitcnt vmcnt(9)
	v_fmac_f64_e32 v[30:31], v[54:55], v[50:51]
	v_fmac_f64_e32 v[14:15], v[56:57], v[50:51]
	v_lshl_add_u64 v[50:51], v[2:3], 4, s[10:11]
	v_add_u32_e32 v2, -3, v0
	v_fmac_f64_e32 v[14:15], v[54:55], v[52:53]
	v_lshl_add_u64 v[54:55], v[2:3], 4, s[8:9]
	v_add_u32_e32 v2, -11, v0
	s_waitcnt vmcnt(7)
	v_fmac_f64_e32 v[16:17], v[60:61], v[62:63]
	v_fma_f64 v[30:31], -v[56:57], v[52:53], v[30:31]
	v_fmac_f64_e32 v[78:79], v[58:59], v[62:63]
	v_fmac_f64_e32 v[16:17], v[58:59], v[64:65]
	v_lshl_add_u64 v[58:59], v[2:3], 4, s[8:9]
	v_add_u32_e32 v2, 6, v24
	s_waitcnt vmcnt(6)
	v_fmac_f64_e32 v[30:31], v[66:67], v[62:63]
	v_fmac_f64_e32 v[14:15], v[68:69], v[62:63]
	v_lshl_add_u64 v[62:63], v[2:3], 4, s[10:11]
	v_add_u32_e32 v2, -2, v0
	global_load_dwordx4 v[46:49], v[46:47], off
	v_fma_f64 v[78:79], -v[60:61], v[64:65], v[78:79]
	global_load_dwordx4 v[50:53], v[50:51], off
	v_fma_f64 v[30:31], -v[68:69], v[64:65], v[30:31]
	global_load_dwordx4 v[54:57], v[54:55], off
	v_fmac_f64_e32 v[14:15], v[66:67], v[64:65]
	global_load_dwordx4 v[58:61], v[58:59], off
	v_lshl_add_u64 v[66:67], v[2:3], 4, s[8:9]
	v_add_u32_e32 v2, -10, v0
	s_waitcnt vmcnt(8)
	v_fmac_f64_e32 v[16:17], v[72:73], v[74:75]
	v_fmac_f64_e32 v[78:79], v[70:71], v[74:75]
	;; [unrolled: 1-line block ×3, first 2 shown]
	v_lshl_add_u64 v[70:71], v[2:3], 4, s[8:9]
	v_add_u32_e32 v2, 7, v24
	global_load_dwordx4 v[62:65], v[62:63], off
	v_fma_f64 v[78:79], -v[72:73], v[76:77], v[78:79]
	global_load_dwordx4 v[66:69], v[66:67], off
	s_waitcnt vmcnt(9)
	v_fmac_f64_e32 v[30:31], v[34:35], v[74:75]
	v_fmac_f64_e32 v[14:15], v[36:37], v[74:75]
	v_fma_f64 v[30:31], -v[36:37], v[76:77], v[30:31]
	v_fmac_f64_e32 v[14:15], v[34:35], v[76:77]
	global_load_dwordx4 v[34:37], v[70:71], off
	v_lshl_add_u64 v[70:71], v[2:3], 4, s[10:11]
	v_add_u32_e32 v2, -1, v0
	v_lshl_add_u64 v[80:81], v[2:3], 4, s[8:9]
	v_add_u32_e32 v2, -9, v0
	v_lshl_add_u64 v[82:83], v[2:3], 4, s[8:9]
	v_add_u32_e32 v2, 8, v24
	global_load_dwordx4 v[70:73], v[70:71], off
	v_lshl_add_u64 v[24:25], v[2:3], 4, s[10:11]
	v_add_u32_e32 v0, 0x120, v0
	s_waitcnt vmcnt(8)
	v_fmac_f64_e32 v[78:79], v[20:21], v[38:39]
	v_fmac_f64_e32 v[16:17], v[22:23], v[38:39]
	v_fma_f64 v[78:79], -v[22:23], v[40:41], v[78:79]
	v_fmac_f64_e32 v[16:17], v[20:21], v[40:41]
	global_load_dwordx4 v[20:23], v[80:81], off
	global_load_dwordx4 v[74:77], v[82:83], off
	v_fmac_f64_e32 v[14:15], v[28:29], v[38:39]
	v_fmac_f64_e32 v[30:31], v[26:27], v[38:39]
	;; [unrolled: 1-line block ×3, first 2 shown]
	global_load_dwordx4 v[24:27], v[24:25], off
	v_fma_f64 v[28:29], -v[28:29], v[40:41], v[30:31]
	s_waitcnt vmcnt(9)
	v_fmac_f64_e32 v[78:79], v[46:47], v[50:51]
	v_fmac_f64_e32 v[16:17], v[48:49], v[50:51]
	s_waitcnt vmcnt(8)
	v_fmac_f64_e32 v[28:29], v[54:55], v[50:51]
	v_fmac_f64_e32 v[14:15], v[56:57], v[50:51]
	v_fma_f64 v[30:31], -v[48:49], v[52:53], v[78:79]
	v_fmac_f64_e32 v[16:17], v[46:47], v[52:53]
	v_fma_f64 v[28:29], -v[56:57], v[52:53], v[28:29]
	v_fmac_f64_e32 v[14:15], v[54:55], v[52:53]
	s_waitcnt vmcnt(6)
	v_fmac_f64_e32 v[30:31], v[58:59], v[62:63]
	v_fmac_f64_e32 v[16:17], v[60:61], v[62:63]
	s_waitcnt vmcnt(5)
	v_fmac_f64_e32 v[28:29], v[66:67], v[62:63]
	v_fmac_f64_e32 v[14:15], v[68:69], v[62:63]
	v_fma_f64 v[30:31], -v[60:61], v[64:65], v[30:31]
	v_fmac_f64_e32 v[16:17], v[58:59], v[64:65]
	v_fma_f64 v[28:29], -v[68:69], v[64:65], v[28:29]
	v_fmac_f64_e32 v[14:15], v[66:67], v[64:65]
	s_waitcnt vmcnt(3)
	v_fmac_f64_e32 v[30:31], v[34:35], v[70:71]
	v_fmac_f64_e32 v[16:17], v[36:37], v[70:71]
	v_fma_f64 v[30:31], -v[36:37], v[72:73], v[30:31]
	v_fmac_f64_e32 v[16:17], v[34:35], v[72:73]
	s_waitcnt vmcnt(2)
	v_fmac_f64_e32 v[28:29], v[20:21], v[70:71]
	;; [unrolled: 5-line block ×3, first 2 shown]
	v_fmac_f64_e32 v[16:17], v[76:77], v[24:25]
	v_fmac_f64_e32 v[28:29], v[42:43], v[24:25]
	v_fmac_f64_e32 v[14:15], v[44:45], v[24:25]
	v_fma_f64 v[22:23], -v[76:77], v[26:27], v[30:31]
	v_fmac_f64_e32 v[16:17], v[74:75], v[26:27]
	v_fma_f64 v[20:21], -v[44:45], v[26:27], v[28:29]
	v_fmac_f64_e32 v[14:15], v[42:43], v[26:27]
	s_andn2_b64 exec, exec, s[0:1]
	s_cbranch_execnz .LBB265_17
; %bb.18:
	s_or_b64 exec, exec, s[0:1]
.LBB265_19:
	s_or_b64 exec, exec, s[4:5]
.LBB265_20:
	v_mov_b32_dpp v0, v22 row_shr:1 row_mask:0xf bank_mask:0xf
	v_mov_b32_dpp v1, v23 row_shr:1 row_mask:0xf bank_mask:0xf
	v_add_f64 v[0:1], v[22:23], v[0:1]
	v_mov_b32_dpp v18, v16 row_shr:1 row_mask:0xf bank_mask:0xf
	v_mov_b32_dpp v19, v17 row_shr:1 row_mask:0xf bank_mask:0xf
	;; [unrolled: 1-line block ×6, first 2 shown]
	v_add_f64 v[16:17], v[16:17], v[18:19]
	v_add_f64 v[20:21], v[20:21], v[22:23]
	;; [unrolled: 1-line block ×3, first 2 shown]
	v_mov_b32_dpp v2, v0 row_shr:2 row_mask:0xf bank_mask:0xf
	v_mov_b32_dpp v3, v1 row_shr:2 row_mask:0xf bank_mask:0xf
	;; [unrolled: 1-line block ×8, first 2 shown]
	v_add_f64 v[0:1], v[0:1], v[2:3]
	v_add_f64 v[16:17], v[16:17], v[18:19]
	;; [unrolled: 1-line block ×4, first 2 shown]
	v_mov_b32_dpp v2, v0 row_shr:4 row_mask:0xf bank_mask:0xe
	v_mov_b32_dpp v3, v1 row_shr:4 row_mask:0xf bank_mask:0xe
	v_mov_b32_dpp v18, v16 row_shr:4 row_mask:0xf bank_mask:0xe
	v_mov_b32_dpp v19, v17 row_shr:4 row_mask:0xf bank_mask:0xe
	v_mov_b32_dpp v22, v20 row_shr:4 row_mask:0xf bank_mask:0xe
	v_mov_b32_dpp v23, v21 row_shr:4 row_mask:0xf bank_mask:0xe
	v_mov_b32_dpp v24, v14 row_shr:4 row_mask:0xf bank_mask:0xe
	v_mov_b32_dpp v25, v15 row_shr:4 row_mask:0xf bank_mask:0xe
	v_add_f64 v[0:1], v[0:1], v[2:3]
	v_add_f64 v[16:17], v[16:17], v[18:19]
	;; [unrolled: 1-line block ×4, first 2 shown]
	v_mov_b32_dpp v2, v0 row_shr:8 row_mask:0xf bank_mask:0xc
	v_mov_b32_dpp v3, v1 row_shr:8 row_mask:0xf bank_mask:0xc
	;; [unrolled: 1-line block ×8, first 2 shown]
	v_cmp_eq_u32_e32 vcc, 15, v13
	s_and_b64 exec, exec, vcc
	s_cbranch_execz .LBB265_25
; %bb.21:
	s_load_dwordx2 s[2:3], s[2:3], 0x48
	v_cmp_eq_f64_e32 vcc, 0, v[8:9]
	v_cmp_eq_f64_e64 s[0:1], 0, v[10:11]
	v_add_f64 v[14:15], v[0:1], v[2:3]
	v_add_f64 v[16:17], v[16:17], v[18:19]
	;; [unrolled: 1-line block ×4, first 2 shown]
	s_and_b64 s[0:1], vcc, s[0:1]
	s_and_saveexec_b64 s[4:5], s[0:1]
	s_xor_b64 s[0:1], exec, s[4:5]
	s_cbranch_execz .LBB265_23
; %bb.22:
	v_lshlrev_b32_e32 v12, 1, v12
	v_mul_f64 v[8:9], v[16:17], -v[6:7]
	v_mul_f64 v[10:11], v[4:5], v[16:17]
	v_ashrrev_i32_e32 v13, 31, v12
	v_fmac_f64_e32 v[8:9], v[4:5], v[14:15]
	v_fmac_f64_e32 v[10:11], v[6:7], v[14:15]
	s_waitcnt lgkmcnt(0)
	v_lshl_add_u64 v[12:13], v[12:13], 4, s[2:3]
	global_store_dwordx4 v[12:13], v[8:11], off
                                        ; implicit-def: $vgpr14_vgpr15
                                        ; implicit-def: $vgpr16_vgpr17
	s_nop 1
	v_mul_f64 v[8:9], v[2:3], -v[6:7]
	v_mul_f64 v[10:11], v[4:5], v[2:3]
	v_fmac_f64_e32 v[8:9], v[4:5], v[0:1]
	v_fmac_f64_e32 v[10:11], v[6:7], v[0:1]
	global_store_dwordx4 v[12:13], v[8:11], off offset:16
                                        ; implicit-def: $vgpr4_vgpr5
                                        ; implicit-def: $vgpr6_vgpr7
                                        ; implicit-def: $vgpr8_vgpr9
                                        ; implicit-def: $vgpr10_vgpr11
                                        ; implicit-def: $vgpr12
                                        ; implicit-def: $vgpr0_vgpr1
                                        ; implicit-def: $vgpr2_vgpr3
.LBB265_23:
	s_andn2_saveexec_b64 s[0:1], s[0:1]
	s_cbranch_execz .LBB265_25
; %bb.24:
	v_lshlrev_b32_e32 v12, 1, v12
	v_ashrrev_i32_e32 v13, 31, v12
	s_waitcnt lgkmcnt(0)
	v_lshl_add_u64 v[12:13], v[12:13], 4, s[2:3]
	global_load_dwordx4 v[18:21], v[12:13], off
	global_load_dwordx4 v[22:25], v[12:13], off offset:16
	v_mul_f64 v[26:27], v[16:17], -v[6:7]
	v_mul_f64 v[16:17], v[4:5], v[16:17]
	v_mul_f64 v[28:29], v[2:3], -v[6:7]
	v_mul_f64 v[2:3], v[4:5], v[2:3]
	v_fmac_f64_e32 v[26:27], v[4:5], v[14:15]
	v_fmac_f64_e32 v[16:17], v[6:7], v[14:15]
	v_fmac_f64_e32 v[28:29], v[4:5], v[0:1]
	v_fmac_f64_e32 v[2:3], v[6:7], v[0:1]
	s_waitcnt vmcnt(1)
	v_fmac_f64_e32 v[26:27], v[8:9], v[18:19]
	v_fmac_f64_e32 v[16:17], v[10:11], v[18:19]
	s_waitcnt vmcnt(0)
	v_fmac_f64_e32 v[28:29], v[8:9], v[22:23]
	v_fmac_f64_e32 v[2:3], v[10:11], v[22:23]
	v_fma_f64 v[14:15], -v[10:11], v[20:21], v[26:27]
	v_fmac_f64_e32 v[16:17], v[8:9], v[20:21]
	v_fma_f64 v[0:1], -v[10:11], v[24:25], v[28:29]
	v_fmac_f64_e32 v[2:3], v[8:9], v[24:25]
	global_store_dwordx4 v[12:13], v[14:17], off
	global_store_dwordx4 v[12:13], v[0:3], off offset:16
.LBB265_25:
	s_endpgm
	.section	.rodata,"a",@progbits
	.p2align	6, 0x0
	.amdhsa_kernel _ZN9rocsparseL19gebsrmvn_2xn_kernelILj128ELj9ELj16E21rocsparse_complex_numIdEEEvi20rocsparse_direction_NS_24const_host_device_scalarIT2_EEPKiS8_PKS5_SA_S6_PS5_21rocsparse_index_base_b
		.amdhsa_group_segment_fixed_size 2048
		.amdhsa_private_segment_fixed_size 0
		.amdhsa_kernarg_size 88
		.amdhsa_user_sgpr_count 4
		.amdhsa_user_sgpr_dispatch_ptr 1
		.amdhsa_user_sgpr_queue_ptr 0
		.amdhsa_user_sgpr_kernarg_segment_ptr 1
		.amdhsa_user_sgpr_dispatch_id 0
		.amdhsa_user_sgpr_kernarg_preload_length 0
		.amdhsa_user_sgpr_kernarg_preload_offset 0
		.amdhsa_user_sgpr_private_segment_size 0
		.amdhsa_uses_dynamic_stack 0
		.amdhsa_enable_private_segment 0
		.amdhsa_system_sgpr_workgroup_id_x 1
		.amdhsa_system_sgpr_workgroup_id_y 0
		.amdhsa_system_sgpr_workgroup_id_z 0
		.amdhsa_system_sgpr_workgroup_info 0
		.amdhsa_system_vgpr_workitem_id 2
		.amdhsa_next_free_vgpr 92
		.amdhsa_next_free_sgpr 20
		.amdhsa_accum_offset 92
		.amdhsa_reserve_vcc 1
		.amdhsa_float_round_mode_32 0
		.amdhsa_float_round_mode_16_64 0
		.amdhsa_float_denorm_mode_32 3
		.amdhsa_float_denorm_mode_16_64 3
		.amdhsa_dx10_clamp 1
		.amdhsa_ieee_mode 1
		.amdhsa_fp16_overflow 0
		.amdhsa_tg_split 0
		.amdhsa_exception_fp_ieee_invalid_op 0
		.amdhsa_exception_fp_denorm_src 0
		.amdhsa_exception_fp_ieee_div_zero 0
		.amdhsa_exception_fp_ieee_overflow 0
		.amdhsa_exception_fp_ieee_underflow 0
		.amdhsa_exception_fp_ieee_inexact 0
		.amdhsa_exception_int_div_zero 0
	.end_amdhsa_kernel
	.section	.text._ZN9rocsparseL19gebsrmvn_2xn_kernelILj128ELj9ELj16E21rocsparse_complex_numIdEEEvi20rocsparse_direction_NS_24const_host_device_scalarIT2_EEPKiS8_PKS5_SA_S6_PS5_21rocsparse_index_base_b,"axG",@progbits,_ZN9rocsparseL19gebsrmvn_2xn_kernelILj128ELj9ELj16E21rocsparse_complex_numIdEEEvi20rocsparse_direction_NS_24const_host_device_scalarIT2_EEPKiS8_PKS5_SA_S6_PS5_21rocsparse_index_base_b,comdat
.Lfunc_end265:
	.size	_ZN9rocsparseL19gebsrmvn_2xn_kernelILj128ELj9ELj16E21rocsparse_complex_numIdEEEvi20rocsparse_direction_NS_24const_host_device_scalarIT2_EEPKiS8_PKS5_SA_S6_PS5_21rocsparse_index_base_b, .Lfunc_end265-_ZN9rocsparseL19gebsrmvn_2xn_kernelILj128ELj9ELj16E21rocsparse_complex_numIdEEEvi20rocsparse_direction_NS_24const_host_device_scalarIT2_EEPKiS8_PKS5_SA_S6_PS5_21rocsparse_index_base_b
                                        ; -- End function
	.section	.AMDGPU.csdata,"",@progbits
; Kernel info:
; codeLenInByte = 3140
; NumSgprs: 26
; NumVgprs: 92
; NumAgprs: 0
; TotalNumVgprs: 92
; ScratchSize: 0
; MemoryBound: 0
; FloatMode: 240
; IeeeMode: 1
; LDSByteSize: 2048 bytes/workgroup (compile time only)
; SGPRBlocks: 3
; VGPRBlocks: 11
; NumSGPRsForWavesPerEU: 26
; NumVGPRsForWavesPerEU: 92
; AccumOffset: 92
; Occupancy: 5
; WaveLimiterHint : 1
; COMPUTE_PGM_RSRC2:SCRATCH_EN: 0
; COMPUTE_PGM_RSRC2:USER_SGPR: 4
; COMPUTE_PGM_RSRC2:TRAP_HANDLER: 0
; COMPUTE_PGM_RSRC2:TGID_X_EN: 1
; COMPUTE_PGM_RSRC2:TGID_Y_EN: 0
; COMPUTE_PGM_RSRC2:TGID_Z_EN: 0
; COMPUTE_PGM_RSRC2:TIDIG_COMP_CNT: 2
; COMPUTE_PGM_RSRC3_GFX90A:ACCUM_OFFSET: 22
; COMPUTE_PGM_RSRC3_GFX90A:TG_SPLIT: 0
	.section	.text._ZN9rocsparseL19gebsrmvn_2xn_kernelILj128ELj9ELj32E21rocsparse_complex_numIdEEEvi20rocsparse_direction_NS_24const_host_device_scalarIT2_EEPKiS8_PKS5_SA_S6_PS5_21rocsparse_index_base_b,"axG",@progbits,_ZN9rocsparseL19gebsrmvn_2xn_kernelILj128ELj9ELj32E21rocsparse_complex_numIdEEEvi20rocsparse_direction_NS_24const_host_device_scalarIT2_EEPKiS8_PKS5_SA_S6_PS5_21rocsparse_index_base_b,comdat
	.globl	_ZN9rocsparseL19gebsrmvn_2xn_kernelILj128ELj9ELj32E21rocsparse_complex_numIdEEEvi20rocsparse_direction_NS_24const_host_device_scalarIT2_EEPKiS8_PKS5_SA_S6_PS5_21rocsparse_index_base_b ; -- Begin function _ZN9rocsparseL19gebsrmvn_2xn_kernelILj128ELj9ELj32E21rocsparse_complex_numIdEEEvi20rocsparse_direction_NS_24const_host_device_scalarIT2_EEPKiS8_PKS5_SA_S6_PS5_21rocsparse_index_base_b
	.p2align	8
	.type	_ZN9rocsparseL19gebsrmvn_2xn_kernelILj128ELj9ELj32E21rocsparse_complex_numIdEEEvi20rocsparse_direction_NS_24const_host_device_scalarIT2_EEPKiS8_PKS5_SA_S6_PS5_21rocsparse_index_base_b,@function
_ZN9rocsparseL19gebsrmvn_2xn_kernelILj128ELj9ELj32E21rocsparse_complex_numIdEEEvi20rocsparse_direction_NS_24const_host_device_scalarIT2_EEPKiS8_PKS5_SA_S6_PS5_21rocsparse_index_base_b: ; @_ZN9rocsparseL19gebsrmvn_2xn_kernelILj128ELj9ELj32E21rocsparse_complex_numIdEEEvi20rocsparse_direction_NS_24const_host_device_scalarIT2_EEPKiS8_PKS5_SA_S6_PS5_21rocsparse_index_base_b
; %bb.0:
	s_load_dwordx2 s[16:17], s[2:3], 0x50
	s_load_dwordx4 s[12:15], s[2:3], 0x8
	s_load_dwordx4 s[8:11], s[2:3], 0x38
	s_load_dwordx2 s[18:19], s[0:1], 0x4
	s_mov_b64 s[6:7], src_shared_base
	s_waitcnt lgkmcnt(0)
	s_bitcmp1_b32 s17, 0
	s_cselect_b64 s[0:1], -1, 0
	s_and_b64 vcc, s[0:1], exec
	s_cselect_b32 s5, s7, s13
	s_lshr_b32 s6, s18, 16
	v_bfe_u32 v2, v0, 10, 10
	v_and_b32_e32 v1, 0x3ff, v0
	s_mul_i32 s6, s6, s19
	v_mul_u32_u24_e32 v2, s19, v2
	v_mad_u32_u24 v2, s6, v1, v2
	v_bfe_u32 v0, v0, 20, 10
	v_add_lshl_u32 v0, v2, v0, 3
	v_mov_b32_e32 v6, s12
	v_add_u32_e32 v7, 0x400, v0
	v_mov_b64_e32 v[2:3], s[12:13]
	v_mov_b64_e32 v[4:5], s[8:9]
	ds_write2st64_b64 v0, v[4:5], v[2:3] offset1:2
	v_cndmask_b32_e64 v2, v6, v7, s[0:1]
	v_mov_b32_e32 v3, s5
	flat_load_dwordx2 v[4:5], v[2:3]
	s_xor_b64 s[18:19], s[0:1], -1
	v_mov_b64_e32 v[6:7], s[14:15]
	s_cbranch_vccnz .LBB266_2
; %bb.1:
	v_mov_b64_e32 v[2:3], s[12:13]
	flat_load_dwordx2 v[6:7], v[2:3] offset:8
.LBB266_2:
	s_and_b64 s[12:13], s[0:1], exec
	s_cselect_b32 s5, s7, s9
	v_mov_b32_e32 v2, s8
	v_cndmask_b32_e64 v2, v2, v0, s[0:1]
	v_mov_b32_e32 v3, s5
	flat_load_dwordx2 v[8:9], v[2:3]
	s_andn2_b64 vcc, exec, s[18:19]
	v_mov_b64_e32 v[10:11], s[10:11]
	s_cbranch_vccnz .LBB266_4
; %bb.3:
	v_mov_b64_e32 v[2:3], s[8:9]
	flat_load_dwordx2 v[10:11], v[2:3] offset:8
.LBB266_4:
	s_waitcnt vmcnt(0) lgkmcnt(0)
	v_cmp_eq_f64_e32 vcc, 0, v[4:5]
	v_cmp_eq_f64_e64 s[0:1], 0, v[6:7]
	s_and_b64 s[8:9], vcc, s[0:1]
	s_mov_b64 s[0:1], -1
	s_and_saveexec_b64 s[6:7], s[8:9]
; %bb.5:
	v_cmp_neq_f64_e32 vcc, 1.0, v[8:9]
	v_cmp_neq_f64_e64 s[0:1], 0, v[10:11]
	s_or_b64 s[0:1], vcc, s[0:1]
	s_orn2_b64 s[0:1], s[0:1], exec
; %bb.6:
	s_or_b64 exec, exec, s[6:7]
	s_and_saveexec_b64 s[6:7], s[0:1]
	s_cbranch_execz .LBB266_25
; %bb.7:
	s_load_dwordx2 s[0:1], s[2:3], 0x0
	v_lshrrev_b32_e32 v0, 5, v1
	v_lshl_or_b32 v12, s4, 2, v0
	s_waitcnt lgkmcnt(0)
	v_cmp_gt_i32_e32 vcc, s0, v12
	s_and_b64 exec, exec, vcc
	s_cbranch_execz .LBB266_25
; %bb.8:
	s_load_dwordx8 s[4:11], s[2:3], 0x18
	v_ashrrev_i32_e32 v13, 31, v12
	s_cmp_lg_u32 s1, 0
	s_waitcnt lgkmcnt(0)
	v_lshl_add_u64 v[2:3], v[12:13], 2, s[4:5]
	global_load_dwordx2 v[2:3], v[2:3], off
	v_and_b32_e32 v13, 31, v1
	s_waitcnt vmcnt(0)
	v_subrev_u32_e32 v0, s16, v2
	v_subrev_u32_e32 v32, s16, v3
	v_add_u32_e32 v18, v0, v13
	v_cmp_lt_i32_e64 s[0:1], v18, v32
	s_cbranch_scc0 .LBB266_14
; %bb.9:
	v_mov_b64_e32 v[16:17], 0
	s_mov_b64 s[4:5], 0
	v_mov_b64_e32 v[22:23], v[16:17]
	v_mov_b64_e32 v[20:21], v[16:17]
	;; [unrolled: 1-line block ×3, first 2 shown]
	s_and_saveexec_b64 s[12:13], s[0:1]
	s_cbranch_execz .LBB266_13
; %bb.10:
	v_mad_u64_u32 v[24:25], s[14:15], v18, 18, 16
	v_mov_b64_e32 v[16:17], 0
	s_mov_b64 s[14:15], 0
	v_mov_b32_e32 v27, 0
	v_mov_b32_e32 v28, v18
	v_mov_b64_e32 v[22:23], v[16:17]
	v_mov_b64_e32 v[20:21], v[16:17]
	v_mov_b64_e32 v[14:15], v[16:17]
.LBB266_11:                             ; =>This Inner Loop Header: Depth=1
	v_ashrrev_i32_e32 v29, 31, v28
	v_add_u32_e32 v26, -16, v24
	v_lshl_add_u64 v[0:1], v[28:29], 2, s[6:7]
	v_lshl_add_u64 v[2:3], v[26:27], 4, s[8:9]
	global_load_dword v19, v[0:1], off
	global_load_dwordx4 v[34:37], v[2:3], off offset:16
	global_load_dwordx4 v[38:41], v[2:3], off
	v_mov_b32_e32 v25, v27
	v_mov_b32_e32 v31, v27
	v_add_u32_e32 v26, -14, v24
	v_lshl_add_u64 v[54:55], v[24:25], 4, s[8:9]
	v_lshl_add_u64 v[56:57], v[26:27], 4, s[8:9]
	global_load_dwordx4 v[0:3], v[54:55], off offset:16
	global_load_dwordx4 v[42:45], v[54:55], off
	global_load_dwordx4 v[46:49], v[56:57], off offset:16
	global_load_dwordx4 v[50:53], v[56:57], off
	v_add_u32_e32 v28, 32, v28
	v_cmp_ge_i32_e32 vcc, v28, v32
	s_or_b64 s[14:15], vcc, s[14:15]
	s_waitcnt vmcnt(6)
	v_subrev_u32_e32 v19, s16, v19
	v_lshl_add_u32 v30, v19, 3, v19
	v_lshl_add_u64 v[54:55], v[30:31], 4, s[10:11]
	v_add_u32_e32 v26, 1, v30
	global_load_dwordx4 v[54:57], v[54:55], off
	v_lshl_add_u64 v[58:59], v[26:27], 4, s[10:11]
	global_load_dwordx4 v[58:61], v[58:59], off
	v_add_u32_e32 v26, -12, v24
	v_lshl_add_u64 v[70:71], v[26:27], 4, s[8:9]
	v_add_u32_e32 v26, 2, v30
	global_load_dwordx4 v[62:65], v[70:71], off offset:16
	global_load_dwordx4 v[66:69], v[70:71], off
	v_lshl_add_u64 v[70:71], v[26:27], 4, s[10:11]
	v_add_u32_e32 v26, -10, v24
	global_load_dwordx4 v[70:73], v[70:71], off
	v_lshl_add_u64 v[82:83], v[26:27], 4, s[8:9]
	v_add_u32_e32 v26, 3, v30
	global_load_dwordx4 v[74:77], v[82:83], off offset:16
	global_load_dwordx4 v[78:81], v[82:83], off
	v_lshl_add_u64 v[82:83], v[26:27], 4, s[10:11]
	global_load_dwordx4 v[82:85], v[82:83], off
	v_add_u32_e32 v26, -8, v24
	v_lshl_add_u64 v[86:87], v[26:27], 4, s[8:9]
	v_add_u32_e32 v26, 4, v30
	s_waitcnt vmcnt(7)
	v_fmac_f64_e32 v[22:23], v[38:39], v[54:55]
	v_fmac_f64_e32 v[16:17], v[40:41], v[54:55]
	;; [unrolled: 1-line block ×4, first 2 shown]
	v_fma_f64 v[88:89], -v[40:41], v[56:57], v[22:23]
	v_fmac_f64_e32 v[16:17], v[38:39], v[56:57]
	v_fma_f64 v[54:55], -v[36:37], v[56:57], v[20:21]
	v_fmac_f64_e32 v[14:15], v[34:35], v[56:57]
	v_lshl_add_u64 v[34:35], v[26:27], 4, s[10:11]
	v_add_u32_e32 v26, -6, v24
	global_load_dwordx4 v[38:41], v[86:87], off offset:16
	global_load_dwordx4 v[20:23], v[86:87], off
	v_lshl_add_u64 v[56:57], v[26:27], 4, s[8:9]
	global_load_dwordx4 v[34:37], v[34:35], off
	v_add_u32_e32 v26, 5, v30
	s_waitcnt vmcnt(9)
	v_fmac_f64_e32 v[88:89], v[50:51], v[58:59]
	v_fmac_f64_e32 v[16:17], v[52:53], v[58:59]
	;; [unrolled: 1-line block ×3, first 2 shown]
	v_fma_f64 v[86:87], -v[52:53], v[60:61], v[88:89]
	v_fmac_f64_e32 v[16:17], v[50:51], v[60:61]
	v_fmac_f64_e32 v[14:15], v[48:49], v[58:59]
	v_fma_f64 v[88:89], -v[48:49], v[60:61], v[54:55]
	v_lshl_add_u64 v[54:55], v[26:27], 4, s[10:11]
	v_add_u32_e32 v26, -4, v24
	global_load_dwordx4 v[50:53], v[56:57], off offset:16
	v_fmac_f64_e32 v[14:15], v[46:47], v[60:61]
	global_load_dwordx4 v[46:49], v[56:57], off
	v_lshl_add_u64 v[90:91], v[26:27], 4, s[8:9]
	global_load_dwordx4 v[54:57], v[54:55], off
	v_add_u32_e32 v26, 6, v30
	s_waitcnt vmcnt(9)
	v_fmac_f64_e32 v[16:17], v[68:69], v[70:71]
	v_fmac_f64_e32 v[86:87], v[66:67], v[70:71]
	;; [unrolled: 1-line block ×5, first 2 shown]
	v_lshl_add_u64 v[66:67], v[26:27], 4, s[10:11]
	v_add_u32_e32 v26, -2, v24
	v_fma_f64 v[86:87], -v[68:69], v[72:73], v[86:87]
	global_load_dwordx4 v[66:69], v[66:67], off
	v_fma_f64 v[88:89], -v[64:65], v[72:73], v[88:89]
	global_load_dwordx4 v[58:61], v[90:91], off offset:16
	v_fmac_f64_e32 v[14:15], v[62:63], v[72:73]
	global_load_dwordx4 v[62:65], v[90:91], off
	v_lshl_add_u64 v[90:91], v[26:27], 4, s[8:9]
	v_add_u32_e32 v26, 7, v30
	s_waitcnt vmcnt(9)
	v_fmac_f64_e32 v[16:17], v[80:81], v[82:83]
	v_fmac_f64_e32 v[86:87], v[78:79], v[82:83]
	;; [unrolled: 1-line block ×5, first 2 shown]
	v_lshl_add_u64 v[78:79], v[26:27], 4, s[10:11]
	v_fma_f64 v[86:87], -v[80:81], v[84:85], v[86:87]
	global_load_dwordx4 v[70:73], v[90:91], off offset:16
	v_fma_f64 v[88:89], -v[76:77], v[84:85], v[88:89]
	v_fmac_f64_e32 v[14:15], v[74:75], v[84:85]
	global_load_dwordx4 v[74:77], v[90:91], off
	v_add_u32_e32 v26, 8, v30
	global_load_dwordx4 v[78:81], v[78:79], off
	v_lshl_add_u64 v[30:31], v[26:27], 4, s[10:11]
	global_load_dwordx4 v[82:85], v[30:31], off
	v_add_u32_e32 v24, 0x240, v24
	s_waitcnt vmcnt(10)
	v_fmac_f64_e32 v[86:87], v[20:21], v[34:35]
	v_fmac_f64_e32 v[16:17], v[22:23], v[34:35]
	;; [unrolled: 1-line block ×4, first 2 shown]
	v_fma_f64 v[22:23], -v[22:23], v[36:37], v[86:87]
	v_fmac_f64_e32 v[16:17], v[20:21], v[36:37]
	v_fma_f64 v[20:21], -v[40:41], v[36:37], v[88:89]
	v_fmac_f64_e32 v[14:15], v[38:39], v[36:37]
	s_waitcnt vmcnt(7)
	v_fmac_f64_e32 v[22:23], v[46:47], v[54:55]
	v_fmac_f64_e32 v[16:17], v[48:49], v[54:55]
	;; [unrolled: 1-line block ×4, first 2 shown]
	v_fma_f64 v[22:23], -v[48:49], v[56:57], v[22:23]
	v_fmac_f64_e32 v[16:17], v[46:47], v[56:57]
	v_fma_f64 v[20:21], -v[52:53], v[56:57], v[20:21]
	v_fmac_f64_e32 v[14:15], v[50:51], v[56:57]
	s_waitcnt vmcnt(5)
	v_fmac_f64_e32 v[20:21], v[58:59], v[66:67]
	v_fmac_f64_e32 v[14:15], v[60:61], v[66:67]
	s_waitcnt vmcnt(4)
	v_fmac_f64_e32 v[22:23], v[62:63], v[66:67]
	v_fmac_f64_e32 v[16:17], v[64:65], v[66:67]
	v_fma_f64 v[22:23], -v[64:65], v[68:69], v[22:23]
	v_fmac_f64_e32 v[16:17], v[62:63], v[68:69]
	v_fma_f64 v[20:21], -v[60:61], v[68:69], v[20:21]
	v_fmac_f64_e32 v[14:15], v[58:59], v[68:69]
	s_waitcnt vmcnt(1)
	v_fmac_f64_e32 v[22:23], v[74:75], v[78:79]
	v_fmac_f64_e32 v[16:17], v[76:77], v[78:79]
	;; [unrolled: 1-line block ×4, first 2 shown]
	v_fma_f64 v[22:23], -v[76:77], v[80:81], v[22:23]
	v_fmac_f64_e32 v[16:17], v[74:75], v[80:81]
	v_fma_f64 v[20:21], -v[72:73], v[80:81], v[20:21]
	v_fmac_f64_e32 v[14:15], v[70:71], v[80:81]
	s_waitcnt vmcnt(0)
	v_fmac_f64_e32 v[22:23], v[42:43], v[82:83]
	v_fmac_f64_e32 v[16:17], v[44:45], v[82:83]
	;; [unrolled: 1-line block ×4, first 2 shown]
	v_fma_f64 v[22:23], -v[44:45], v[84:85], v[22:23]
	v_fmac_f64_e32 v[16:17], v[42:43], v[84:85]
	v_fma_f64 v[20:21], -v[2:3], v[84:85], v[20:21]
	v_fmac_f64_e32 v[14:15], v[0:1], v[84:85]
	s_andn2_b64 exec, exec, s[14:15]
	s_cbranch_execnz .LBB266_11
; %bb.12:
	s_or_b64 exec, exec, s[14:15]
.LBB266_13:
	s_or_b64 exec, exec, s[12:13]
	s_andn2_b64 vcc, exec, s[4:5]
	s_cbranch_vccz .LBB266_15
	s_branch .LBB266_20
.LBB266_14:
                                        ; implicit-def: $vgpr16_vgpr17
                                        ; implicit-def: $vgpr22_vgpr23
                                        ; implicit-def: $vgpr20_vgpr21
                                        ; implicit-def: $vgpr14_vgpr15
.LBB266_15:
	v_mov_b64_e32 v[16:17], 0
	v_mov_b64_e32 v[22:23], v[16:17]
	;; [unrolled: 1-line block ×4, first 2 shown]
	s_and_saveexec_b64 s[4:5], s[0:1]
	s_cbranch_execz .LBB266_19
; %bb.16:
	v_mad_u64_u32 v[0:1], s[0:1], v18, 18, 17
	v_mov_b64_e32 v[16:17], 0
	s_mov_b64 s[0:1], 0
	v_mov_b32_e32 v3, 0
	v_mov_b64_e32 v[22:23], v[16:17]
	v_mov_b64_e32 v[20:21], v[16:17]
	;; [unrolled: 1-line block ×3, first 2 shown]
.LBB266_17:                             ; =>This Inner Loop Header: Depth=1
	v_ashrrev_i32_e32 v19, 31, v18
	v_subrev_u32_e32 v2, 17, v0
	v_add_u32_e32 v26, -8, v0
	v_mov_b32_e32 v27, v3
	v_mov_b32_e32 v1, v3
	v_lshl_add_u64 v[30:31], v[18:19], 2, s[6:7]
	v_lshl_add_u64 v[46:47], v[2:3], 4, s[8:9]
	;; [unrolled: 1-line block ×4, first 2 shown]
	global_load_dword v1, v[30:31], off
	global_load_dwordx4 v[26:29], v[46:47], off offset:16
	global_load_dwordx4 v[34:37], v[46:47], off
	global_load_dwordx4 v[38:41], v[48:49], off
	;; [unrolled: 1-line block ×3, first 2 shown]
	v_mov_b32_e32 v25, v3
	v_add_u32_e32 v18, 32, v18
	v_cmp_ge_i32_e32 vcc, v18, v32
	s_or_b64 s[0:1], vcc, s[0:1]
	s_waitcnt vmcnt(4)
	v_subrev_u32_e32 v1, s16, v1
	v_lshl_add_u32 v24, v1, 3, v1
	v_lshl_add_u64 v[30:31], v[24:25], 4, s[10:11]
	global_load_dwordx4 v[46:49], v[30:31], off
	v_add_u32_e32 v2, 1, v24
	v_lshl_add_u64 v[30:31], v[2:3], 4, s[10:11]
	global_load_dwordx4 v[50:53], v[30:31], off
	v_add_u32_e32 v2, -7, v0
	v_lshl_add_u64 v[30:31], v[2:3], 4, s[8:9]
	v_add_u32_e32 v2, -15, v0
	global_load_dwordx4 v[54:57], v[30:31], off
	v_lshl_add_u64 v[30:31], v[2:3], 4, s[8:9]
	v_add_u32_e32 v2, 2, v24
	global_load_dwordx4 v[58:61], v[30:31], off
	v_lshl_add_u64 v[30:31], v[2:3], 4, s[10:11]
	v_add_u32_e32 v2, -6, v0
	global_load_dwordx4 v[62:65], v[30:31], off
	v_lshl_add_u64 v[30:31], v[2:3], 4, s[8:9]
	v_add_u32_e32 v2, -14, v0
	global_load_dwordx4 v[66:69], v[30:31], off
	v_lshl_add_u64 v[30:31], v[2:3], 4, s[8:9]
	v_add_u32_e32 v2, 3, v24
	global_load_dwordx4 v[70:73], v[30:31], off
	v_lshl_add_u64 v[30:31], v[2:3], 4, s[10:11]
	v_add_u32_e32 v2, -5, v0
	global_load_dwordx4 v[74:77], v[30:31], off
	v_lshl_add_u64 v[30:31], v[2:3], 4, s[8:9]
	v_add_u32_e32 v2, -13, v0
	s_waitcnt vmcnt(7)
	v_fmac_f64_e32 v[22:23], v[34:35], v[46:47]
	v_fmac_f64_e32 v[16:17], v[36:37], v[46:47]
	v_fma_f64 v[78:79], -v[36:37], v[48:49], v[22:23]
	v_fmac_f64_e32 v[16:17], v[34:35], v[48:49]
	global_load_dwordx4 v[34:37], v[30:31], off
	v_lshl_add_u64 v[22:23], v[2:3], 4, s[8:9]
	v_add_u32_e32 v2, 4, v24
	v_fmac_f64_e32 v[14:15], v[40:41], v[46:47]
	v_fmac_f64_e32 v[20:21], v[38:39], v[46:47]
	;; [unrolled: 1-line block ×3, first 2 shown]
	v_lshl_add_u64 v[38:39], v[2:3], 4, s[10:11]
	v_add_u32_e32 v2, -4, v0
	v_lshl_add_u64 v[46:47], v[2:3], 4, s[8:9]
	s_waitcnt vmcnt(7)
	v_fmac_f64_e32 v[78:79], v[26:27], v[50:51]
	v_fmac_f64_e32 v[16:17], v[28:29], v[50:51]
	v_fma_f64 v[78:79], -v[28:29], v[52:53], v[78:79]
	v_fmac_f64_e32 v[16:17], v[26:27], v[52:53]
	global_load_dwordx4 v[26:29], v[46:47], off
	v_fma_f64 v[30:31], -v[40:41], v[48:49], v[20:21]
	global_load_dwordx4 v[20:23], v[22:23], off
	v_add_u32_e32 v2, -12, v0
	global_load_dwordx4 v[38:41], v[38:39], off
	v_lshl_add_u64 v[46:47], v[2:3], 4, s[8:9]
	v_add_u32_e32 v2, 5, v24
	s_waitcnt vmcnt(9)
	v_fmac_f64_e32 v[30:31], v[54:55], v[50:51]
	v_fmac_f64_e32 v[14:15], v[56:57], v[50:51]
	v_lshl_add_u64 v[50:51], v[2:3], 4, s[10:11]
	v_add_u32_e32 v2, -3, v0
	v_fmac_f64_e32 v[14:15], v[54:55], v[52:53]
	v_lshl_add_u64 v[54:55], v[2:3], 4, s[8:9]
	v_add_u32_e32 v2, -11, v0
	s_waitcnt vmcnt(7)
	v_fmac_f64_e32 v[16:17], v[60:61], v[62:63]
	v_fma_f64 v[30:31], -v[56:57], v[52:53], v[30:31]
	v_fmac_f64_e32 v[78:79], v[58:59], v[62:63]
	v_fmac_f64_e32 v[16:17], v[58:59], v[64:65]
	v_lshl_add_u64 v[58:59], v[2:3], 4, s[8:9]
	v_add_u32_e32 v2, 6, v24
	s_waitcnt vmcnt(6)
	v_fmac_f64_e32 v[30:31], v[66:67], v[62:63]
	v_fmac_f64_e32 v[14:15], v[68:69], v[62:63]
	v_lshl_add_u64 v[62:63], v[2:3], 4, s[10:11]
	v_add_u32_e32 v2, -2, v0
	global_load_dwordx4 v[46:49], v[46:47], off
	v_fma_f64 v[78:79], -v[60:61], v[64:65], v[78:79]
	global_load_dwordx4 v[50:53], v[50:51], off
	v_fma_f64 v[30:31], -v[68:69], v[64:65], v[30:31]
	global_load_dwordx4 v[54:57], v[54:55], off
	v_fmac_f64_e32 v[14:15], v[66:67], v[64:65]
	global_load_dwordx4 v[58:61], v[58:59], off
	v_lshl_add_u64 v[66:67], v[2:3], 4, s[8:9]
	v_add_u32_e32 v2, -10, v0
	s_waitcnt vmcnt(8)
	v_fmac_f64_e32 v[16:17], v[72:73], v[74:75]
	v_fmac_f64_e32 v[78:79], v[70:71], v[74:75]
	;; [unrolled: 1-line block ×3, first 2 shown]
	v_lshl_add_u64 v[70:71], v[2:3], 4, s[8:9]
	v_add_u32_e32 v2, 7, v24
	global_load_dwordx4 v[62:65], v[62:63], off
	v_fma_f64 v[78:79], -v[72:73], v[76:77], v[78:79]
	global_load_dwordx4 v[66:69], v[66:67], off
	s_waitcnt vmcnt(9)
	v_fmac_f64_e32 v[30:31], v[34:35], v[74:75]
	v_fmac_f64_e32 v[14:15], v[36:37], v[74:75]
	v_fma_f64 v[30:31], -v[36:37], v[76:77], v[30:31]
	v_fmac_f64_e32 v[14:15], v[34:35], v[76:77]
	global_load_dwordx4 v[34:37], v[70:71], off
	v_lshl_add_u64 v[70:71], v[2:3], 4, s[10:11]
	v_add_u32_e32 v2, -1, v0
	v_lshl_add_u64 v[80:81], v[2:3], 4, s[8:9]
	v_add_u32_e32 v2, -9, v0
	v_lshl_add_u64 v[82:83], v[2:3], 4, s[8:9]
	v_add_u32_e32 v2, 8, v24
	global_load_dwordx4 v[70:73], v[70:71], off
	v_lshl_add_u64 v[24:25], v[2:3], 4, s[10:11]
	v_add_u32_e32 v0, 0x240, v0
	s_waitcnt vmcnt(8)
	v_fmac_f64_e32 v[78:79], v[20:21], v[38:39]
	v_fmac_f64_e32 v[16:17], v[22:23], v[38:39]
	v_fma_f64 v[78:79], -v[22:23], v[40:41], v[78:79]
	v_fmac_f64_e32 v[16:17], v[20:21], v[40:41]
	global_load_dwordx4 v[20:23], v[80:81], off
	global_load_dwordx4 v[74:77], v[82:83], off
	v_fmac_f64_e32 v[14:15], v[28:29], v[38:39]
	v_fmac_f64_e32 v[30:31], v[26:27], v[38:39]
	;; [unrolled: 1-line block ×3, first 2 shown]
	global_load_dwordx4 v[24:27], v[24:25], off
	v_fma_f64 v[28:29], -v[28:29], v[40:41], v[30:31]
	s_waitcnt vmcnt(9)
	v_fmac_f64_e32 v[78:79], v[46:47], v[50:51]
	v_fmac_f64_e32 v[16:17], v[48:49], v[50:51]
	s_waitcnt vmcnt(8)
	v_fmac_f64_e32 v[28:29], v[54:55], v[50:51]
	v_fmac_f64_e32 v[14:15], v[56:57], v[50:51]
	v_fma_f64 v[30:31], -v[48:49], v[52:53], v[78:79]
	v_fmac_f64_e32 v[16:17], v[46:47], v[52:53]
	v_fma_f64 v[28:29], -v[56:57], v[52:53], v[28:29]
	v_fmac_f64_e32 v[14:15], v[54:55], v[52:53]
	s_waitcnt vmcnt(6)
	v_fmac_f64_e32 v[30:31], v[58:59], v[62:63]
	v_fmac_f64_e32 v[16:17], v[60:61], v[62:63]
	s_waitcnt vmcnt(5)
	v_fmac_f64_e32 v[28:29], v[66:67], v[62:63]
	v_fmac_f64_e32 v[14:15], v[68:69], v[62:63]
	v_fma_f64 v[30:31], -v[60:61], v[64:65], v[30:31]
	v_fmac_f64_e32 v[16:17], v[58:59], v[64:65]
	v_fma_f64 v[28:29], -v[68:69], v[64:65], v[28:29]
	v_fmac_f64_e32 v[14:15], v[66:67], v[64:65]
	s_waitcnt vmcnt(3)
	v_fmac_f64_e32 v[30:31], v[34:35], v[70:71]
	v_fmac_f64_e32 v[16:17], v[36:37], v[70:71]
	v_fma_f64 v[30:31], -v[36:37], v[72:73], v[30:31]
	v_fmac_f64_e32 v[16:17], v[34:35], v[72:73]
	s_waitcnt vmcnt(2)
	v_fmac_f64_e32 v[28:29], v[20:21], v[70:71]
	v_fmac_f64_e32 v[14:15], v[22:23], v[70:71]
	v_fma_f64 v[28:29], -v[22:23], v[72:73], v[28:29]
	v_fmac_f64_e32 v[14:15], v[20:21], v[72:73]
	s_waitcnt vmcnt(0)
	v_fmac_f64_e32 v[30:31], v[74:75], v[24:25]
	v_fmac_f64_e32 v[16:17], v[76:77], v[24:25]
	v_fmac_f64_e32 v[28:29], v[42:43], v[24:25]
	;; [unrolled: 1-line block ×3, first 2 shown]
	v_fma_f64 v[22:23], -v[76:77], v[26:27], v[30:31]
	v_fmac_f64_e32 v[16:17], v[74:75], v[26:27]
	v_fma_f64 v[20:21], -v[44:45], v[26:27], v[28:29]
	v_fmac_f64_e32 v[14:15], v[42:43], v[26:27]
	s_andn2_b64 exec, exec, s[0:1]
	s_cbranch_execnz .LBB266_17
; %bb.18:
	s_or_b64 exec, exec, s[0:1]
.LBB266_19:
	s_or_b64 exec, exec, s[4:5]
.LBB266_20:
	v_mov_b32_dpp v0, v22 row_shr:1 row_mask:0xf bank_mask:0xf
	v_mov_b32_dpp v1, v23 row_shr:1 row_mask:0xf bank_mask:0xf
	v_add_f64 v[0:1], v[22:23], v[0:1]
	v_mov_b32_dpp v18, v16 row_shr:1 row_mask:0xf bank_mask:0xf
	v_mov_b32_dpp v19, v17 row_shr:1 row_mask:0xf bank_mask:0xf
	;; [unrolled: 1-line block ×6, first 2 shown]
	v_add_f64 v[16:17], v[16:17], v[18:19]
	v_add_f64 v[20:21], v[20:21], v[22:23]
	v_add_f64 v[14:15], v[14:15], v[24:25]
	v_mov_b32_dpp v2, v0 row_shr:2 row_mask:0xf bank_mask:0xf
	v_mov_b32_dpp v3, v1 row_shr:2 row_mask:0xf bank_mask:0xf
	v_mov_b32_dpp v18, v16 row_shr:2 row_mask:0xf bank_mask:0xf
	v_mov_b32_dpp v19, v17 row_shr:2 row_mask:0xf bank_mask:0xf
	v_mov_b32_dpp v22, v20 row_shr:2 row_mask:0xf bank_mask:0xf
	v_mov_b32_dpp v23, v21 row_shr:2 row_mask:0xf bank_mask:0xf
	v_mov_b32_dpp v24, v14 row_shr:2 row_mask:0xf bank_mask:0xf
	v_mov_b32_dpp v25, v15 row_shr:2 row_mask:0xf bank_mask:0xf
	v_add_f64 v[0:1], v[0:1], v[2:3]
	v_add_f64 v[16:17], v[16:17], v[18:19]
	v_add_f64 v[20:21], v[20:21], v[22:23]
	v_add_f64 v[14:15], v[14:15], v[24:25]
	v_mov_b32_dpp v2, v0 row_shr:4 row_mask:0xf bank_mask:0xe
	v_mov_b32_dpp v3, v1 row_shr:4 row_mask:0xf bank_mask:0xe
	v_mov_b32_dpp v18, v16 row_shr:4 row_mask:0xf bank_mask:0xe
	v_mov_b32_dpp v19, v17 row_shr:4 row_mask:0xf bank_mask:0xe
	v_mov_b32_dpp v22, v20 row_shr:4 row_mask:0xf bank_mask:0xe
	v_mov_b32_dpp v23, v21 row_shr:4 row_mask:0xf bank_mask:0xe
	v_mov_b32_dpp v24, v14 row_shr:4 row_mask:0xf bank_mask:0xe
	v_mov_b32_dpp v25, v15 row_shr:4 row_mask:0xf bank_mask:0xe
	v_add_f64 v[0:1], v[0:1], v[2:3]
	;; [unrolled: 12-line block ×3, first 2 shown]
	v_add_f64 v[16:17], v[16:17], v[18:19]
	v_add_f64 v[20:21], v[20:21], v[22:23]
	;; [unrolled: 1-line block ×3, first 2 shown]
	v_mov_b32_dpp v2, v0 row_bcast:15 row_mask:0xa bank_mask:0xf
	v_mov_b32_dpp v3, v1 row_bcast:15 row_mask:0xa bank_mask:0xf
	;; [unrolled: 1-line block ×8, first 2 shown]
	v_cmp_eq_u32_e32 vcc, 31, v13
	s_and_b64 exec, exec, vcc
	s_cbranch_execz .LBB266_25
; %bb.21:
	s_load_dwordx2 s[2:3], s[2:3], 0x48
	v_cmp_eq_f64_e32 vcc, 0, v[8:9]
	v_cmp_eq_f64_e64 s[0:1], 0, v[10:11]
	v_add_f64 v[14:15], v[0:1], v[2:3]
	v_add_f64 v[16:17], v[16:17], v[18:19]
	;; [unrolled: 1-line block ×4, first 2 shown]
	s_and_b64 s[0:1], vcc, s[0:1]
	s_and_saveexec_b64 s[4:5], s[0:1]
	s_xor_b64 s[0:1], exec, s[4:5]
	s_cbranch_execz .LBB266_23
; %bb.22:
	v_lshlrev_b32_e32 v12, 1, v12
	v_mul_f64 v[8:9], v[16:17], -v[6:7]
	v_mul_f64 v[10:11], v[4:5], v[16:17]
	v_ashrrev_i32_e32 v13, 31, v12
	v_fmac_f64_e32 v[8:9], v[4:5], v[14:15]
	v_fmac_f64_e32 v[10:11], v[6:7], v[14:15]
	s_waitcnt lgkmcnt(0)
	v_lshl_add_u64 v[12:13], v[12:13], 4, s[2:3]
	global_store_dwordx4 v[12:13], v[8:11], off
                                        ; implicit-def: $vgpr14_vgpr15
                                        ; implicit-def: $vgpr16_vgpr17
	s_nop 1
	v_mul_f64 v[8:9], v[2:3], -v[6:7]
	v_mul_f64 v[10:11], v[4:5], v[2:3]
	v_fmac_f64_e32 v[8:9], v[4:5], v[0:1]
	v_fmac_f64_e32 v[10:11], v[6:7], v[0:1]
	global_store_dwordx4 v[12:13], v[8:11], off offset:16
                                        ; implicit-def: $vgpr4_vgpr5
                                        ; implicit-def: $vgpr6_vgpr7
                                        ; implicit-def: $vgpr8_vgpr9
                                        ; implicit-def: $vgpr10_vgpr11
                                        ; implicit-def: $vgpr12
                                        ; implicit-def: $vgpr0_vgpr1
                                        ; implicit-def: $vgpr2_vgpr3
.LBB266_23:
	s_andn2_saveexec_b64 s[0:1], s[0:1]
	s_cbranch_execz .LBB266_25
; %bb.24:
	v_lshlrev_b32_e32 v12, 1, v12
	v_ashrrev_i32_e32 v13, 31, v12
	s_waitcnt lgkmcnt(0)
	v_lshl_add_u64 v[12:13], v[12:13], 4, s[2:3]
	global_load_dwordx4 v[18:21], v[12:13], off
	global_load_dwordx4 v[22:25], v[12:13], off offset:16
	v_mul_f64 v[26:27], v[16:17], -v[6:7]
	v_mul_f64 v[16:17], v[4:5], v[16:17]
	v_mul_f64 v[28:29], v[2:3], -v[6:7]
	v_mul_f64 v[2:3], v[4:5], v[2:3]
	v_fmac_f64_e32 v[26:27], v[4:5], v[14:15]
	v_fmac_f64_e32 v[16:17], v[6:7], v[14:15]
	;; [unrolled: 1-line block ×4, first 2 shown]
	s_waitcnt vmcnt(1)
	v_fmac_f64_e32 v[26:27], v[8:9], v[18:19]
	v_fmac_f64_e32 v[16:17], v[10:11], v[18:19]
	s_waitcnt vmcnt(0)
	v_fmac_f64_e32 v[28:29], v[8:9], v[22:23]
	v_fmac_f64_e32 v[2:3], v[10:11], v[22:23]
	v_fma_f64 v[14:15], -v[10:11], v[20:21], v[26:27]
	v_fmac_f64_e32 v[16:17], v[8:9], v[20:21]
	v_fma_f64 v[0:1], -v[10:11], v[24:25], v[28:29]
	v_fmac_f64_e32 v[2:3], v[8:9], v[24:25]
	global_store_dwordx4 v[12:13], v[14:17], off
	global_store_dwordx4 v[12:13], v[0:3], off offset:16
.LBB266_25:
	s_endpgm
	.section	.rodata,"a",@progbits
	.p2align	6, 0x0
	.amdhsa_kernel _ZN9rocsparseL19gebsrmvn_2xn_kernelILj128ELj9ELj32E21rocsparse_complex_numIdEEEvi20rocsparse_direction_NS_24const_host_device_scalarIT2_EEPKiS8_PKS5_SA_S6_PS5_21rocsparse_index_base_b
		.amdhsa_group_segment_fixed_size 2048
		.amdhsa_private_segment_fixed_size 0
		.amdhsa_kernarg_size 88
		.amdhsa_user_sgpr_count 4
		.amdhsa_user_sgpr_dispatch_ptr 1
		.amdhsa_user_sgpr_queue_ptr 0
		.amdhsa_user_sgpr_kernarg_segment_ptr 1
		.amdhsa_user_sgpr_dispatch_id 0
		.amdhsa_user_sgpr_kernarg_preload_length 0
		.amdhsa_user_sgpr_kernarg_preload_offset 0
		.amdhsa_user_sgpr_private_segment_size 0
		.amdhsa_uses_dynamic_stack 0
		.amdhsa_enable_private_segment 0
		.amdhsa_system_sgpr_workgroup_id_x 1
		.amdhsa_system_sgpr_workgroup_id_y 0
		.amdhsa_system_sgpr_workgroup_id_z 0
		.amdhsa_system_sgpr_workgroup_info 0
		.amdhsa_system_vgpr_workitem_id 2
		.amdhsa_next_free_vgpr 92
		.amdhsa_next_free_sgpr 20
		.amdhsa_accum_offset 92
		.amdhsa_reserve_vcc 1
		.amdhsa_float_round_mode_32 0
		.amdhsa_float_round_mode_16_64 0
		.amdhsa_float_denorm_mode_32 3
		.amdhsa_float_denorm_mode_16_64 3
		.amdhsa_dx10_clamp 1
		.amdhsa_ieee_mode 1
		.amdhsa_fp16_overflow 0
		.amdhsa_tg_split 0
		.amdhsa_exception_fp_ieee_invalid_op 0
		.amdhsa_exception_fp_denorm_src 0
		.amdhsa_exception_fp_ieee_div_zero 0
		.amdhsa_exception_fp_ieee_overflow 0
		.amdhsa_exception_fp_ieee_underflow 0
		.amdhsa_exception_fp_ieee_inexact 0
		.amdhsa_exception_int_div_zero 0
	.end_amdhsa_kernel
	.section	.text._ZN9rocsparseL19gebsrmvn_2xn_kernelILj128ELj9ELj32E21rocsparse_complex_numIdEEEvi20rocsparse_direction_NS_24const_host_device_scalarIT2_EEPKiS8_PKS5_SA_S6_PS5_21rocsparse_index_base_b,"axG",@progbits,_ZN9rocsparseL19gebsrmvn_2xn_kernelILj128ELj9ELj32E21rocsparse_complex_numIdEEEvi20rocsparse_direction_NS_24const_host_device_scalarIT2_EEPKiS8_PKS5_SA_S6_PS5_21rocsparse_index_base_b,comdat
.Lfunc_end266:
	.size	_ZN9rocsparseL19gebsrmvn_2xn_kernelILj128ELj9ELj32E21rocsparse_complex_numIdEEEvi20rocsparse_direction_NS_24const_host_device_scalarIT2_EEPKiS8_PKS5_SA_S6_PS5_21rocsparse_index_base_b, .Lfunc_end266-_ZN9rocsparseL19gebsrmvn_2xn_kernelILj128ELj9ELj32E21rocsparse_complex_numIdEEEvi20rocsparse_direction_NS_24const_host_device_scalarIT2_EEPKiS8_PKS5_SA_S6_PS5_21rocsparse_index_base_b
                                        ; -- End function
	.section	.AMDGPU.csdata,"",@progbits
; Kernel info:
; codeLenInByte = 3236
; NumSgprs: 26
; NumVgprs: 92
; NumAgprs: 0
; TotalNumVgprs: 92
; ScratchSize: 0
; MemoryBound: 0
; FloatMode: 240
; IeeeMode: 1
; LDSByteSize: 2048 bytes/workgroup (compile time only)
; SGPRBlocks: 3
; VGPRBlocks: 11
; NumSGPRsForWavesPerEU: 26
; NumVGPRsForWavesPerEU: 92
; AccumOffset: 92
; Occupancy: 5
; WaveLimiterHint : 1
; COMPUTE_PGM_RSRC2:SCRATCH_EN: 0
; COMPUTE_PGM_RSRC2:USER_SGPR: 4
; COMPUTE_PGM_RSRC2:TRAP_HANDLER: 0
; COMPUTE_PGM_RSRC2:TGID_X_EN: 1
; COMPUTE_PGM_RSRC2:TGID_Y_EN: 0
; COMPUTE_PGM_RSRC2:TGID_Z_EN: 0
; COMPUTE_PGM_RSRC2:TIDIG_COMP_CNT: 2
; COMPUTE_PGM_RSRC3_GFX90A:ACCUM_OFFSET: 22
; COMPUTE_PGM_RSRC3_GFX90A:TG_SPLIT: 0
	.section	.text._ZN9rocsparseL19gebsrmvn_2xn_kernelILj128ELj9ELj64E21rocsparse_complex_numIdEEEvi20rocsparse_direction_NS_24const_host_device_scalarIT2_EEPKiS8_PKS5_SA_S6_PS5_21rocsparse_index_base_b,"axG",@progbits,_ZN9rocsparseL19gebsrmvn_2xn_kernelILj128ELj9ELj64E21rocsparse_complex_numIdEEEvi20rocsparse_direction_NS_24const_host_device_scalarIT2_EEPKiS8_PKS5_SA_S6_PS5_21rocsparse_index_base_b,comdat
	.globl	_ZN9rocsparseL19gebsrmvn_2xn_kernelILj128ELj9ELj64E21rocsparse_complex_numIdEEEvi20rocsparse_direction_NS_24const_host_device_scalarIT2_EEPKiS8_PKS5_SA_S6_PS5_21rocsparse_index_base_b ; -- Begin function _ZN9rocsparseL19gebsrmvn_2xn_kernelILj128ELj9ELj64E21rocsparse_complex_numIdEEEvi20rocsparse_direction_NS_24const_host_device_scalarIT2_EEPKiS8_PKS5_SA_S6_PS5_21rocsparse_index_base_b
	.p2align	8
	.type	_ZN9rocsparseL19gebsrmvn_2xn_kernelILj128ELj9ELj64E21rocsparse_complex_numIdEEEvi20rocsparse_direction_NS_24const_host_device_scalarIT2_EEPKiS8_PKS5_SA_S6_PS5_21rocsparse_index_base_b,@function
_ZN9rocsparseL19gebsrmvn_2xn_kernelILj128ELj9ELj64E21rocsparse_complex_numIdEEEvi20rocsparse_direction_NS_24const_host_device_scalarIT2_EEPKiS8_PKS5_SA_S6_PS5_21rocsparse_index_base_b: ; @_ZN9rocsparseL19gebsrmvn_2xn_kernelILj128ELj9ELj64E21rocsparse_complex_numIdEEEvi20rocsparse_direction_NS_24const_host_device_scalarIT2_EEPKiS8_PKS5_SA_S6_PS5_21rocsparse_index_base_b
; %bb.0:
	s_load_dwordx2 s[16:17], s[2:3], 0x50
	s_load_dwordx4 s[12:15], s[2:3], 0x8
	s_load_dwordx4 s[8:11], s[2:3], 0x38
	s_load_dwordx2 s[18:19], s[0:1], 0x4
	s_mov_b64 s[6:7], src_shared_base
	s_waitcnt lgkmcnt(0)
	s_bitcmp1_b32 s17, 0
	s_cselect_b64 s[0:1], -1, 0
	s_and_b64 vcc, s[0:1], exec
	s_cselect_b32 s5, s7, s13
	s_lshr_b32 s6, s18, 16
	v_bfe_u32 v2, v0, 10, 10
	v_and_b32_e32 v1, 0x3ff, v0
	s_mul_i32 s6, s6, s19
	v_mul_u32_u24_e32 v2, s19, v2
	v_mad_u32_u24 v2, s6, v1, v2
	v_bfe_u32 v0, v0, 20, 10
	v_add_lshl_u32 v0, v2, v0, 3
	v_mov_b32_e32 v6, s12
	v_add_u32_e32 v7, 0x400, v0
	v_mov_b64_e32 v[2:3], s[12:13]
	v_mov_b64_e32 v[4:5], s[8:9]
	ds_write2st64_b64 v0, v[4:5], v[2:3] offset1:2
	v_cndmask_b32_e64 v2, v6, v7, s[0:1]
	v_mov_b32_e32 v3, s5
	flat_load_dwordx2 v[4:5], v[2:3]
	s_xor_b64 s[18:19], s[0:1], -1
	v_mov_b64_e32 v[6:7], s[14:15]
	s_cbranch_vccnz .LBB267_2
; %bb.1:
	v_mov_b64_e32 v[2:3], s[12:13]
	flat_load_dwordx2 v[6:7], v[2:3] offset:8
.LBB267_2:
	s_and_b64 s[12:13], s[0:1], exec
	s_cselect_b32 s5, s7, s9
	v_mov_b32_e32 v2, s8
	v_cndmask_b32_e64 v2, v2, v0, s[0:1]
	v_mov_b32_e32 v3, s5
	flat_load_dwordx2 v[8:9], v[2:3]
	s_andn2_b64 vcc, exec, s[18:19]
	v_mov_b64_e32 v[10:11], s[10:11]
	s_cbranch_vccnz .LBB267_4
; %bb.3:
	v_mov_b64_e32 v[2:3], s[8:9]
	flat_load_dwordx2 v[10:11], v[2:3] offset:8
.LBB267_4:
	s_waitcnt vmcnt(0) lgkmcnt(0)
	v_cmp_eq_f64_e32 vcc, 0, v[4:5]
	v_cmp_eq_f64_e64 s[0:1], 0, v[6:7]
	s_and_b64 s[8:9], vcc, s[0:1]
	s_mov_b64 s[0:1], -1
	s_and_saveexec_b64 s[6:7], s[8:9]
; %bb.5:
	v_cmp_neq_f64_e32 vcc, 1.0, v[8:9]
	v_cmp_neq_f64_e64 s[0:1], 0, v[10:11]
	s_or_b64 s[0:1], vcc, s[0:1]
	s_orn2_b64 s[0:1], s[0:1], exec
; %bb.6:
	s_or_b64 exec, exec, s[6:7]
	s_and_saveexec_b64 s[6:7], s[0:1]
	s_cbranch_execz .LBB267_25
; %bb.7:
	s_load_dwordx2 s[0:1], s[2:3], 0x0
	v_lshrrev_b32_e32 v0, 6, v1
	v_lshl_or_b32 v12, s4, 1, v0
	s_waitcnt lgkmcnt(0)
	v_cmp_gt_i32_e32 vcc, s0, v12
	s_and_b64 exec, exec, vcc
	s_cbranch_execz .LBB267_25
; %bb.8:
	s_load_dwordx8 s[4:11], s[2:3], 0x18
	v_ashrrev_i32_e32 v13, 31, v12
	s_cmp_lg_u32 s1, 0
	s_waitcnt lgkmcnt(0)
	v_lshl_add_u64 v[2:3], v[12:13], 2, s[4:5]
	global_load_dwordx2 v[2:3], v[2:3], off
	v_and_b32_e32 v13, 63, v1
	s_waitcnt vmcnt(0)
	v_subrev_u32_e32 v0, s16, v2
	v_subrev_u32_e32 v32, s16, v3
	v_add_u32_e32 v18, v0, v13
	v_cmp_lt_i32_e64 s[0:1], v18, v32
	s_cbranch_scc0 .LBB267_14
; %bb.9:
	v_mov_b64_e32 v[16:17], 0
	s_mov_b64 s[4:5], 0
	v_mov_b64_e32 v[22:23], v[16:17]
	v_mov_b64_e32 v[20:21], v[16:17]
	;; [unrolled: 1-line block ×3, first 2 shown]
	s_and_saveexec_b64 s[12:13], s[0:1]
	s_cbranch_execz .LBB267_13
; %bb.10:
	v_mad_u64_u32 v[24:25], s[14:15], v18, 18, 16
	v_mov_b64_e32 v[16:17], 0
	s_mov_b64 s[14:15], 0
	v_mov_b32_e32 v27, 0
	v_mov_b32_e32 v28, v18
	v_mov_b64_e32 v[22:23], v[16:17]
	v_mov_b64_e32 v[20:21], v[16:17]
	;; [unrolled: 1-line block ×3, first 2 shown]
.LBB267_11:                             ; =>This Inner Loop Header: Depth=1
	v_ashrrev_i32_e32 v29, 31, v28
	v_add_u32_e32 v26, -16, v24
	v_lshl_add_u64 v[0:1], v[28:29], 2, s[6:7]
	v_lshl_add_u64 v[2:3], v[26:27], 4, s[8:9]
	global_load_dword v19, v[0:1], off
	global_load_dwordx4 v[34:37], v[2:3], off offset:16
	global_load_dwordx4 v[38:41], v[2:3], off
	v_mov_b32_e32 v25, v27
	v_mov_b32_e32 v31, v27
	v_add_u32_e32 v26, -14, v24
	v_lshl_add_u64 v[54:55], v[24:25], 4, s[8:9]
	v_lshl_add_u64 v[56:57], v[26:27], 4, s[8:9]
	global_load_dwordx4 v[0:3], v[54:55], off offset:16
	global_load_dwordx4 v[42:45], v[54:55], off
	global_load_dwordx4 v[46:49], v[56:57], off offset:16
	global_load_dwordx4 v[50:53], v[56:57], off
	v_add_u32_e32 v28, 64, v28
	v_cmp_ge_i32_e32 vcc, v28, v32
	s_or_b64 s[14:15], vcc, s[14:15]
	s_waitcnt vmcnt(6)
	v_subrev_u32_e32 v19, s16, v19
	v_lshl_add_u32 v30, v19, 3, v19
	v_lshl_add_u64 v[54:55], v[30:31], 4, s[10:11]
	v_add_u32_e32 v26, 1, v30
	global_load_dwordx4 v[54:57], v[54:55], off
	v_lshl_add_u64 v[58:59], v[26:27], 4, s[10:11]
	global_load_dwordx4 v[58:61], v[58:59], off
	v_add_u32_e32 v26, -12, v24
	v_lshl_add_u64 v[70:71], v[26:27], 4, s[8:9]
	v_add_u32_e32 v26, 2, v30
	global_load_dwordx4 v[62:65], v[70:71], off offset:16
	global_load_dwordx4 v[66:69], v[70:71], off
	v_lshl_add_u64 v[70:71], v[26:27], 4, s[10:11]
	v_add_u32_e32 v26, -10, v24
	global_load_dwordx4 v[70:73], v[70:71], off
	v_lshl_add_u64 v[82:83], v[26:27], 4, s[8:9]
	v_add_u32_e32 v26, 3, v30
	global_load_dwordx4 v[74:77], v[82:83], off offset:16
	global_load_dwordx4 v[78:81], v[82:83], off
	v_lshl_add_u64 v[82:83], v[26:27], 4, s[10:11]
	global_load_dwordx4 v[82:85], v[82:83], off
	v_add_u32_e32 v26, -8, v24
	v_lshl_add_u64 v[86:87], v[26:27], 4, s[8:9]
	v_add_u32_e32 v26, 4, v30
	s_waitcnt vmcnt(7)
	v_fmac_f64_e32 v[22:23], v[38:39], v[54:55]
	v_fmac_f64_e32 v[16:17], v[40:41], v[54:55]
	;; [unrolled: 1-line block ×4, first 2 shown]
	v_fma_f64 v[88:89], -v[40:41], v[56:57], v[22:23]
	v_fmac_f64_e32 v[16:17], v[38:39], v[56:57]
	v_fma_f64 v[54:55], -v[36:37], v[56:57], v[20:21]
	v_fmac_f64_e32 v[14:15], v[34:35], v[56:57]
	v_lshl_add_u64 v[34:35], v[26:27], 4, s[10:11]
	v_add_u32_e32 v26, -6, v24
	global_load_dwordx4 v[38:41], v[86:87], off offset:16
	global_load_dwordx4 v[20:23], v[86:87], off
	v_lshl_add_u64 v[56:57], v[26:27], 4, s[8:9]
	global_load_dwordx4 v[34:37], v[34:35], off
	v_add_u32_e32 v26, 5, v30
	s_waitcnt vmcnt(9)
	v_fmac_f64_e32 v[88:89], v[50:51], v[58:59]
	v_fmac_f64_e32 v[16:17], v[52:53], v[58:59]
	;; [unrolled: 1-line block ×3, first 2 shown]
	v_fma_f64 v[86:87], -v[52:53], v[60:61], v[88:89]
	v_fmac_f64_e32 v[16:17], v[50:51], v[60:61]
	v_fmac_f64_e32 v[14:15], v[48:49], v[58:59]
	v_fma_f64 v[88:89], -v[48:49], v[60:61], v[54:55]
	v_lshl_add_u64 v[54:55], v[26:27], 4, s[10:11]
	v_add_u32_e32 v26, -4, v24
	global_load_dwordx4 v[50:53], v[56:57], off offset:16
	v_fmac_f64_e32 v[14:15], v[46:47], v[60:61]
	global_load_dwordx4 v[46:49], v[56:57], off
	v_lshl_add_u64 v[90:91], v[26:27], 4, s[8:9]
	global_load_dwordx4 v[54:57], v[54:55], off
	v_add_u32_e32 v26, 6, v30
	s_waitcnt vmcnt(9)
	v_fmac_f64_e32 v[16:17], v[68:69], v[70:71]
	v_fmac_f64_e32 v[86:87], v[66:67], v[70:71]
	;; [unrolled: 1-line block ×5, first 2 shown]
	v_lshl_add_u64 v[66:67], v[26:27], 4, s[10:11]
	v_add_u32_e32 v26, -2, v24
	v_fma_f64 v[86:87], -v[68:69], v[72:73], v[86:87]
	global_load_dwordx4 v[66:69], v[66:67], off
	v_fma_f64 v[88:89], -v[64:65], v[72:73], v[88:89]
	global_load_dwordx4 v[58:61], v[90:91], off offset:16
	v_fmac_f64_e32 v[14:15], v[62:63], v[72:73]
	global_load_dwordx4 v[62:65], v[90:91], off
	v_lshl_add_u64 v[90:91], v[26:27], 4, s[8:9]
	v_add_u32_e32 v26, 7, v30
	s_waitcnt vmcnt(9)
	v_fmac_f64_e32 v[16:17], v[80:81], v[82:83]
	v_fmac_f64_e32 v[86:87], v[78:79], v[82:83]
	;; [unrolled: 1-line block ×5, first 2 shown]
	v_lshl_add_u64 v[78:79], v[26:27], 4, s[10:11]
	v_fma_f64 v[86:87], -v[80:81], v[84:85], v[86:87]
	global_load_dwordx4 v[70:73], v[90:91], off offset:16
	v_fma_f64 v[88:89], -v[76:77], v[84:85], v[88:89]
	v_fmac_f64_e32 v[14:15], v[74:75], v[84:85]
	global_load_dwordx4 v[74:77], v[90:91], off
	v_add_u32_e32 v26, 8, v30
	global_load_dwordx4 v[78:81], v[78:79], off
	v_lshl_add_u64 v[30:31], v[26:27], 4, s[10:11]
	global_load_dwordx4 v[82:85], v[30:31], off
	v_add_u32_e32 v24, 0x480, v24
	s_waitcnt vmcnt(10)
	v_fmac_f64_e32 v[86:87], v[20:21], v[34:35]
	v_fmac_f64_e32 v[16:17], v[22:23], v[34:35]
	;; [unrolled: 1-line block ×4, first 2 shown]
	v_fma_f64 v[22:23], -v[22:23], v[36:37], v[86:87]
	v_fmac_f64_e32 v[16:17], v[20:21], v[36:37]
	v_fma_f64 v[20:21], -v[40:41], v[36:37], v[88:89]
	v_fmac_f64_e32 v[14:15], v[38:39], v[36:37]
	s_waitcnt vmcnt(7)
	v_fmac_f64_e32 v[22:23], v[46:47], v[54:55]
	v_fmac_f64_e32 v[16:17], v[48:49], v[54:55]
	;; [unrolled: 1-line block ×4, first 2 shown]
	v_fma_f64 v[22:23], -v[48:49], v[56:57], v[22:23]
	v_fmac_f64_e32 v[16:17], v[46:47], v[56:57]
	v_fma_f64 v[20:21], -v[52:53], v[56:57], v[20:21]
	v_fmac_f64_e32 v[14:15], v[50:51], v[56:57]
	s_waitcnt vmcnt(5)
	v_fmac_f64_e32 v[20:21], v[58:59], v[66:67]
	v_fmac_f64_e32 v[14:15], v[60:61], v[66:67]
	s_waitcnt vmcnt(4)
	v_fmac_f64_e32 v[22:23], v[62:63], v[66:67]
	v_fmac_f64_e32 v[16:17], v[64:65], v[66:67]
	v_fma_f64 v[22:23], -v[64:65], v[68:69], v[22:23]
	v_fmac_f64_e32 v[16:17], v[62:63], v[68:69]
	v_fma_f64 v[20:21], -v[60:61], v[68:69], v[20:21]
	v_fmac_f64_e32 v[14:15], v[58:59], v[68:69]
	s_waitcnt vmcnt(1)
	v_fmac_f64_e32 v[22:23], v[74:75], v[78:79]
	v_fmac_f64_e32 v[16:17], v[76:77], v[78:79]
	;; [unrolled: 1-line block ×4, first 2 shown]
	v_fma_f64 v[22:23], -v[76:77], v[80:81], v[22:23]
	v_fmac_f64_e32 v[16:17], v[74:75], v[80:81]
	v_fma_f64 v[20:21], -v[72:73], v[80:81], v[20:21]
	v_fmac_f64_e32 v[14:15], v[70:71], v[80:81]
	s_waitcnt vmcnt(0)
	v_fmac_f64_e32 v[22:23], v[42:43], v[82:83]
	v_fmac_f64_e32 v[16:17], v[44:45], v[82:83]
	v_fmac_f64_e32 v[20:21], v[0:1], v[82:83]
	v_fmac_f64_e32 v[14:15], v[2:3], v[82:83]
	v_fma_f64 v[22:23], -v[44:45], v[84:85], v[22:23]
	v_fmac_f64_e32 v[16:17], v[42:43], v[84:85]
	v_fma_f64 v[20:21], -v[2:3], v[84:85], v[20:21]
	v_fmac_f64_e32 v[14:15], v[0:1], v[84:85]
	s_andn2_b64 exec, exec, s[14:15]
	s_cbranch_execnz .LBB267_11
; %bb.12:
	s_or_b64 exec, exec, s[14:15]
.LBB267_13:
	s_or_b64 exec, exec, s[12:13]
	s_andn2_b64 vcc, exec, s[4:5]
	s_cbranch_vccz .LBB267_15
	s_branch .LBB267_20
.LBB267_14:
                                        ; implicit-def: $vgpr16_vgpr17
                                        ; implicit-def: $vgpr22_vgpr23
                                        ; implicit-def: $vgpr20_vgpr21
                                        ; implicit-def: $vgpr14_vgpr15
.LBB267_15:
	v_mov_b64_e32 v[16:17], 0
	v_mov_b64_e32 v[22:23], v[16:17]
	;; [unrolled: 1-line block ×4, first 2 shown]
	s_and_saveexec_b64 s[4:5], s[0:1]
	s_cbranch_execz .LBB267_19
; %bb.16:
	v_mad_u64_u32 v[0:1], s[0:1], v18, 18, 17
	v_mov_b64_e32 v[16:17], 0
	s_mov_b64 s[0:1], 0
	v_mov_b32_e32 v3, 0
	v_mov_b64_e32 v[22:23], v[16:17]
	v_mov_b64_e32 v[20:21], v[16:17]
	;; [unrolled: 1-line block ×3, first 2 shown]
.LBB267_17:                             ; =>This Inner Loop Header: Depth=1
	v_ashrrev_i32_e32 v19, 31, v18
	v_subrev_u32_e32 v2, 17, v0
	v_add_u32_e32 v26, -8, v0
	v_mov_b32_e32 v27, v3
	v_mov_b32_e32 v1, v3
	v_lshl_add_u64 v[30:31], v[18:19], 2, s[6:7]
	v_lshl_add_u64 v[46:47], v[2:3], 4, s[8:9]
	v_lshl_add_u64 v[48:49], v[26:27], 4, s[8:9]
	v_lshl_add_u64 v[50:51], v[0:1], 4, s[8:9]
	global_load_dword v1, v[30:31], off
	global_load_dwordx4 v[26:29], v[46:47], off offset:16
	global_load_dwordx4 v[34:37], v[46:47], off
	global_load_dwordx4 v[38:41], v[48:49], off
	;; [unrolled: 1-line block ×3, first 2 shown]
	v_mov_b32_e32 v25, v3
	v_add_u32_e32 v18, 64, v18
	v_cmp_ge_i32_e32 vcc, v18, v32
	s_or_b64 s[0:1], vcc, s[0:1]
	s_waitcnt vmcnt(4)
	v_subrev_u32_e32 v1, s16, v1
	v_lshl_add_u32 v24, v1, 3, v1
	v_lshl_add_u64 v[30:31], v[24:25], 4, s[10:11]
	global_load_dwordx4 v[46:49], v[30:31], off
	v_add_u32_e32 v2, 1, v24
	v_lshl_add_u64 v[30:31], v[2:3], 4, s[10:11]
	global_load_dwordx4 v[50:53], v[30:31], off
	v_add_u32_e32 v2, -7, v0
	v_lshl_add_u64 v[30:31], v[2:3], 4, s[8:9]
	v_add_u32_e32 v2, -15, v0
	global_load_dwordx4 v[54:57], v[30:31], off
	v_lshl_add_u64 v[30:31], v[2:3], 4, s[8:9]
	v_add_u32_e32 v2, 2, v24
	global_load_dwordx4 v[58:61], v[30:31], off
	v_lshl_add_u64 v[30:31], v[2:3], 4, s[10:11]
	v_add_u32_e32 v2, -6, v0
	global_load_dwordx4 v[62:65], v[30:31], off
	v_lshl_add_u64 v[30:31], v[2:3], 4, s[8:9]
	v_add_u32_e32 v2, -14, v0
	global_load_dwordx4 v[66:69], v[30:31], off
	v_lshl_add_u64 v[30:31], v[2:3], 4, s[8:9]
	v_add_u32_e32 v2, 3, v24
	global_load_dwordx4 v[70:73], v[30:31], off
	v_lshl_add_u64 v[30:31], v[2:3], 4, s[10:11]
	v_add_u32_e32 v2, -5, v0
	global_load_dwordx4 v[74:77], v[30:31], off
	v_lshl_add_u64 v[30:31], v[2:3], 4, s[8:9]
	v_add_u32_e32 v2, -13, v0
	s_waitcnt vmcnt(7)
	v_fmac_f64_e32 v[22:23], v[34:35], v[46:47]
	v_fmac_f64_e32 v[16:17], v[36:37], v[46:47]
	v_fma_f64 v[78:79], -v[36:37], v[48:49], v[22:23]
	v_fmac_f64_e32 v[16:17], v[34:35], v[48:49]
	global_load_dwordx4 v[34:37], v[30:31], off
	v_lshl_add_u64 v[22:23], v[2:3], 4, s[8:9]
	v_add_u32_e32 v2, 4, v24
	v_fmac_f64_e32 v[14:15], v[40:41], v[46:47]
	v_fmac_f64_e32 v[20:21], v[38:39], v[46:47]
	;; [unrolled: 1-line block ×3, first 2 shown]
	v_lshl_add_u64 v[38:39], v[2:3], 4, s[10:11]
	v_add_u32_e32 v2, -4, v0
	v_lshl_add_u64 v[46:47], v[2:3], 4, s[8:9]
	s_waitcnt vmcnt(7)
	v_fmac_f64_e32 v[78:79], v[26:27], v[50:51]
	v_fmac_f64_e32 v[16:17], v[28:29], v[50:51]
	v_fma_f64 v[78:79], -v[28:29], v[52:53], v[78:79]
	v_fmac_f64_e32 v[16:17], v[26:27], v[52:53]
	global_load_dwordx4 v[26:29], v[46:47], off
	v_fma_f64 v[30:31], -v[40:41], v[48:49], v[20:21]
	global_load_dwordx4 v[20:23], v[22:23], off
	v_add_u32_e32 v2, -12, v0
	global_load_dwordx4 v[38:41], v[38:39], off
	v_lshl_add_u64 v[46:47], v[2:3], 4, s[8:9]
	v_add_u32_e32 v2, 5, v24
	s_waitcnt vmcnt(9)
	v_fmac_f64_e32 v[30:31], v[54:55], v[50:51]
	v_fmac_f64_e32 v[14:15], v[56:57], v[50:51]
	v_lshl_add_u64 v[50:51], v[2:3], 4, s[10:11]
	v_add_u32_e32 v2, -3, v0
	v_fmac_f64_e32 v[14:15], v[54:55], v[52:53]
	v_lshl_add_u64 v[54:55], v[2:3], 4, s[8:9]
	v_add_u32_e32 v2, -11, v0
	s_waitcnt vmcnt(7)
	v_fmac_f64_e32 v[16:17], v[60:61], v[62:63]
	v_fma_f64 v[30:31], -v[56:57], v[52:53], v[30:31]
	v_fmac_f64_e32 v[78:79], v[58:59], v[62:63]
	v_fmac_f64_e32 v[16:17], v[58:59], v[64:65]
	v_lshl_add_u64 v[58:59], v[2:3], 4, s[8:9]
	v_add_u32_e32 v2, 6, v24
	s_waitcnt vmcnt(6)
	v_fmac_f64_e32 v[30:31], v[66:67], v[62:63]
	v_fmac_f64_e32 v[14:15], v[68:69], v[62:63]
	v_lshl_add_u64 v[62:63], v[2:3], 4, s[10:11]
	v_add_u32_e32 v2, -2, v0
	global_load_dwordx4 v[46:49], v[46:47], off
	v_fma_f64 v[78:79], -v[60:61], v[64:65], v[78:79]
	global_load_dwordx4 v[50:53], v[50:51], off
	v_fma_f64 v[30:31], -v[68:69], v[64:65], v[30:31]
	global_load_dwordx4 v[54:57], v[54:55], off
	v_fmac_f64_e32 v[14:15], v[66:67], v[64:65]
	global_load_dwordx4 v[58:61], v[58:59], off
	v_lshl_add_u64 v[66:67], v[2:3], 4, s[8:9]
	v_add_u32_e32 v2, -10, v0
	s_waitcnt vmcnt(8)
	v_fmac_f64_e32 v[16:17], v[72:73], v[74:75]
	v_fmac_f64_e32 v[78:79], v[70:71], v[74:75]
	;; [unrolled: 1-line block ×3, first 2 shown]
	v_lshl_add_u64 v[70:71], v[2:3], 4, s[8:9]
	v_add_u32_e32 v2, 7, v24
	global_load_dwordx4 v[62:65], v[62:63], off
	v_fma_f64 v[78:79], -v[72:73], v[76:77], v[78:79]
	global_load_dwordx4 v[66:69], v[66:67], off
	s_waitcnt vmcnt(9)
	v_fmac_f64_e32 v[30:31], v[34:35], v[74:75]
	v_fmac_f64_e32 v[14:15], v[36:37], v[74:75]
	v_fma_f64 v[30:31], -v[36:37], v[76:77], v[30:31]
	v_fmac_f64_e32 v[14:15], v[34:35], v[76:77]
	global_load_dwordx4 v[34:37], v[70:71], off
	v_lshl_add_u64 v[70:71], v[2:3], 4, s[10:11]
	v_add_u32_e32 v2, -1, v0
	v_lshl_add_u64 v[80:81], v[2:3], 4, s[8:9]
	v_add_u32_e32 v2, -9, v0
	v_lshl_add_u64 v[82:83], v[2:3], 4, s[8:9]
	v_add_u32_e32 v2, 8, v24
	global_load_dwordx4 v[70:73], v[70:71], off
	v_lshl_add_u64 v[24:25], v[2:3], 4, s[10:11]
	v_add_u32_e32 v0, 0x480, v0
	s_waitcnt vmcnt(8)
	v_fmac_f64_e32 v[78:79], v[20:21], v[38:39]
	v_fmac_f64_e32 v[16:17], v[22:23], v[38:39]
	v_fma_f64 v[78:79], -v[22:23], v[40:41], v[78:79]
	v_fmac_f64_e32 v[16:17], v[20:21], v[40:41]
	global_load_dwordx4 v[20:23], v[80:81], off
	global_load_dwordx4 v[74:77], v[82:83], off
	v_fmac_f64_e32 v[14:15], v[28:29], v[38:39]
	v_fmac_f64_e32 v[30:31], v[26:27], v[38:39]
	;; [unrolled: 1-line block ×3, first 2 shown]
	global_load_dwordx4 v[24:27], v[24:25], off
	v_fma_f64 v[28:29], -v[28:29], v[40:41], v[30:31]
	s_waitcnt vmcnt(9)
	v_fmac_f64_e32 v[78:79], v[46:47], v[50:51]
	v_fmac_f64_e32 v[16:17], v[48:49], v[50:51]
	s_waitcnt vmcnt(8)
	v_fmac_f64_e32 v[28:29], v[54:55], v[50:51]
	v_fmac_f64_e32 v[14:15], v[56:57], v[50:51]
	v_fma_f64 v[30:31], -v[48:49], v[52:53], v[78:79]
	v_fmac_f64_e32 v[16:17], v[46:47], v[52:53]
	v_fma_f64 v[28:29], -v[56:57], v[52:53], v[28:29]
	v_fmac_f64_e32 v[14:15], v[54:55], v[52:53]
	s_waitcnt vmcnt(6)
	v_fmac_f64_e32 v[30:31], v[58:59], v[62:63]
	v_fmac_f64_e32 v[16:17], v[60:61], v[62:63]
	s_waitcnt vmcnt(5)
	v_fmac_f64_e32 v[28:29], v[66:67], v[62:63]
	v_fmac_f64_e32 v[14:15], v[68:69], v[62:63]
	v_fma_f64 v[30:31], -v[60:61], v[64:65], v[30:31]
	v_fmac_f64_e32 v[16:17], v[58:59], v[64:65]
	v_fma_f64 v[28:29], -v[68:69], v[64:65], v[28:29]
	v_fmac_f64_e32 v[14:15], v[66:67], v[64:65]
	s_waitcnt vmcnt(3)
	v_fmac_f64_e32 v[30:31], v[34:35], v[70:71]
	v_fmac_f64_e32 v[16:17], v[36:37], v[70:71]
	v_fma_f64 v[30:31], -v[36:37], v[72:73], v[30:31]
	v_fmac_f64_e32 v[16:17], v[34:35], v[72:73]
	s_waitcnt vmcnt(2)
	v_fmac_f64_e32 v[28:29], v[20:21], v[70:71]
	;; [unrolled: 5-line block ×3, first 2 shown]
	v_fmac_f64_e32 v[16:17], v[76:77], v[24:25]
	v_fmac_f64_e32 v[28:29], v[42:43], v[24:25]
	;; [unrolled: 1-line block ×3, first 2 shown]
	v_fma_f64 v[22:23], -v[76:77], v[26:27], v[30:31]
	v_fmac_f64_e32 v[16:17], v[74:75], v[26:27]
	v_fma_f64 v[20:21], -v[44:45], v[26:27], v[28:29]
	v_fmac_f64_e32 v[14:15], v[42:43], v[26:27]
	s_andn2_b64 exec, exec, s[0:1]
	s_cbranch_execnz .LBB267_17
; %bb.18:
	s_or_b64 exec, exec, s[0:1]
.LBB267_19:
	s_or_b64 exec, exec, s[4:5]
.LBB267_20:
	v_mov_b32_dpp v0, v22 row_shr:1 row_mask:0xf bank_mask:0xf
	v_mov_b32_dpp v1, v23 row_shr:1 row_mask:0xf bank_mask:0xf
	v_add_f64 v[0:1], v[22:23], v[0:1]
	v_mov_b32_dpp v18, v16 row_shr:1 row_mask:0xf bank_mask:0xf
	v_mov_b32_dpp v19, v17 row_shr:1 row_mask:0xf bank_mask:0xf
	;; [unrolled: 1-line block ×6, first 2 shown]
	v_add_f64 v[16:17], v[16:17], v[18:19]
	v_add_f64 v[20:21], v[20:21], v[22:23]
	v_add_f64 v[14:15], v[14:15], v[24:25]
	v_mov_b32_dpp v2, v0 row_shr:2 row_mask:0xf bank_mask:0xf
	v_mov_b32_dpp v3, v1 row_shr:2 row_mask:0xf bank_mask:0xf
	v_mov_b32_dpp v18, v16 row_shr:2 row_mask:0xf bank_mask:0xf
	v_mov_b32_dpp v19, v17 row_shr:2 row_mask:0xf bank_mask:0xf
	v_mov_b32_dpp v22, v20 row_shr:2 row_mask:0xf bank_mask:0xf
	v_mov_b32_dpp v23, v21 row_shr:2 row_mask:0xf bank_mask:0xf
	v_mov_b32_dpp v24, v14 row_shr:2 row_mask:0xf bank_mask:0xf
	v_mov_b32_dpp v25, v15 row_shr:2 row_mask:0xf bank_mask:0xf
	v_add_f64 v[0:1], v[0:1], v[2:3]
	v_add_f64 v[16:17], v[16:17], v[18:19]
	v_add_f64 v[20:21], v[20:21], v[22:23]
	v_add_f64 v[14:15], v[14:15], v[24:25]
	v_mov_b32_dpp v2, v0 row_shr:4 row_mask:0xf bank_mask:0xe
	v_mov_b32_dpp v3, v1 row_shr:4 row_mask:0xf bank_mask:0xe
	v_mov_b32_dpp v18, v16 row_shr:4 row_mask:0xf bank_mask:0xe
	v_mov_b32_dpp v19, v17 row_shr:4 row_mask:0xf bank_mask:0xe
	v_mov_b32_dpp v22, v20 row_shr:4 row_mask:0xf bank_mask:0xe
	v_mov_b32_dpp v23, v21 row_shr:4 row_mask:0xf bank_mask:0xe
	v_mov_b32_dpp v24, v14 row_shr:4 row_mask:0xf bank_mask:0xe
	v_mov_b32_dpp v25, v15 row_shr:4 row_mask:0xf bank_mask:0xe
	v_add_f64 v[0:1], v[0:1], v[2:3]
	;; [unrolled: 12-line block ×3, first 2 shown]
	v_add_f64 v[16:17], v[16:17], v[18:19]
	v_add_f64 v[20:21], v[20:21], v[22:23]
	;; [unrolled: 1-line block ×3, first 2 shown]
	v_mov_b32_dpp v2, v0 row_bcast:15 row_mask:0xa bank_mask:0xf
	v_mov_b32_dpp v3, v1 row_bcast:15 row_mask:0xa bank_mask:0xf
	;; [unrolled: 1-line block ×8, first 2 shown]
	v_add_f64 v[0:1], v[0:1], v[2:3]
	v_add_f64 v[16:17], v[16:17], v[18:19]
	;; [unrolled: 1-line block ×4, first 2 shown]
	v_mov_b32_dpp v2, v0 row_bcast:31 row_mask:0xc bank_mask:0xf
	v_mov_b32_dpp v3, v1 row_bcast:31 row_mask:0xc bank_mask:0xf
	;; [unrolled: 1-line block ×8, first 2 shown]
	v_cmp_eq_u32_e32 vcc, 63, v13
	s_and_b64 exec, exec, vcc
	s_cbranch_execz .LBB267_25
; %bb.21:
	s_load_dwordx2 s[2:3], s[2:3], 0x48
	v_cmp_eq_f64_e32 vcc, 0, v[8:9]
	v_cmp_eq_f64_e64 s[0:1], 0, v[10:11]
	v_add_f64 v[14:15], v[0:1], v[2:3]
	v_add_f64 v[16:17], v[16:17], v[18:19]
	;; [unrolled: 1-line block ×4, first 2 shown]
	s_and_b64 s[0:1], vcc, s[0:1]
	s_and_saveexec_b64 s[4:5], s[0:1]
	s_xor_b64 s[0:1], exec, s[4:5]
	s_cbranch_execz .LBB267_23
; %bb.22:
	v_lshlrev_b32_e32 v12, 1, v12
	v_mul_f64 v[8:9], v[16:17], -v[6:7]
	v_mul_f64 v[10:11], v[4:5], v[16:17]
	v_ashrrev_i32_e32 v13, 31, v12
	v_fmac_f64_e32 v[8:9], v[4:5], v[14:15]
	v_fmac_f64_e32 v[10:11], v[6:7], v[14:15]
	s_waitcnt lgkmcnt(0)
	v_lshl_add_u64 v[12:13], v[12:13], 4, s[2:3]
	global_store_dwordx4 v[12:13], v[8:11], off
                                        ; implicit-def: $vgpr14_vgpr15
                                        ; implicit-def: $vgpr16_vgpr17
	s_nop 1
	v_mul_f64 v[8:9], v[2:3], -v[6:7]
	v_mul_f64 v[10:11], v[4:5], v[2:3]
	v_fmac_f64_e32 v[8:9], v[4:5], v[0:1]
	v_fmac_f64_e32 v[10:11], v[6:7], v[0:1]
	global_store_dwordx4 v[12:13], v[8:11], off offset:16
                                        ; implicit-def: $vgpr4_vgpr5
                                        ; implicit-def: $vgpr6_vgpr7
                                        ; implicit-def: $vgpr8_vgpr9
                                        ; implicit-def: $vgpr10_vgpr11
                                        ; implicit-def: $vgpr12
                                        ; implicit-def: $vgpr0_vgpr1
                                        ; implicit-def: $vgpr2_vgpr3
.LBB267_23:
	s_andn2_saveexec_b64 s[0:1], s[0:1]
	s_cbranch_execz .LBB267_25
; %bb.24:
	v_lshlrev_b32_e32 v12, 1, v12
	v_ashrrev_i32_e32 v13, 31, v12
	s_waitcnt lgkmcnt(0)
	v_lshl_add_u64 v[12:13], v[12:13], 4, s[2:3]
	global_load_dwordx4 v[18:21], v[12:13], off
	global_load_dwordx4 v[22:25], v[12:13], off offset:16
	v_mul_f64 v[26:27], v[16:17], -v[6:7]
	v_mul_f64 v[16:17], v[4:5], v[16:17]
	v_mul_f64 v[28:29], v[2:3], -v[6:7]
	v_mul_f64 v[2:3], v[4:5], v[2:3]
	v_fmac_f64_e32 v[26:27], v[4:5], v[14:15]
	v_fmac_f64_e32 v[16:17], v[6:7], v[14:15]
	;; [unrolled: 1-line block ×4, first 2 shown]
	s_waitcnt vmcnt(1)
	v_fmac_f64_e32 v[26:27], v[8:9], v[18:19]
	v_fmac_f64_e32 v[16:17], v[10:11], v[18:19]
	s_waitcnt vmcnt(0)
	v_fmac_f64_e32 v[28:29], v[8:9], v[22:23]
	v_fmac_f64_e32 v[2:3], v[10:11], v[22:23]
	v_fma_f64 v[14:15], -v[10:11], v[20:21], v[26:27]
	v_fmac_f64_e32 v[16:17], v[8:9], v[20:21]
	v_fma_f64 v[0:1], -v[10:11], v[24:25], v[28:29]
	v_fmac_f64_e32 v[2:3], v[8:9], v[24:25]
	global_store_dwordx4 v[12:13], v[14:17], off
	global_store_dwordx4 v[12:13], v[0:3], off offset:16
.LBB267_25:
	s_endpgm
	.section	.rodata,"a",@progbits
	.p2align	6, 0x0
	.amdhsa_kernel _ZN9rocsparseL19gebsrmvn_2xn_kernelILj128ELj9ELj64E21rocsparse_complex_numIdEEEvi20rocsparse_direction_NS_24const_host_device_scalarIT2_EEPKiS8_PKS5_SA_S6_PS5_21rocsparse_index_base_b
		.amdhsa_group_segment_fixed_size 2048
		.amdhsa_private_segment_fixed_size 0
		.amdhsa_kernarg_size 88
		.amdhsa_user_sgpr_count 4
		.amdhsa_user_sgpr_dispatch_ptr 1
		.amdhsa_user_sgpr_queue_ptr 0
		.amdhsa_user_sgpr_kernarg_segment_ptr 1
		.amdhsa_user_sgpr_dispatch_id 0
		.amdhsa_user_sgpr_kernarg_preload_length 0
		.amdhsa_user_sgpr_kernarg_preload_offset 0
		.amdhsa_user_sgpr_private_segment_size 0
		.amdhsa_uses_dynamic_stack 0
		.amdhsa_enable_private_segment 0
		.amdhsa_system_sgpr_workgroup_id_x 1
		.amdhsa_system_sgpr_workgroup_id_y 0
		.amdhsa_system_sgpr_workgroup_id_z 0
		.amdhsa_system_sgpr_workgroup_info 0
		.amdhsa_system_vgpr_workitem_id 2
		.amdhsa_next_free_vgpr 92
		.amdhsa_next_free_sgpr 20
		.amdhsa_accum_offset 92
		.amdhsa_reserve_vcc 1
		.amdhsa_float_round_mode_32 0
		.amdhsa_float_round_mode_16_64 0
		.amdhsa_float_denorm_mode_32 3
		.amdhsa_float_denorm_mode_16_64 3
		.amdhsa_dx10_clamp 1
		.amdhsa_ieee_mode 1
		.amdhsa_fp16_overflow 0
		.amdhsa_tg_split 0
		.amdhsa_exception_fp_ieee_invalid_op 0
		.amdhsa_exception_fp_denorm_src 0
		.amdhsa_exception_fp_ieee_div_zero 0
		.amdhsa_exception_fp_ieee_overflow 0
		.amdhsa_exception_fp_ieee_underflow 0
		.amdhsa_exception_fp_ieee_inexact 0
		.amdhsa_exception_int_div_zero 0
	.end_amdhsa_kernel
	.section	.text._ZN9rocsparseL19gebsrmvn_2xn_kernelILj128ELj9ELj64E21rocsparse_complex_numIdEEEvi20rocsparse_direction_NS_24const_host_device_scalarIT2_EEPKiS8_PKS5_SA_S6_PS5_21rocsparse_index_base_b,"axG",@progbits,_ZN9rocsparseL19gebsrmvn_2xn_kernelILj128ELj9ELj64E21rocsparse_complex_numIdEEEvi20rocsparse_direction_NS_24const_host_device_scalarIT2_EEPKiS8_PKS5_SA_S6_PS5_21rocsparse_index_base_b,comdat
.Lfunc_end267:
	.size	_ZN9rocsparseL19gebsrmvn_2xn_kernelILj128ELj9ELj64E21rocsparse_complex_numIdEEEvi20rocsparse_direction_NS_24const_host_device_scalarIT2_EEPKiS8_PKS5_SA_S6_PS5_21rocsparse_index_base_b, .Lfunc_end267-_ZN9rocsparseL19gebsrmvn_2xn_kernelILj128ELj9ELj64E21rocsparse_complex_numIdEEEvi20rocsparse_direction_NS_24const_host_device_scalarIT2_EEPKiS8_PKS5_SA_S6_PS5_21rocsparse_index_base_b
                                        ; -- End function
	.section	.AMDGPU.csdata,"",@progbits
; Kernel info:
; codeLenInByte = 3332
; NumSgprs: 26
; NumVgprs: 92
; NumAgprs: 0
; TotalNumVgprs: 92
; ScratchSize: 0
; MemoryBound: 0
; FloatMode: 240
; IeeeMode: 1
; LDSByteSize: 2048 bytes/workgroup (compile time only)
; SGPRBlocks: 3
; VGPRBlocks: 11
; NumSGPRsForWavesPerEU: 26
; NumVGPRsForWavesPerEU: 92
; AccumOffset: 92
; Occupancy: 5
; WaveLimiterHint : 1
; COMPUTE_PGM_RSRC2:SCRATCH_EN: 0
; COMPUTE_PGM_RSRC2:USER_SGPR: 4
; COMPUTE_PGM_RSRC2:TRAP_HANDLER: 0
; COMPUTE_PGM_RSRC2:TGID_X_EN: 1
; COMPUTE_PGM_RSRC2:TGID_Y_EN: 0
; COMPUTE_PGM_RSRC2:TGID_Z_EN: 0
; COMPUTE_PGM_RSRC2:TIDIG_COMP_CNT: 2
; COMPUTE_PGM_RSRC3_GFX90A:ACCUM_OFFSET: 22
; COMPUTE_PGM_RSRC3_GFX90A:TG_SPLIT: 0
	.section	.text._ZN9rocsparseL19gebsrmvn_2xn_kernelILj128ELj10ELj4E21rocsparse_complex_numIdEEEvi20rocsparse_direction_NS_24const_host_device_scalarIT2_EEPKiS8_PKS5_SA_S6_PS5_21rocsparse_index_base_b,"axG",@progbits,_ZN9rocsparseL19gebsrmvn_2xn_kernelILj128ELj10ELj4E21rocsparse_complex_numIdEEEvi20rocsparse_direction_NS_24const_host_device_scalarIT2_EEPKiS8_PKS5_SA_S6_PS5_21rocsparse_index_base_b,comdat
	.globl	_ZN9rocsparseL19gebsrmvn_2xn_kernelILj128ELj10ELj4E21rocsparse_complex_numIdEEEvi20rocsparse_direction_NS_24const_host_device_scalarIT2_EEPKiS8_PKS5_SA_S6_PS5_21rocsparse_index_base_b ; -- Begin function _ZN9rocsparseL19gebsrmvn_2xn_kernelILj128ELj10ELj4E21rocsparse_complex_numIdEEEvi20rocsparse_direction_NS_24const_host_device_scalarIT2_EEPKiS8_PKS5_SA_S6_PS5_21rocsparse_index_base_b
	.p2align	8
	.type	_ZN9rocsparseL19gebsrmvn_2xn_kernelILj128ELj10ELj4E21rocsparse_complex_numIdEEEvi20rocsparse_direction_NS_24const_host_device_scalarIT2_EEPKiS8_PKS5_SA_S6_PS5_21rocsparse_index_base_b,@function
_ZN9rocsparseL19gebsrmvn_2xn_kernelILj128ELj10ELj4E21rocsparse_complex_numIdEEEvi20rocsparse_direction_NS_24const_host_device_scalarIT2_EEPKiS8_PKS5_SA_S6_PS5_21rocsparse_index_base_b: ; @_ZN9rocsparseL19gebsrmvn_2xn_kernelILj128ELj10ELj4E21rocsparse_complex_numIdEEEvi20rocsparse_direction_NS_24const_host_device_scalarIT2_EEPKiS8_PKS5_SA_S6_PS5_21rocsparse_index_base_b
; %bb.0:
	s_load_dwordx2 s[16:17], s[2:3], 0x50
	s_load_dwordx4 s[12:15], s[2:3], 0x8
	s_load_dwordx4 s[8:11], s[2:3], 0x38
	s_load_dwordx2 s[18:19], s[0:1], 0x4
	s_mov_b64 s[6:7], src_shared_base
	s_waitcnt lgkmcnt(0)
	s_bitcmp1_b32 s17, 0
	s_cselect_b64 s[0:1], -1, 0
	s_and_b64 vcc, s[0:1], exec
	s_cselect_b32 s5, s7, s13
	s_lshr_b32 s6, s18, 16
	v_bfe_u32 v2, v0, 10, 10
	v_and_b32_e32 v1, 0x3ff, v0
	s_mul_i32 s6, s6, s19
	v_mul_u32_u24_e32 v2, s19, v2
	v_mad_u32_u24 v2, s6, v1, v2
	v_bfe_u32 v0, v0, 20, 10
	v_add_lshl_u32 v0, v2, v0, 3
	v_mov_b32_e32 v6, s12
	v_add_u32_e32 v7, 0x400, v0
	v_mov_b64_e32 v[2:3], s[12:13]
	v_mov_b64_e32 v[4:5], s[8:9]
	ds_write2st64_b64 v0, v[4:5], v[2:3] offset1:2
	v_cndmask_b32_e64 v2, v6, v7, s[0:1]
	v_mov_b32_e32 v3, s5
	flat_load_dwordx2 v[4:5], v[2:3]
	s_xor_b64 s[18:19], s[0:1], -1
	v_mov_b64_e32 v[6:7], s[14:15]
	s_cbranch_vccnz .LBB268_2
; %bb.1:
	v_mov_b64_e32 v[2:3], s[12:13]
	flat_load_dwordx2 v[6:7], v[2:3] offset:8
.LBB268_2:
	s_and_b64 s[12:13], s[0:1], exec
	s_cselect_b32 s5, s7, s9
	v_mov_b32_e32 v2, s8
	v_cndmask_b32_e64 v2, v2, v0, s[0:1]
	v_mov_b32_e32 v3, s5
	flat_load_dwordx2 v[8:9], v[2:3]
	s_andn2_b64 vcc, exec, s[18:19]
	v_mov_b64_e32 v[10:11], s[10:11]
	s_cbranch_vccnz .LBB268_4
; %bb.3:
	v_mov_b64_e32 v[2:3], s[8:9]
	flat_load_dwordx2 v[10:11], v[2:3] offset:8
.LBB268_4:
	s_waitcnt vmcnt(0) lgkmcnt(0)
	v_cmp_eq_f64_e32 vcc, 0, v[4:5]
	v_cmp_eq_f64_e64 s[0:1], 0, v[6:7]
	s_and_b64 s[8:9], vcc, s[0:1]
	s_mov_b64 s[0:1], -1
	s_and_saveexec_b64 s[6:7], s[8:9]
; %bb.5:
	v_cmp_neq_f64_e32 vcc, 1.0, v[8:9]
	v_cmp_neq_f64_e64 s[0:1], 0, v[10:11]
	s_or_b64 s[0:1], vcc, s[0:1]
	s_orn2_b64 s[0:1], s[0:1], exec
; %bb.6:
	s_or_b64 exec, exec, s[6:7]
	s_and_saveexec_b64 s[6:7], s[0:1]
	s_cbranch_execz .LBB268_25
; %bb.7:
	s_load_dwordx2 s[0:1], s[2:3], 0x0
	v_lshrrev_b32_e32 v0, 2, v1
	v_lshl_or_b32 v12, s4, 5, v0
	s_waitcnt lgkmcnt(0)
	v_cmp_gt_i32_e32 vcc, s0, v12
	s_and_b64 exec, exec, vcc
	s_cbranch_execz .LBB268_25
; %bb.8:
	s_load_dwordx8 s[4:11], s[2:3], 0x18
	v_ashrrev_i32_e32 v13, 31, v12
	s_cmp_lg_u32 s1, 0
	s_waitcnt lgkmcnt(0)
	v_lshl_add_u64 v[2:3], v[12:13], 2, s[4:5]
	global_load_dwordx2 v[2:3], v[2:3], off
	v_and_b32_e32 v13, 3, v1
	s_waitcnt vmcnt(0)
	v_subrev_u32_e32 v0, s16, v2
	v_subrev_u32_e32 v32, s16, v3
	v_add_u32_e32 v18, v0, v13
	v_cmp_lt_i32_e64 s[0:1], v18, v32
	s_cbranch_scc0 .LBB268_14
; %bb.9:
	v_mov_b64_e32 v[14:15], 0
	s_mov_b64 s[4:5], 0
	v_mov_b64_e32 v[22:23], v[14:15]
	v_mov_b64_e32 v[20:21], v[14:15]
	;; [unrolled: 1-line block ×3, first 2 shown]
	s_and_saveexec_b64 s[12:13], s[0:1]
	s_cbranch_execz .LBB268_13
; %bb.10:
	v_mad_u64_u32 v[24:25], s[14:15], v18, 20, 18
	v_mov_b64_e32 v[14:15], 0
	s_mov_b64 s[14:15], 0
	v_mov_b32_e32 v27, 0
	v_mov_b32_e32 v28, v18
	v_mov_b64_e32 v[22:23], v[14:15]
	v_mov_b64_e32 v[20:21], v[14:15]
	;; [unrolled: 1-line block ×3, first 2 shown]
.LBB268_11:                             ; =>This Inner Loop Header: Depth=1
	v_ashrrev_i32_e32 v29, 31, v28
	v_subrev_u32_e32 v26, 18, v24
	v_lshl_add_u64 v[0:1], v[28:29], 2, s[6:7]
	v_lshl_add_u64 v[2:3], v[26:27], 4, s[8:9]
	global_load_dword v19, v[0:1], off
	global_load_dwordx4 v[34:37], v[2:3], off offset:48
	global_load_dwordx4 v[38:41], v[2:3], off offset:32
	;; [unrolled: 1-line block ×3, first 2 shown]
	global_load_dwordx4 v[46:49], v[2:3], off
	v_mov_b32_e32 v31, v27
	v_mov_b32_e32 v25, v27
	v_add_u32_e32 v26, -14, v24
	v_lshl_add_u64 v[62:63], v[24:25], 4, s[8:9]
	v_lshl_add_u64 v[64:65], v[26:27], 4, s[8:9]
	global_load_dwordx4 v[0:3], v[62:63], off
	global_load_dwordx4 v[50:53], v[62:63], off offset:16
	global_load_dwordx4 v[54:57], v[64:65], off offset:16
	global_load_dwordx4 v[58:61], v[64:65], off
	v_add_u32_e32 v28, 4, v28
	v_cmp_ge_i32_e32 vcc, v28, v32
	s_or_b64 s[14:15], vcc, s[14:15]
	s_waitcnt vmcnt(8)
	v_subrev_u32_e32 v19, s16, v19
	v_mul_lo_u32 v30, v19, 10
	v_lshl_add_u64 v[70:71], v[30:31], 4, s[10:11]
	global_load_dwordx4 v[62:65], v[70:71], off
	global_load_dwordx4 v[66:69], v[70:71], off offset:16
	v_add_u32_e32 v26, 2, v30
	v_lshl_add_u64 v[78:79], v[26:27], 4, s[10:11]
	v_add_u32_e32 v26, -12, v24
	global_load_dwordx4 v[70:73], v[78:79], off
	global_load_dwordx4 v[74:77], v[78:79], off offset:16
	v_lshl_add_u64 v[86:87], v[26:27], 4, s[8:9]
	v_add_u32_e32 v26, -10, v24
	global_load_dwordx4 v[78:81], v[86:87], off offset:16
	global_load_dwordx4 v[82:85], v[86:87], off
	v_lshl_add_u64 v[86:87], v[26:27], 4, s[8:9]
	v_add_u32_e32 v26, 4, v30
	s_waitcnt vmcnt(5)
	v_fmac_f64_e32 v[22:23], v[46:47], v[62:63]
	v_fmac_f64_e32 v[14:15], v[48:49], v[62:63]
	;; [unrolled: 1-line block ×4, first 2 shown]
	v_fma_f64 v[88:89], -v[48:49], v[64:65], v[22:23]
	v_fmac_f64_e32 v[14:15], v[46:47], v[64:65]
	v_fma_f64 v[62:63], -v[44:45], v[64:65], v[20:21]
	v_fmac_f64_e32 v[16:17], v[42:43], v[64:65]
	v_lshl_add_u64 v[64:65], v[26:27], 4, s[10:11]
	global_load_dwordx4 v[46:49], v[86:87], off offset:16
	global_load_dwordx4 v[20:23], v[86:87], off
	global_load_dwordx4 v[42:45], v[64:65], off
	v_add_u32_e32 v26, -8, v24
	s_waitcnt vmcnt(7)
	v_fmac_f64_e32 v[88:89], v[38:39], v[66:67]
	v_fmac_f64_e32 v[14:15], v[40:41], v[66:67]
	v_fma_f64 v[86:87], -v[40:41], v[68:69], v[88:89]
	v_lshl_add_u64 v[88:89], v[26:27], 4, s[8:9]
	v_add_u32_e32 v26, -6, v24
	v_fmac_f64_e32 v[62:63], v[34:35], v[66:67]
	v_fmac_f64_e32 v[16:17], v[36:37], v[66:67]
	;; [unrolled: 1-line block ×3, first 2 shown]
	global_load_dwordx4 v[38:41], v[64:65], off offset:16
	v_fma_f64 v[66:67], -v[36:37], v[68:69], v[62:63]
	v_fmac_f64_e32 v[16:17], v[34:35], v[68:69]
	global_load_dwordx4 v[34:37], v[88:89], off
	global_load_dwordx4 v[62:65], v[88:89], off offset:16
	v_lshl_add_u64 v[68:69], v[26:27], 4, s[8:9]
	v_add_u32_e32 v26, 6, v30
	s_waitcnt vmcnt(9)
	v_fmac_f64_e32 v[86:87], v[58:59], v[70:71]
	v_fmac_f64_e32 v[14:15], v[60:61], v[70:71]
	;; [unrolled: 1-line block ×4, first 2 shown]
	v_lshl_add_u64 v[70:71], v[26:27], 4, s[10:11]
	v_fma_f64 v[86:87], -v[60:61], v[72:73], v[86:87]
	v_fmac_f64_e32 v[14:15], v[58:59], v[72:73]
	global_load_dwordx4 v[58:61], v[68:69], off offset:16
	v_fma_f64 v[88:89], -v[56:57], v[72:73], v[66:67]
	v_fmac_f64_e32 v[16:17], v[54:55], v[72:73]
	global_load_dwordx4 v[54:57], v[68:69], off
	v_add_u32_e32 v26, -4, v24
	global_load_dwordx4 v[66:69], v[70:71], off
	v_lshl_add_u64 v[90:91], v[26:27], 4, s[8:9]
	v_add_u32_e32 v26, -2, v24
	s_waitcnt vmcnt(9)
	v_fmac_f64_e32 v[86:87], v[82:83], v[74:75]
	v_fmac_f64_e32 v[14:15], v[84:85], v[74:75]
	;; [unrolled: 1-line block ×4, first 2 shown]
	v_fma_f64 v[84:85], -v[84:85], v[76:77], v[86:87]
	v_fmac_f64_e32 v[14:15], v[82:83], v[76:77]
	v_lshl_add_u64 v[86:87], v[26:27], 4, s[8:9]
	v_add_u32_e32 v26, 8, v30
	global_load_dwordx4 v[70:73], v[70:71], off offset:16
	v_fma_f64 v[30:31], -v[80:81], v[76:77], v[88:89]
	v_fmac_f64_e32 v[16:17], v[78:79], v[76:77]
	global_load_dwordx4 v[74:77], v[90:91], off offset:16
	global_load_dwordx4 v[78:81], v[90:91], off
	v_add_u32_e32 v24, 0x50, v24
	s_waitcnt vmcnt(9)
	v_fmac_f64_e32 v[84:85], v[20:21], v[42:43]
	v_fmac_f64_e32 v[14:15], v[22:23], v[42:43]
	v_fma_f64 v[88:89], -v[22:23], v[44:45], v[84:85]
	v_fmac_f64_e32 v[14:15], v[20:21], v[44:45]
	global_load_dwordx4 v[20:23], v[86:87], off offset:16
	global_load_dwordx4 v[82:85], v[86:87], off
	v_fmac_f64_e32 v[30:31], v[46:47], v[42:43]
	v_fmac_f64_e32 v[16:17], v[48:49], v[42:43]
	v_lshl_add_u64 v[86:87], v[26:27], 4, s[10:11]
	v_fma_f64 v[30:31], -v[48:49], v[44:45], v[30:31]
	v_fmac_f64_e32 v[16:17], v[46:47], v[44:45]
	global_load_dwordx4 v[42:45], v[86:87], off
	global_load_dwordx4 v[46:49], v[86:87], off offset:16
	s_waitcnt vmcnt(11)
	v_fmac_f64_e32 v[88:89], v[34:35], v[38:39]
	v_fmac_f64_e32 v[14:15], v[36:37], v[38:39]
	s_waitcnt vmcnt(10)
	v_fmac_f64_e32 v[30:31], v[62:63], v[38:39]
	v_fmac_f64_e32 v[16:17], v[64:65], v[38:39]
	v_fma_f64 v[36:37], -v[36:37], v[40:41], v[88:89]
	v_fmac_f64_e32 v[14:15], v[34:35], v[40:41]
	v_fma_f64 v[30:31], -v[64:65], v[40:41], v[30:31]
	v_fmac_f64_e32 v[16:17], v[62:63], v[40:41]
	s_waitcnt vmcnt(7)
	v_fmac_f64_e32 v[36:37], v[54:55], v[66:67]
	v_fmac_f64_e32 v[14:15], v[56:57], v[66:67]
	;; [unrolled: 1-line block ×4, first 2 shown]
	v_fma_f64 v[34:35], -v[56:57], v[68:69], v[36:37]
	v_fmac_f64_e32 v[14:15], v[54:55], v[68:69]
	v_fma_f64 v[30:31], -v[60:61], v[68:69], v[30:31]
	v_fmac_f64_e32 v[16:17], v[58:59], v[68:69]
	s_waitcnt vmcnt(5)
	v_fmac_f64_e32 v[30:31], v[74:75], v[70:71]
	s_waitcnt vmcnt(4)
	v_fmac_f64_e32 v[34:35], v[78:79], v[70:71]
	v_fmac_f64_e32 v[14:15], v[80:81], v[70:71]
	;; [unrolled: 1-line block ×3, first 2 shown]
	v_fma_f64 v[34:35], -v[80:81], v[72:73], v[34:35]
	v_fmac_f64_e32 v[14:15], v[78:79], v[72:73]
	v_fma_f64 v[30:31], -v[76:77], v[72:73], v[30:31]
	v_fmac_f64_e32 v[16:17], v[74:75], v[72:73]
	s_waitcnt vmcnt(1)
	v_fmac_f64_e32 v[34:35], v[82:83], v[42:43]
	v_fmac_f64_e32 v[14:15], v[84:85], v[42:43]
	;; [unrolled: 1-line block ×4, first 2 shown]
	v_fma_f64 v[34:35], -v[84:85], v[44:45], v[34:35]
	v_fmac_f64_e32 v[14:15], v[82:83], v[44:45]
	v_fma_f64 v[30:31], -v[22:23], v[44:45], v[30:31]
	v_fmac_f64_e32 v[16:17], v[20:21], v[44:45]
	s_waitcnt vmcnt(0)
	v_fmac_f64_e32 v[34:35], v[0:1], v[46:47]
	v_fmac_f64_e32 v[14:15], v[2:3], v[46:47]
	;; [unrolled: 1-line block ×4, first 2 shown]
	v_fma_f64 v[22:23], -v[2:3], v[48:49], v[34:35]
	v_fmac_f64_e32 v[14:15], v[0:1], v[48:49]
	v_fma_f64 v[20:21], -v[52:53], v[48:49], v[30:31]
	v_fmac_f64_e32 v[16:17], v[50:51], v[48:49]
	s_andn2_b64 exec, exec, s[14:15]
	s_cbranch_execnz .LBB268_11
; %bb.12:
	s_or_b64 exec, exec, s[14:15]
.LBB268_13:
	s_or_b64 exec, exec, s[12:13]
	s_andn2_b64 vcc, exec, s[4:5]
	s_cbranch_vccz .LBB268_15
	s_branch .LBB268_20
.LBB268_14:
                                        ; implicit-def: $vgpr14_vgpr15
                                        ; implicit-def: $vgpr22_vgpr23
                                        ; implicit-def: $vgpr20_vgpr21
                                        ; implicit-def: $vgpr16_vgpr17
.LBB268_15:
	v_mov_b64_e32 v[14:15], 0
	v_mov_b64_e32 v[22:23], v[14:15]
	;; [unrolled: 1-line block ×4, first 2 shown]
	s_and_saveexec_b64 s[4:5], s[0:1]
	s_cbranch_execz .LBB268_19
; %bb.16:
	v_mad_u64_u32 v[0:1], s[0:1], v18, 20, 19
	v_mov_b64_e32 v[14:15], 0
	s_mov_b64 s[0:1], 0
	v_mov_b32_e32 v3, 0
	v_mov_b64_e32 v[22:23], v[14:15]
	v_mov_b64_e32 v[20:21], v[14:15]
	;; [unrolled: 1-line block ×3, first 2 shown]
.LBB268_17:                             ; =>This Inner Loop Header: Depth=1
	v_ashrrev_i32_e32 v19, 31, v18
	v_subrev_u32_e32 v2, 19, v0
	v_add_u32_e32 v26, -9, v0
	v_mov_b32_e32 v27, v3
	v_mov_b32_e32 v1, v3
	v_lshl_add_u64 v[30:31], v[18:19], 2, s[6:7]
	v_lshl_add_u64 v[46:47], v[2:3], 4, s[8:9]
	;; [unrolled: 1-line block ×4, first 2 shown]
	global_load_dword v1, v[30:31], off
	global_load_dwordx4 v[26:29], v[46:47], off offset:48
	global_load_dwordx4 v[34:37], v[46:47], off offset:32
	;; [unrolled: 1-line block ×3, first 2 shown]
	global_load_dwordx4 v[42:45], v[46:47], off
	v_add_u32_e32 v2, -8, v0
	v_mov_b32_e32 v25, v3
	v_lshl_add_u64 v[30:31], v[2:3], 4, s[8:9]
	global_load_dwordx4 v[46:49], v[60:61], off
	global_load_dwordx4 v[50:53], v[58:59], off
	;; [unrolled: 1-line block ×3, first 2 shown]
	v_add_u32_e32 v18, 4, v18
	v_cmp_ge_i32_e32 vcc, v18, v32
	s_or_b64 s[0:1], vcc, s[0:1]
	s_waitcnt vmcnt(7)
	v_subrev_u32_e32 v1, s16, v1
	v_mul_lo_u32 v24, v1, 10
	v_lshl_add_u64 v[30:31], v[24:25], 4, s[10:11]
	global_load_dwordx4 v[58:61], v[30:31], off
	global_load_dwordx4 v[62:65], v[30:31], off offset:16
	v_add_u32_e32 v2, 2, v24
	v_lshl_add_u64 v[30:31], v[2:3], 4, s[10:11]
	global_load_dwordx4 v[66:69], v[30:31], off
	global_load_dwordx4 v[70:73], v[30:31], off offset:16
	v_add_u32_e32 v2, -7, v0
	v_lshl_add_u64 v[30:31], v[2:3], 4, s[8:9]
	v_add_u32_e32 v2, -6, v0
	global_load_dwordx4 v[74:77], v[30:31], off
	v_lshl_add_u64 v[30:31], v[2:3], 4, s[8:9]
	v_add_u32_e32 v2, -15, v0
	s_waitcnt vmcnt(4)
	v_fmac_f64_e32 v[22:23], v[42:43], v[58:59]
	v_fmac_f64_e32 v[14:15], v[44:45], v[58:59]
	v_fma_f64 v[78:79], -v[44:45], v[60:61], v[22:23]
	v_fmac_f64_e32 v[14:15], v[42:43], v[60:61]
	v_lshl_add_u64 v[22:23], v[2:3], 4, s[8:9]
	v_add_u32_e32 v2, 4, v24
	v_fmac_f64_e32 v[20:21], v[50:51], v[58:59]
	v_fmac_f64_e32 v[16:17], v[52:53], v[58:59]
	global_load_dwordx4 v[42:45], v[30:31], off
	v_fma_f64 v[30:31], -v[52:53], v[60:61], v[20:21]
	v_fmac_f64_e32 v[16:17], v[50:51], v[60:61]
	v_lshl_add_u64 v[58:59], v[2:3], 4, s[10:11]
	v_add_u32_e32 v2, -5, v0
	s_waitcnt vmcnt(4)
	v_fmac_f64_e32 v[78:79], v[38:39], v[62:63]
	v_fmac_f64_e32 v[14:15], v[40:41], v[62:63]
	global_load_dwordx4 v[20:23], v[22:23], off
	v_fma_f64 v[78:79], -v[40:41], v[64:65], v[78:79]
	global_load_dwordx4 v[50:53], v[58:59], off offset:16
	v_fmac_f64_e32 v[14:15], v[38:39], v[64:65]
	global_load_dwordx4 v[38:41], v[58:59], off
	v_lshl_add_u64 v[58:59], v[2:3], 4, s[8:9]
	v_add_u32_e32 v2, -14, v0
	v_fmac_f64_e32 v[30:31], v[54:55], v[62:63]
	v_fmac_f64_e32 v[16:17], v[56:57], v[62:63]
	v_fma_f64 v[30:31], -v[56:57], v[64:65], v[30:31]
	v_fmac_f64_e32 v[16:17], v[54:55], v[64:65]
	global_load_dwordx4 v[54:57], v[58:59], off
	v_lshl_add_u64 v[58:59], v[2:3], 4, s[8:9]
	v_add_u32_e32 v2, -4, v0
	global_load_dwordx4 v[58:61], v[58:59], off
	v_lshl_add_u64 v[62:63], v[2:3], 4, s[8:9]
	s_waitcnt vmcnt(8)
	v_fmac_f64_e32 v[78:79], v[34:35], v[66:67]
	v_fmac_f64_e32 v[14:15], v[36:37], v[66:67]
	v_fma_f64 v[78:79], -v[36:37], v[68:69], v[78:79]
	v_fmac_f64_e32 v[14:15], v[34:35], v[68:69]
	global_load_dwordx4 v[34:37], v[62:63], off
	v_add_u32_e32 v2, -13, v0
	v_lshl_add_u64 v[62:63], v[2:3], 4, s[8:9]
	v_add_u32_e32 v2, 6, v24
	s_waitcnt vmcnt(7)
	v_fmac_f64_e32 v[16:17], v[76:77], v[66:67]
	v_fmac_f64_e32 v[30:31], v[74:75], v[66:67]
	;; [unrolled: 1-line block ×3, first 2 shown]
	v_lshl_add_u64 v[74:75], v[2:3], 4, s[10:11]
	v_add_u32_e32 v2, -3, v0
	v_fmac_f64_e32 v[78:79], v[26:27], v[70:71]
	v_fmac_f64_e32 v[14:15], v[28:29], v[70:71]
	v_fma_f64 v[30:31], -v[76:77], v[68:69], v[30:31]
	global_load_dwordx4 v[66:69], v[74:75], off
	v_fma_f64 v[76:77], -v[28:29], v[72:73], v[78:79]
	v_fmac_f64_e32 v[14:15], v[26:27], v[72:73]
	global_load_dwordx4 v[26:29], v[74:75], off offset:16
	v_lshl_add_u64 v[74:75], v[2:3], 4, s[8:9]
	v_add_u32_e32 v2, -12, v0
	global_load_dwordx4 v[62:65], v[62:63], off
	s_waitcnt vmcnt(9)
	v_fmac_f64_e32 v[30:31], v[42:43], v[70:71]
	v_fmac_f64_e32 v[16:17], v[44:45], v[70:71]
	v_lshl_add_u64 v[70:71], v[2:3], 4, s[8:9]
	v_add_u32_e32 v2, -2, v0
	v_fma_f64 v[30:31], -v[44:45], v[72:73], v[30:31]
	v_fmac_f64_e32 v[16:17], v[42:43], v[72:73]
	global_load_dwordx4 v[70:73], v[70:71], off
	v_lshl_add_u64 v[78:79], v[2:3], 4, s[8:9]
	global_load_dwordx4 v[42:45], v[74:75], off
	v_add_u32_e32 v2, -11, v0
	v_lshl_add_u64 v[80:81], v[2:3], 4, s[8:9]
	s_waitcnt vmcnt(8)
	v_fmac_f64_e32 v[14:15], v[22:23], v[38:39]
	v_add_u32_e32 v2, 8, v24
	v_fmac_f64_e32 v[76:77], v[20:21], v[38:39]
	v_fmac_f64_e32 v[14:15], v[20:21], v[40:41]
	v_fma_f64 v[24:25], -v[22:23], v[40:41], v[76:77]
	global_load_dwordx4 v[20:23], v[78:79], off
	global_load_dwordx4 v[74:77], v[80:81], off
	v_lshl_add_u64 v[78:79], v[2:3], 4, s[10:11]
	s_waitcnt vmcnt(9)
	v_fmac_f64_e32 v[16:17], v[56:57], v[38:39]
	v_add_u32_e32 v2, -1, v0
	v_fmac_f64_e32 v[30:31], v[54:55], v[38:39]
	s_waitcnt vmcnt(8)
	v_fmac_f64_e32 v[14:15], v[60:61], v[50:51]
	v_fmac_f64_e32 v[16:17], v[54:55], v[40:41]
	;; [unrolled: 1-line block ×4, first 2 shown]
	v_lshl_add_u64 v[58:59], v[2:3], 4, s[8:9]
	v_fma_f64 v[30:31], -v[56:57], v[40:41], v[30:31]
	global_load_dwordx4 v[38:41], v[78:79], off offset:16
	global_load_dwordx4 v[54:57], v[78:79], off
	v_fma_f64 v[24:25], -v[60:61], v[52:53], v[24:25]
	v_add_u32_e32 v2, -10, v0
	global_load_dwordx4 v[58:61], v[58:59], off
	s_waitcnt vmcnt(10)
	v_fmac_f64_e32 v[16:17], v[36:37], v[50:51]
	v_fmac_f64_e32 v[30:31], v[34:35], v[50:51]
	;; [unrolled: 1-line block ×3, first 2 shown]
	v_lshl_add_u64 v[34:35], v[2:3], 4, s[8:9]
	v_fma_f64 v[30:31], -v[36:37], v[52:53], v[30:31]
	global_load_dwordx4 v[34:37], v[34:35], off
	v_add_u32_e32 v0, 0x50, v0
	s_waitcnt vmcnt(8)
	v_fmac_f64_e32 v[24:25], v[62:63], v[66:67]
	v_fmac_f64_e32 v[14:15], v[64:65], v[66:67]
	v_fma_f64 v[24:25], -v[64:65], v[68:69], v[24:25]
	v_fmac_f64_e32 v[14:15], v[62:63], v[68:69]
	s_waitcnt vmcnt(7)
	v_fmac_f64_e32 v[24:25], v[70:71], v[26:27]
	v_fmac_f64_e32 v[14:15], v[72:73], v[26:27]
	s_waitcnt vmcnt(6)
	v_fmac_f64_e32 v[30:31], v[42:43], v[66:67]
	v_fmac_f64_e32 v[16:17], v[44:45], v[66:67]
	v_fma_f64 v[30:31], -v[44:45], v[68:69], v[30:31]
	v_fmac_f64_e32 v[16:17], v[42:43], v[68:69]
	v_fma_f64 v[24:25], -v[72:73], v[28:29], v[24:25]
	v_fmac_f64_e32 v[14:15], v[70:71], v[28:29]
	s_waitcnt vmcnt(5)
	v_fmac_f64_e32 v[30:31], v[20:21], v[26:27]
	v_fmac_f64_e32 v[16:17], v[22:23], v[26:27]
	v_fma_f64 v[22:23], -v[22:23], v[28:29], v[30:31]
	v_fmac_f64_e32 v[16:17], v[20:21], v[28:29]
	s_waitcnt vmcnt(2)
	v_fmac_f64_e32 v[24:25], v[74:75], v[54:55]
	v_fmac_f64_e32 v[14:15], v[76:77], v[54:55]
	v_fma_f64 v[20:21], -v[76:77], v[56:57], v[24:25]
	s_waitcnt vmcnt(1)
	v_fmac_f64_e32 v[22:23], v[58:59], v[54:55]
	v_fmac_f64_e32 v[16:17], v[60:61], v[54:55]
	;; [unrolled: 1-line block ×3, first 2 shown]
	v_fma_f64 v[24:25], -v[60:61], v[56:57], v[22:23]
	v_fmac_f64_e32 v[16:17], v[58:59], v[56:57]
	v_fmac_f64_e32 v[24:25], v[46:47], v[38:39]
	s_waitcnt vmcnt(0)
	v_fmac_f64_e32 v[20:21], v[34:35], v[38:39]
	v_fmac_f64_e32 v[14:15], v[36:37], v[38:39]
	;; [unrolled: 1-line block ×3, first 2 shown]
	v_fma_f64 v[22:23], -v[36:37], v[40:41], v[20:21]
	v_fmac_f64_e32 v[14:15], v[34:35], v[40:41]
	v_fma_f64 v[20:21], -v[48:49], v[40:41], v[24:25]
	v_fmac_f64_e32 v[16:17], v[46:47], v[40:41]
	s_andn2_b64 exec, exec, s[0:1]
	s_cbranch_execnz .LBB268_17
; %bb.18:
	s_or_b64 exec, exec, s[0:1]
.LBB268_19:
	s_or_b64 exec, exec, s[4:5]
.LBB268_20:
	v_mov_b32_dpp v18, v14 row_shr:1 row_mask:0xf bank_mask:0xf
	v_mov_b32_dpp v19, v15 row_shr:1 row_mask:0xf bank_mask:0xf
	v_add_f64 v[18:19], v[14:15], v[18:19]
	v_mov_b32_dpp v14, v20 row_shr:1 row_mask:0xf bank_mask:0xf
	v_mov_b32_dpp v15, v21 row_shr:1 row_mask:0xf bank_mask:0xf
	;; [unrolled: 1-line block ×4, first 2 shown]
	v_add_f64 v[20:21], v[20:21], v[14:15]
	v_mov_b32_dpp v14, v16 row_shr:1 row_mask:0xf bank_mask:0xf
	v_mov_b32_dpp v15, v17 row_shr:1 row_mask:0xf bank_mask:0xf
	v_add_f64 v[0:1], v[22:23], v[0:1]
	v_add_f64 v[26:27], v[16:17], v[14:15]
	v_mov_b32_dpp v22, v18 row_shr:2 row_mask:0xf bank_mask:0xf
	v_mov_b32_dpp v2, v0 row_shr:2 row_mask:0xf bank_mask:0xf
	;; [unrolled: 1-line block ×8, first 2 shown]
	v_cmp_eq_u32_e32 vcc, 3, v13
	s_and_b64 exec, exec, vcc
	s_cbranch_execz .LBB268_25
; %bb.21:
	s_load_dwordx2 s[2:3], s[2:3], 0x48
	v_cmp_eq_f64_e32 vcc, 0, v[8:9]
	v_cmp_eq_f64_e64 s[0:1], 0, v[10:11]
	v_add_f64 v[14:15], v[0:1], v[2:3]
	v_add_f64 v[16:17], v[18:19], v[22:23]
	;; [unrolled: 1-line block ×4, first 2 shown]
	s_and_b64 s[0:1], vcc, s[0:1]
	s_and_saveexec_b64 s[4:5], s[0:1]
	s_xor_b64 s[0:1], exec, s[4:5]
	s_cbranch_execz .LBB268_23
; %bb.22:
	v_lshlrev_b32_e32 v12, 1, v12
	v_mul_f64 v[8:9], v[16:17], -v[6:7]
	v_mul_f64 v[10:11], v[4:5], v[16:17]
	v_ashrrev_i32_e32 v13, 31, v12
	v_fmac_f64_e32 v[8:9], v[4:5], v[14:15]
	v_fmac_f64_e32 v[10:11], v[6:7], v[14:15]
	s_waitcnt lgkmcnt(0)
	v_lshl_add_u64 v[12:13], v[12:13], 4, s[2:3]
	global_store_dwordx4 v[12:13], v[8:11], off
                                        ; implicit-def: $vgpr14_vgpr15
                                        ; implicit-def: $vgpr16_vgpr17
	s_nop 1
	v_mul_f64 v[8:9], v[2:3], -v[6:7]
	v_mul_f64 v[10:11], v[4:5], v[2:3]
	v_fmac_f64_e32 v[8:9], v[4:5], v[0:1]
	v_fmac_f64_e32 v[10:11], v[6:7], v[0:1]
	global_store_dwordx4 v[12:13], v[8:11], off offset:16
                                        ; implicit-def: $vgpr4_vgpr5
                                        ; implicit-def: $vgpr6_vgpr7
                                        ; implicit-def: $vgpr8_vgpr9
                                        ; implicit-def: $vgpr10_vgpr11
                                        ; implicit-def: $vgpr12
                                        ; implicit-def: $vgpr0_vgpr1
                                        ; implicit-def: $vgpr2_vgpr3
.LBB268_23:
	s_andn2_saveexec_b64 s[0:1], s[0:1]
	s_cbranch_execz .LBB268_25
; %bb.24:
	v_lshlrev_b32_e32 v12, 1, v12
	v_ashrrev_i32_e32 v13, 31, v12
	s_waitcnt lgkmcnt(0)
	v_lshl_add_u64 v[12:13], v[12:13], 4, s[2:3]
	global_load_dwordx4 v[18:21], v[12:13], off
	global_load_dwordx4 v[22:25], v[12:13], off offset:16
	v_mul_f64 v[26:27], v[16:17], -v[6:7]
	v_mul_f64 v[16:17], v[4:5], v[16:17]
	v_mul_f64 v[28:29], v[2:3], -v[6:7]
	v_mul_f64 v[2:3], v[4:5], v[2:3]
	v_fmac_f64_e32 v[26:27], v[4:5], v[14:15]
	v_fmac_f64_e32 v[16:17], v[6:7], v[14:15]
	;; [unrolled: 1-line block ×4, first 2 shown]
	s_waitcnt vmcnt(1)
	v_fmac_f64_e32 v[26:27], v[8:9], v[18:19]
	v_fmac_f64_e32 v[16:17], v[10:11], v[18:19]
	s_waitcnt vmcnt(0)
	v_fmac_f64_e32 v[28:29], v[8:9], v[22:23]
	v_fmac_f64_e32 v[2:3], v[10:11], v[22:23]
	v_fma_f64 v[14:15], -v[10:11], v[20:21], v[26:27]
	v_fmac_f64_e32 v[16:17], v[8:9], v[20:21]
	v_fma_f64 v[0:1], -v[10:11], v[24:25], v[28:29]
	v_fmac_f64_e32 v[2:3], v[8:9], v[24:25]
	global_store_dwordx4 v[12:13], v[14:17], off
	global_store_dwordx4 v[12:13], v[0:3], off offset:16
.LBB268_25:
	s_endpgm
	.section	.rodata,"a",@progbits
	.p2align	6, 0x0
	.amdhsa_kernel _ZN9rocsparseL19gebsrmvn_2xn_kernelILj128ELj10ELj4E21rocsparse_complex_numIdEEEvi20rocsparse_direction_NS_24const_host_device_scalarIT2_EEPKiS8_PKS5_SA_S6_PS5_21rocsparse_index_base_b
		.amdhsa_group_segment_fixed_size 2048
		.amdhsa_private_segment_fixed_size 0
		.amdhsa_kernarg_size 88
		.amdhsa_user_sgpr_count 4
		.amdhsa_user_sgpr_dispatch_ptr 1
		.amdhsa_user_sgpr_queue_ptr 0
		.amdhsa_user_sgpr_kernarg_segment_ptr 1
		.amdhsa_user_sgpr_dispatch_id 0
		.amdhsa_user_sgpr_kernarg_preload_length 0
		.amdhsa_user_sgpr_kernarg_preload_offset 0
		.amdhsa_user_sgpr_private_segment_size 0
		.amdhsa_uses_dynamic_stack 0
		.amdhsa_enable_private_segment 0
		.amdhsa_system_sgpr_workgroup_id_x 1
		.amdhsa_system_sgpr_workgroup_id_y 0
		.amdhsa_system_sgpr_workgroup_id_z 0
		.amdhsa_system_sgpr_workgroup_info 0
		.amdhsa_system_vgpr_workitem_id 2
		.amdhsa_next_free_vgpr 92
		.amdhsa_next_free_sgpr 20
		.amdhsa_accum_offset 92
		.amdhsa_reserve_vcc 1
		.amdhsa_float_round_mode_32 0
		.amdhsa_float_round_mode_16_64 0
		.amdhsa_float_denorm_mode_32 3
		.amdhsa_float_denorm_mode_16_64 3
		.amdhsa_dx10_clamp 1
		.amdhsa_ieee_mode 1
		.amdhsa_fp16_overflow 0
		.amdhsa_tg_split 0
		.amdhsa_exception_fp_ieee_invalid_op 0
		.amdhsa_exception_fp_denorm_src 0
		.amdhsa_exception_fp_ieee_div_zero 0
		.amdhsa_exception_fp_ieee_overflow 0
		.amdhsa_exception_fp_ieee_underflow 0
		.amdhsa_exception_fp_ieee_inexact 0
		.amdhsa_exception_int_div_zero 0
	.end_amdhsa_kernel
	.section	.text._ZN9rocsparseL19gebsrmvn_2xn_kernelILj128ELj10ELj4E21rocsparse_complex_numIdEEEvi20rocsparse_direction_NS_24const_host_device_scalarIT2_EEPKiS8_PKS5_SA_S6_PS5_21rocsparse_index_base_b,"axG",@progbits,_ZN9rocsparseL19gebsrmvn_2xn_kernelILj128ELj10ELj4E21rocsparse_complex_numIdEEEvi20rocsparse_direction_NS_24const_host_device_scalarIT2_EEPKiS8_PKS5_SA_S6_PS5_21rocsparse_index_base_b,comdat
.Lfunc_end268:
	.size	_ZN9rocsparseL19gebsrmvn_2xn_kernelILj128ELj10ELj4E21rocsparse_complex_numIdEEEvi20rocsparse_direction_NS_24const_host_device_scalarIT2_EEPKiS8_PKS5_SA_S6_PS5_21rocsparse_index_base_b, .Lfunc_end268-_ZN9rocsparseL19gebsrmvn_2xn_kernelILj128ELj10ELj4E21rocsparse_complex_numIdEEEvi20rocsparse_direction_NS_24const_host_device_scalarIT2_EEPKiS8_PKS5_SA_S6_PS5_21rocsparse_index_base_b
                                        ; -- End function
	.section	.AMDGPU.csdata,"",@progbits
; Kernel info:
; codeLenInByte = 2992
; NumSgprs: 26
; NumVgprs: 92
; NumAgprs: 0
; TotalNumVgprs: 92
; ScratchSize: 0
; MemoryBound: 1
; FloatMode: 240
; IeeeMode: 1
; LDSByteSize: 2048 bytes/workgroup (compile time only)
; SGPRBlocks: 3
; VGPRBlocks: 11
; NumSGPRsForWavesPerEU: 26
; NumVGPRsForWavesPerEU: 92
; AccumOffset: 92
; Occupancy: 5
; WaveLimiterHint : 1
; COMPUTE_PGM_RSRC2:SCRATCH_EN: 0
; COMPUTE_PGM_RSRC2:USER_SGPR: 4
; COMPUTE_PGM_RSRC2:TRAP_HANDLER: 0
; COMPUTE_PGM_RSRC2:TGID_X_EN: 1
; COMPUTE_PGM_RSRC2:TGID_Y_EN: 0
; COMPUTE_PGM_RSRC2:TGID_Z_EN: 0
; COMPUTE_PGM_RSRC2:TIDIG_COMP_CNT: 2
; COMPUTE_PGM_RSRC3_GFX90A:ACCUM_OFFSET: 22
; COMPUTE_PGM_RSRC3_GFX90A:TG_SPLIT: 0
	.section	.text._ZN9rocsparseL19gebsrmvn_2xn_kernelILj128ELj10ELj8E21rocsparse_complex_numIdEEEvi20rocsparse_direction_NS_24const_host_device_scalarIT2_EEPKiS8_PKS5_SA_S6_PS5_21rocsparse_index_base_b,"axG",@progbits,_ZN9rocsparseL19gebsrmvn_2xn_kernelILj128ELj10ELj8E21rocsparse_complex_numIdEEEvi20rocsparse_direction_NS_24const_host_device_scalarIT2_EEPKiS8_PKS5_SA_S6_PS5_21rocsparse_index_base_b,comdat
	.globl	_ZN9rocsparseL19gebsrmvn_2xn_kernelILj128ELj10ELj8E21rocsparse_complex_numIdEEEvi20rocsparse_direction_NS_24const_host_device_scalarIT2_EEPKiS8_PKS5_SA_S6_PS5_21rocsparse_index_base_b ; -- Begin function _ZN9rocsparseL19gebsrmvn_2xn_kernelILj128ELj10ELj8E21rocsparse_complex_numIdEEEvi20rocsparse_direction_NS_24const_host_device_scalarIT2_EEPKiS8_PKS5_SA_S6_PS5_21rocsparse_index_base_b
	.p2align	8
	.type	_ZN9rocsparseL19gebsrmvn_2xn_kernelILj128ELj10ELj8E21rocsparse_complex_numIdEEEvi20rocsparse_direction_NS_24const_host_device_scalarIT2_EEPKiS8_PKS5_SA_S6_PS5_21rocsparse_index_base_b,@function
_ZN9rocsparseL19gebsrmvn_2xn_kernelILj128ELj10ELj8E21rocsparse_complex_numIdEEEvi20rocsparse_direction_NS_24const_host_device_scalarIT2_EEPKiS8_PKS5_SA_S6_PS5_21rocsparse_index_base_b: ; @_ZN9rocsparseL19gebsrmvn_2xn_kernelILj128ELj10ELj8E21rocsparse_complex_numIdEEEvi20rocsparse_direction_NS_24const_host_device_scalarIT2_EEPKiS8_PKS5_SA_S6_PS5_21rocsparse_index_base_b
; %bb.0:
	s_load_dwordx2 s[16:17], s[2:3], 0x50
	s_load_dwordx4 s[12:15], s[2:3], 0x8
	s_load_dwordx4 s[8:11], s[2:3], 0x38
	s_load_dwordx2 s[18:19], s[0:1], 0x4
	s_mov_b64 s[6:7], src_shared_base
	s_waitcnt lgkmcnt(0)
	s_bitcmp1_b32 s17, 0
	s_cselect_b64 s[0:1], -1, 0
	s_and_b64 vcc, s[0:1], exec
	s_cselect_b32 s5, s7, s13
	s_lshr_b32 s6, s18, 16
	v_bfe_u32 v2, v0, 10, 10
	v_and_b32_e32 v1, 0x3ff, v0
	s_mul_i32 s6, s6, s19
	v_mul_u32_u24_e32 v2, s19, v2
	v_mad_u32_u24 v2, s6, v1, v2
	v_bfe_u32 v0, v0, 20, 10
	v_add_lshl_u32 v0, v2, v0, 3
	v_mov_b32_e32 v6, s12
	v_add_u32_e32 v7, 0x400, v0
	v_mov_b64_e32 v[2:3], s[12:13]
	v_mov_b64_e32 v[4:5], s[8:9]
	ds_write2st64_b64 v0, v[4:5], v[2:3] offset1:2
	v_cndmask_b32_e64 v2, v6, v7, s[0:1]
	v_mov_b32_e32 v3, s5
	flat_load_dwordx2 v[4:5], v[2:3]
	s_xor_b64 s[18:19], s[0:1], -1
	v_mov_b64_e32 v[6:7], s[14:15]
	s_cbranch_vccnz .LBB269_2
; %bb.1:
	v_mov_b64_e32 v[2:3], s[12:13]
	flat_load_dwordx2 v[6:7], v[2:3] offset:8
.LBB269_2:
	s_and_b64 s[12:13], s[0:1], exec
	s_cselect_b32 s5, s7, s9
	v_mov_b32_e32 v2, s8
	v_cndmask_b32_e64 v2, v2, v0, s[0:1]
	v_mov_b32_e32 v3, s5
	flat_load_dwordx2 v[8:9], v[2:3]
	s_andn2_b64 vcc, exec, s[18:19]
	v_mov_b64_e32 v[10:11], s[10:11]
	s_cbranch_vccnz .LBB269_4
; %bb.3:
	v_mov_b64_e32 v[2:3], s[8:9]
	flat_load_dwordx2 v[10:11], v[2:3] offset:8
.LBB269_4:
	s_waitcnt vmcnt(0) lgkmcnt(0)
	v_cmp_eq_f64_e32 vcc, 0, v[4:5]
	v_cmp_eq_f64_e64 s[0:1], 0, v[6:7]
	s_and_b64 s[8:9], vcc, s[0:1]
	s_mov_b64 s[0:1], -1
	s_and_saveexec_b64 s[6:7], s[8:9]
; %bb.5:
	v_cmp_neq_f64_e32 vcc, 1.0, v[8:9]
	v_cmp_neq_f64_e64 s[0:1], 0, v[10:11]
	s_or_b64 s[0:1], vcc, s[0:1]
	s_orn2_b64 s[0:1], s[0:1], exec
; %bb.6:
	s_or_b64 exec, exec, s[6:7]
	s_and_saveexec_b64 s[6:7], s[0:1]
	s_cbranch_execz .LBB269_25
; %bb.7:
	s_load_dwordx2 s[0:1], s[2:3], 0x0
	v_lshrrev_b32_e32 v0, 3, v1
	v_lshl_or_b32 v12, s4, 4, v0
	s_waitcnt lgkmcnt(0)
	v_cmp_gt_i32_e32 vcc, s0, v12
	s_and_b64 exec, exec, vcc
	s_cbranch_execz .LBB269_25
; %bb.8:
	s_load_dwordx8 s[4:11], s[2:3], 0x18
	v_ashrrev_i32_e32 v13, 31, v12
	s_cmp_lg_u32 s1, 0
	s_waitcnt lgkmcnt(0)
	v_lshl_add_u64 v[2:3], v[12:13], 2, s[4:5]
	global_load_dwordx2 v[2:3], v[2:3], off
	v_and_b32_e32 v13, 7, v1
	s_waitcnt vmcnt(0)
	v_subrev_u32_e32 v0, s16, v2
	v_subrev_u32_e32 v32, s16, v3
	v_add_u32_e32 v18, v0, v13
	v_cmp_lt_i32_e64 s[0:1], v18, v32
	s_cbranch_scc0 .LBB269_14
; %bb.9:
	v_mov_b64_e32 v[14:15], 0
	s_mov_b64 s[4:5], 0
	v_mov_b64_e32 v[22:23], v[14:15]
	v_mov_b64_e32 v[20:21], v[14:15]
	;; [unrolled: 1-line block ×3, first 2 shown]
	s_and_saveexec_b64 s[12:13], s[0:1]
	s_cbranch_execz .LBB269_13
; %bb.10:
	v_mad_u64_u32 v[24:25], s[14:15], v18, 20, 18
	v_mov_b64_e32 v[14:15], 0
	s_mov_b64 s[14:15], 0
	v_mov_b32_e32 v27, 0
	v_mov_b32_e32 v28, v18
	v_mov_b64_e32 v[22:23], v[14:15]
	v_mov_b64_e32 v[20:21], v[14:15]
	;; [unrolled: 1-line block ×3, first 2 shown]
.LBB269_11:                             ; =>This Inner Loop Header: Depth=1
	v_ashrrev_i32_e32 v29, 31, v28
	v_subrev_u32_e32 v26, 18, v24
	v_lshl_add_u64 v[0:1], v[28:29], 2, s[6:7]
	v_lshl_add_u64 v[2:3], v[26:27], 4, s[8:9]
	global_load_dword v19, v[0:1], off
	global_load_dwordx4 v[34:37], v[2:3], off offset:48
	global_load_dwordx4 v[38:41], v[2:3], off offset:32
	;; [unrolled: 1-line block ×3, first 2 shown]
	global_load_dwordx4 v[46:49], v[2:3], off
	v_mov_b32_e32 v31, v27
	v_mov_b32_e32 v25, v27
	v_add_u32_e32 v26, -14, v24
	v_lshl_add_u64 v[62:63], v[24:25], 4, s[8:9]
	v_lshl_add_u64 v[64:65], v[26:27], 4, s[8:9]
	global_load_dwordx4 v[0:3], v[62:63], off
	global_load_dwordx4 v[50:53], v[62:63], off offset:16
	global_load_dwordx4 v[54:57], v[64:65], off offset:16
	global_load_dwordx4 v[58:61], v[64:65], off
	v_add_u32_e32 v28, 8, v28
	v_cmp_ge_i32_e32 vcc, v28, v32
	s_or_b64 s[14:15], vcc, s[14:15]
	s_waitcnt vmcnt(8)
	v_subrev_u32_e32 v19, s16, v19
	v_mul_lo_u32 v30, v19, 10
	v_lshl_add_u64 v[70:71], v[30:31], 4, s[10:11]
	global_load_dwordx4 v[62:65], v[70:71], off
	global_load_dwordx4 v[66:69], v[70:71], off offset:16
	v_add_u32_e32 v26, 2, v30
	v_lshl_add_u64 v[78:79], v[26:27], 4, s[10:11]
	v_add_u32_e32 v26, -12, v24
	global_load_dwordx4 v[70:73], v[78:79], off
	global_load_dwordx4 v[74:77], v[78:79], off offset:16
	v_lshl_add_u64 v[86:87], v[26:27], 4, s[8:9]
	v_add_u32_e32 v26, -10, v24
	global_load_dwordx4 v[78:81], v[86:87], off offset:16
	global_load_dwordx4 v[82:85], v[86:87], off
	v_lshl_add_u64 v[86:87], v[26:27], 4, s[8:9]
	v_add_u32_e32 v26, 4, v30
	s_waitcnt vmcnt(5)
	v_fmac_f64_e32 v[22:23], v[46:47], v[62:63]
	v_fmac_f64_e32 v[14:15], v[48:49], v[62:63]
	;; [unrolled: 1-line block ×4, first 2 shown]
	v_fma_f64 v[88:89], -v[48:49], v[64:65], v[22:23]
	v_fmac_f64_e32 v[14:15], v[46:47], v[64:65]
	v_fma_f64 v[62:63], -v[44:45], v[64:65], v[20:21]
	v_fmac_f64_e32 v[16:17], v[42:43], v[64:65]
	v_lshl_add_u64 v[64:65], v[26:27], 4, s[10:11]
	global_load_dwordx4 v[46:49], v[86:87], off offset:16
	global_load_dwordx4 v[20:23], v[86:87], off
	global_load_dwordx4 v[42:45], v[64:65], off
	v_add_u32_e32 v26, -8, v24
	s_waitcnt vmcnt(7)
	v_fmac_f64_e32 v[88:89], v[38:39], v[66:67]
	v_fmac_f64_e32 v[14:15], v[40:41], v[66:67]
	v_fma_f64 v[86:87], -v[40:41], v[68:69], v[88:89]
	v_lshl_add_u64 v[88:89], v[26:27], 4, s[8:9]
	v_add_u32_e32 v26, -6, v24
	v_fmac_f64_e32 v[62:63], v[34:35], v[66:67]
	v_fmac_f64_e32 v[16:17], v[36:37], v[66:67]
	;; [unrolled: 1-line block ×3, first 2 shown]
	global_load_dwordx4 v[38:41], v[64:65], off offset:16
	v_fma_f64 v[66:67], -v[36:37], v[68:69], v[62:63]
	v_fmac_f64_e32 v[16:17], v[34:35], v[68:69]
	global_load_dwordx4 v[34:37], v[88:89], off
	global_load_dwordx4 v[62:65], v[88:89], off offset:16
	v_lshl_add_u64 v[68:69], v[26:27], 4, s[8:9]
	v_add_u32_e32 v26, 6, v30
	s_waitcnt vmcnt(9)
	v_fmac_f64_e32 v[86:87], v[58:59], v[70:71]
	v_fmac_f64_e32 v[14:15], v[60:61], v[70:71]
	;; [unrolled: 1-line block ×4, first 2 shown]
	v_lshl_add_u64 v[70:71], v[26:27], 4, s[10:11]
	v_fma_f64 v[86:87], -v[60:61], v[72:73], v[86:87]
	v_fmac_f64_e32 v[14:15], v[58:59], v[72:73]
	global_load_dwordx4 v[58:61], v[68:69], off offset:16
	v_fma_f64 v[88:89], -v[56:57], v[72:73], v[66:67]
	v_fmac_f64_e32 v[16:17], v[54:55], v[72:73]
	global_load_dwordx4 v[54:57], v[68:69], off
	v_add_u32_e32 v26, -4, v24
	global_load_dwordx4 v[66:69], v[70:71], off
	v_lshl_add_u64 v[90:91], v[26:27], 4, s[8:9]
	v_add_u32_e32 v26, -2, v24
	s_waitcnt vmcnt(9)
	v_fmac_f64_e32 v[86:87], v[82:83], v[74:75]
	v_fmac_f64_e32 v[14:15], v[84:85], v[74:75]
	;; [unrolled: 1-line block ×4, first 2 shown]
	v_fma_f64 v[84:85], -v[84:85], v[76:77], v[86:87]
	v_fmac_f64_e32 v[14:15], v[82:83], v[76:77]
	v_lshl_add_u64 v[86:87], v[26:27], 4, s[8:9]
	v_add_u32_e32 v26, 8, v30
	global_load_dwordx4 v[70:73], v[70:71], off offset:16
	v_fma_f64 v[30:31], -v[80:81], v[76:77], v[88:89]
	v_fmac_f64_e32 v[16:17], v[78:79], v[76:77]
	global_load_dwordx4 v[74:77], v[90:91], off offset:16
	global_load_dwordx4 v[78:81], v[90:91], off
	v_add_u32_e32 v24, 0xa0, v24
	s_waitcnt vmcnt(9)
	v_fmac_f64_e32 v[84:85], v[20:21], v[42:43]
	v_fmac_f64_e32 v[14:15], v[22:23], v[42:43]
	v_fma_f64 v[88:89], -v[22:23], v[44:45], v[84:85]
	v_fmac_f64_e32 v[14:15], v[20:21], v[44:45]
	global_load_dwordx4 v[20:23], v[86:87], off offset:16
	global_load_dwordx4 v[82:85], v[86:87], off
	v_fmac_f64_e32 v[30:31], v[46:47], v[42:43]
	v_fmac_f64_e32 v[16:17], v[48:49], v[42:43]
	v_lshl_add_u64 v[86:87], v[26:27], 4, s[10:11]
	v_fma_f64 v[30:31], -v[48:49], v[44:45], v[30:31]
	v_fmac_f64_e32 v[16:17], v[46:47], v[44:45]
	global_load_dwordx4 v[42:45], v[86:87], off
	global_load_dwordx4 v[46:49], v[86:87], off offset:16
	s_waitcnt vmcnt(11)
	v_fmac_f64_e32 v[88:89], v[34:35], v[38:39]
	v_fmac_f64_e32 v[14:15], v[36:37], v[38:39]
	s_waitcnt vmcnt(10)
	v_fmac_f64_e32 v[30:31], v[62:63], v[38:39]
	v_fmac_f64_e32 v[16:17], v[64:65], v[38:39]
	v_fma_f64 v[36:37], -v[36:37], v[40:41], v[88:89]
	v_fmac_f64_e32 v[14:15], v[34:35], v[40:41]
	v_fma_f64 v[30:31], -v[64:65], v[40:41], v[30:31]
	v_fmac_f64_e32 v[16:17], v[62:63], v[40:41]
	s_waitcnt vmcnt(7)
	v_fmac_f64_e32 v[36:37], v[54:55], v[66:67]
	v_fmac_f64_e32 v[14:15], v[56:57], v[66:67]
	;; [unrolled: 1-line block ×4, first 2 shown]
	v_fma_f64 v[34:35], -v[56:57], v[68:69], v[36:37]
	v_fmac_f64_e32 v[14:15], v[54:55], v[68:69]
	v_fma_f64 v[30:31], -v[60:61], v[68:69], v[30:31]
	v_fmac_f64_e32 v[16:17], v[58:59], v[68:69]
	s_waitcnt vmcnt(5)
	v_fmac_f64_e32 v[30:31], v[74:75], v[70:71]
	s_waitcnt vmcnt(4)
	v_fmac_f64_e32 v[34:35], v[78:79], v[70:71]
	v_fmac_f64_e32 v[14:15], v[80:81], v[70:71]
	v_fmac_f64_e32 v[16:17], v[76:77], v[70:71]
	v_fma_f64 v[34:35], -v[80:81], v[72:73], v[34:35]
	v_fmac_f64_e32 v[14:15], v[78:79], v[72:73]
	v_fma_f64 v[30:31], -v[76:77], v[72:73], v[30:31]
	v_fmac_f64_e32 v[16:17], v[74:75], v[72:73]
	s_waitcnt vmcnt(1)
	v_fmac_f64_e32 v[34:35], v[82:83], v[42:43]
	v_fmac_f64_e32 v[14:15], v[84:85], v[42:43]
	;; [unrolled: 1-line block ×4, first 2 shown]
	v_fma_f64 v[34:35], -v[84:85], v[44:45], v[34:35]
	v_fmac_f64_e32 v[14:15], v[82:83], v[44:45]
	v_fma_f64 v[30:31], -v[22:23], v[44:45], v[30:31]
	v_fmac_f64_e32 v[16:17], v[20:21], v[44:45]
	s_waitcnt vmcnt(0)
	v_fmac_f64_e32 v[34:35], v[0:1], v[46:47]
	v_fmac_f64_e32 v[14:15], v[2:3], v[46:47]
	;; [unrolled: 1-line block ×4, first 2 shown]
	v_fma_f64 v[22:23], -v[2:3], v[48:49], v[34:35]
	v_fmac_f64_e32 v[14:15], v[0:1], v[48:49]
	v_fma_f64 v[20:21], -v[52:53], v[48:49], v[30:31]
	v_fmac_f64_e32 v[16:17], v[50:51], v[48:49]
	s_andn2_b64 exec, exec, s[14:15]
	s_cbranch_execnz .LBB269_11
; %bb.12:
	s_or_b64 exec, exec, s[14:15]
.LBB269_13:
	s_or_b64 exec, exec, s[12:13]
	s_andn2_b64 vcc, exec, s[4:5]
	s_cbranch_vccz .LBB269_15
	s_branch .LBB269_20
.LBB269_14:
                                        ; implicit-def: $vgpr14_vgpr15
                                        ; implicit-def: $vgpr22_vgpr23
                                        ; implicit-def: $vgpr20_vgpr21
                                        ; implicit-def: $vgpr16_vgpr17
.LBB269_15:
	v_mov_b64_e32 v[14:15], 0
	v_mov_b64_e32 v[22:23], v[14:15]
	;; [unrolled: 1-line block ×4, first 2 shown]
	s_and_saveexec_b64 s[4:5], s[0:1]
	s_cbranch_execz .LBB269_19
; %bb.16:
	v_mad_u64_u32 v[0:1], s[0:1], v18, 20, 19
	v_mov_b64_e32 v[14:15], 0
	s_mov_b64 s[0:1], 0
	v_mov_b32_e32 v3, 0
	v_mov_b64_e32 v[22:23], v[14:15]
	v_mov_b64_e32 v[20:21], v[14:15]
	;; [unrolled: 1-line block ×3, first 2 shown]
.LBB269_17:                             ; =>This Inner Loop Header: Depth=1
	v_ashrrev_i32_e32 v19, 31, v18
	v_subrev_u32_e32 v2, 19, v0
	v_add_u32_e32 v26, -9, v0
	v_mov_b32_e32 v27, v3
	v_mov_b32_e32 v1, v3
	v_lshl_add_u64 v[30:31], v[18:19], 2, s[6:7]
	v_lshl_add_u64 v[46:47], v[2:3], 4, s[8:9]
	;; [unrolled: 1-line block ×4, first 2 shown]
	global_load_dword v1, v[30:31], off
	global_load_dwordx4 v[26:29], v[46:47], off offset:48
	global_load_dwordx4 v[34:37], v[46:47], off offset:32
	;; [unrolled: 1-line block ×3, first 2 shown]
	global_load_dwordx4 v[42:45], v[46:47], off
	v_add_u32_e32 v2, -8, v0
	v_mov_b32_e32 v25, v3
	v_lshl_add_u64 v[30:31], v[2:3], 4, s[8:9]
	global_load_dwordx4 v[46:49], v[60:61], off
	global_load_dwordx4 v[50:53], v[58:59], off
	;; [unrolled: 1-line block ×3, first 2 shown]
	v_add_u32_e32 v18, 8, v18
	v_cmp_ge_i32_e32 vcc, v18, v32
	s_or_b64 s[0:1], vcc, s[0:1]
	s_waitcnt vmcnt(7)
	v_subrev_u32_e32 v1, s16, v1
	v_mul_lo_u32 v24, v1, 10
	v_lshl_add_u64 v[30:31], v[24:25], 4, s[10:11]
	global_load_dwordx4 v[58:61], v[30:31], off
	global_load_dwordx4 v[62:65], v[30:31], off offset:16
	v_add_u32_e32 v2, 2, v24
	v_lshl_add_u64 v[30:31], v[2:3], 4, s[10:11]
	global_load_dwordx4 v[66:69], v[30:31], off
	global_load_dwordx4 v[70:73], v[30:31], off offset:16
	v_add_u32_e32 v2, -7, v0
	v_lshl_add_u64 v[30:31], v[2:3], 4, s[8:9]
	v_add_u32_e32 v2, -6, v0
	global_load_dwordx4 v[74:77], v[30:31], off
	v_lshl_add_u64 v[30:31], v[2:3], 4, s[8:9]
	v_add_u32_e32 v2, -15, v0
	s_waitcnt vmcnt(4)
	v_fmac_f64_e32 v[22:23], v[42:43], v[58:59]
	v_fmac_f64_e32 v[14:15], v[44:45], v[58:59]
	v_fma_f64 v[78:79], -v[44:45], v[60:61], v[22:23]
	v_fmac_f64_e32 v[14:15], v[42:43], v[60:61]
	v_lshl_add_u64 v[22:23], v[2:3], 4, s[8:9]
	v_add_u32_e32 v2, 4, v24
	v_fmac_f64_e32 v[20:21], v[50:51], v[58:59]
	v_fmac_f64_e32 v[16:17], v[52:53], v[58:59]
	global_load_dwordx4 v[42:45], v[30:31], off
	v_fma_f64 v[30:31], -v[52:53], v[60:61], v[20:21]
	v_fmac_f64_e32 v[16:17], v[50:51], v[60:61]
	v_lshl_add_u64 v[58:59], v[2:3], 4, s[10:11]
	v_add_u32_e32 v2, -5, v0
	s_waitcnt vmcnt(4)
	v_fmac_f64_e32 v[78:79], v[38:39], v[62:63]
	v_fmac_f64_e32 v[14:15], v[40:41], v[62:63]
	global_load_dwordx4 v[20:23], v[22:23], off
	v_fma_f64 v[78:79], -v[40:41], v[64:65], v[78:79]
	global_load_dwordx4 v[50:53], v[58:59], off offset:16
	v_fmac_f64_e32 v[14:15], v[38:39], v[64:65]
	global_load_dwordx4 v[38:41], v[58:59], off
	v_lshl_add_u64 v[58:59], v[2:3], 4, s[8:9]
	v_add_u32_e32 v2, -14, v0
	v_fmac_f64_e32 v[30:31], v[54:55], v[62:63]
	v_fmac_f64_e32 v[16:17], v[56:57], v[62:63]
	v_fma_f64 v[30:31], -v[56:57], v[64:65], v[30:31]
	v_fmac_f64_e32 v[16:17], v[54:55], v[64:65]
	global_load_dwordx4 v[54:57], v[58:59], off
	v_lshl_add_u64 v[58:59], v[2:3], 4, s[8:9]
	v_add_u32_e32 v2, -4, v0
	global_load_dwordx4 v[58:61], v[58:59], off
	v_lshl_add_u64 v[62:63], v[2:3], 4, s[8:9]
	s_waitcnt vmcnt(8)
	v_fmac_f64_e32 v[78:79], v[34:35], v[66:67]
	v_fmac_f64_e32 v[14:15], v[36:37], v[66:67]
	v_fma_f64 v[78:79], -v[36:37], v[68:69], v[78:79]
	v_fmac_f64_e32 v[14:15], v[34:35], v[68:69]
	global_load_dwordx4 v[34:37], v[62:63], off
	v_add_u32_e32 v2, -13, v0
	v_lshl_add_u64 v[62:63], v[2:3], 4, s[8:9]
	v_add_u32_e32 v2, 6, v24
	s_waitcnt vmcnt(7)
	v_fmac_f64_e32 v[16:17], v[76:77], v[66:67]
	v_fmac_f64_e32 v[30:31], v[74:75], v[66:67]
	;; [unrolled: 1-line block ×3, first 2 shown]
	v_lshl_add_u64 v[74:75], v[2:3], 4, s[10:11]
	v_add_u32_e32 v2, -3, v0
	v_fmac_f64_e32 v[78:79], v[26:27], v[70:71]
	v_fmac_f64_e32 v[14:15], v[28:29], v[70:71]
	v_fma_f64 v[30:31], -v[76:77], v[68:69], v[30:31]
	global_load_dwordx4 v[66:69], v[74:75], off
	v_fma_f64 v[76:77], -v[28:29], v[72:73], v[78:79]
	v_fmac_f64_e32 v[14:15], v[26:27], v[72:73]
	global_load_dwordx4 v[26:29], v[74:75], off offset:16
	v_lshl_add_u64 v[74:75], v[2:3], 4, s[8:9]
	v_add_u32_e32 v2, -12, v0
	global_load_dwordx4 v[62:65], v[62:63], off
	s_waitcnt vmcnt(9)
	v_fmac_f64_e32 v[30:31], v[42:43], v[70:71]
	v_fmac_f64_e32 v[16:17], v[44:45], v[70:71]
	v_lshl_add_u64 v[70:71], v[2:3], 4, s[8:9]
	v_add_u32_e32 v2, -2, v0
	v_fma_f64 v[30:31], -v[44:45], v[72:73], v[30:31]
	v_fmac_f64_e32 v[16:17], v[42:43], v[72:73]
	global_load_dwordx4 v[70:73], v[70:71], off
	v_lshl_add_u64 v[78:79], v[2:3], 4, s[8:9]
	global_load_dwordx4 v[42:45], v[74:75], off
	v_add_u32_e32 v2, -11, v0
	v_lshl_add_u64 v[80:81], v[2:3], 4, s[8:9]
	s_waitcnt vmcnt(8)
	v_fmac_f64_e32 v[14:15], v[22:23], v[38:39]
	v_add_u32_e32 v2, 8, v24
	v_fmac_f64_e32 v[76:77], v[20:21], v[38:39]
	v_fmac_f64_e32 v[14:15], v[20:21], v[40:41]
	v_fma_f64 v[24:25], -v[22:23], v[40:41], v[76:77]
	global_load_dwordx4 v[20:23], v[78:79], off
	global_load_dwordx4 v[74:77], v[80:81], off
	v_lshl_add_u64 v[78:79], v[2:3], 4, s[10:11]
	s_waitcnt vmcnt(9)
	v_fmac_f64_e32 v[16:17], v[56:57], v[38:39]
	v_add_u32_e32 v2, -1, v0
	v_fmac_f64_e32 v[30:31], v[54:55], v[38:39]
	s_waitcnt vmcnt(8)
	v_fmac_f64_e32 v[14:15], v[60:61], v[50:51]
	v_fmac_f64_e32 v[16:17], v[54:55], v[40:41]
	;; [unrolled: 1-line block ×4, first 2 shown]
	v_lshl_add_u64 v[58:59], v[2:3], 4, s[8:9]
	v_fma_f64 v[30:31], -v[56:57], v[40:41], v[30:31]
	global_load_dwordx4 v[38:41], v[78:79], off offset:16
	global_load_dwordx4 v[54:57], v[78:79], off
	v_fma_f64 v[24:25], -v[60:61], v[52:53], v[24:25]
	v_add_u32_e32 v2, -10, v0
	global_load_dwordx4 v[58:61], v[58:59], off
	s_waitcnt vmcnt(10)
	v_fmac_f64_e32 v[16:17], v[36:37], v[50:51]
	v_fmac_f64_e32 v[30:31], v[34:35], v[50:51]
	;; [unrolled: 1-line block ×3, first 2 shown]
	v_lshl_add_u64 v[34:35], v[2:3], 4, s[8:9]
	v_fma_f64 v[30:31], -v[36:37], v[52:53], v[30:31]
	global_load_dwordx4 v[34:37], v[34:35], off
	v_add_u32_e32 v0, 0xa0, v0
	s_waitcnt vmcnt(8)
	v_fmac_f64_e32 v[24:25], v[62:63], v[66:67]
	v_fmac_f64_e32 v[14:15], v[64:65], v[66:67]
	v_fma_f64 v[24:25], -v[64:65], v[68:69], v[24:25]
	v_fmac_f64_e32 v[14:15], v[62:63], v[68:69]
	s_waitcnt vmcnt(7)
	v_fmac_f64_e32 v[24:25], v[70:71], v[26:27]
	v_fmac_f64_e32 v[14:15], v[72:73], v[26:27]
	s_waitcnt vmcnt(6)
	v_fmac_f64_e32 v[30:31], v[42:43], v[66:67]
	v_fmac_f64_e32 v[16:17], v[44:45], v[66:67]
	v_fma_f64 v[30:31], -v[44:45], v[68:69], v[30:31]
	v_fmac_f64_e32 v[16:17], v[42:43], v[68:69]
	v_fma_f64 v[24:25], -v[72:73], v[28:29], v[24:25]
	v_fmac_f64_e32 v[14:15], v[70:71], v[28:29]
	s_waitcnt vmcnt(5)
	v_fmac_f64_e32 v[30:31], v[20:21], v[26:27]
	v_fmac_f64_e32 v[16:17], v[22:23], v[26:27]
	v_fma_f64 v[22:23], -v[22:23], v[28:29], v[30:31]
	v_fmac_f64_e32 v[16:17], v[20:21], v[28:29]
	s_waitcnt vmcnt(2)
	v_fmac_f64_e32 v[24:25], v[74:75], v[54:55]
	v_fmac_f64_e32 v[14:15], v[76:77], v[54:55]
	v_fma_f64 v[20:21], -v[76:77], v[56:57], v[24:25]
	s_waitcnt vmcnt(1)
	v_fmac_f64_e32 v[22:23], v[58:59], v[54:55]
	v_fmac_f64_e32 v[16:17], v[60:61], v[54:55]
	;; [unrolled: 1-line block ×3, first 2 shown]
	v_fma_f64 v[24:25], -v[60:61], v[56:57], v[22:23]
	v_fmac_f64_e32 v[16:17], v[58:59], v[56:57]
	v_fmac_f64_e32 v[24:25], v[46:47], v[38:39]
	s_waitcnt vmcnt(0)
	v_fmac_f64_e32 v[20:21], v[34:35], v[38:39]
	v_fmac_f64_e32 v[14:15], v[36:37], v[38:39]
	;; [unrolled: 1-line block ×3, first 2 shown]
	v_fma_f64 v[22:23], -v[36:37], v[40:41], v[20:21]
	v_fmac_f64_e32 v[14:15], v[34:35], v[40:41]
	v_fma_f64 v[20:21], -v[48:49], v[40:41], v[24:25]
	v_fmac_f64_e32 v[16:17], v[46:47], v[40:41]
	s_andn2_b64 exec, exec, s[0:1]
	s_cbranch_execnz .LBB269_17
; %bb.18:
	s_or_b64 exec, exec, s[0:1]
.LBB269_19:
	s_or_b64 exec, exec, s[4:5]
.LBB269_20:
	v_mov_b32_dpp v18, v14 row_shr:1 row_mask:0xf bank_mask:0xf
	v_mov_b32_dpp v19, v15 row_shr:1 row_mask:0xf bank_mask:0xf
	v_add_f64 v[14:15], v[14:15], v[18:19]
	v_mov_b32_dpp v0, v22 row_shr:1 row_mask:0xf bank_mask:0xf
	v_mov_b32_dpp v1, v23 row_shr:1 row_mask:0xf bank_mask:0xf
	;; [unrolled: 1-line block ×4, first 2 shown]
	v_add_f64 v[18:19], v[14:15], v[18:19]
	v_mov_b32_dpp v14, v20 row_shr:1 row_mask:0xf bank_mask:0xf
	v_mov_b32_dpp v15, v21 row_shr:1 row_mask:0xf bank_mask:0xf
	v_add_f64 v[14:15], v[20:21], v[14:15]
	v_add_f64 v[0:1], v[22:23], v[0:1]
	v_mov_b32_dpp v22, v18 row_shr:4 row_mask:0xf bank_mask:0xe
	v_mov_b32_dpp v20, v14 row_shr:2 row_mask:0xf bank_mask:0xf
	;; [unrolled: 1-line block ×3, first 2 shown]
	v_add_f64 v[20:21], v[14:15], v[20:21]
	v_mov_b32_dpp v14, v16 row_shr:1 row_mask:0xf bank_mask:0xf
	v_mov_b32_dpp v15, v17 row_shr:1 row_mask:0xf bank_mask:0xf
	v_add_f64 v[14:15], v[16:17], v[14:15]
	v_mov_b32_dpp v2, v0 row_shr:2 row_mask:0xf bank_mask:0xf
	v_mov_b32_dpp v3, v1 row_shr:2 row_mask:0xf bank_mask:0xf
	;; [unrolled: 1-line block ×4, first 2 shown]
	v_add_f64 v[0:1], v[0:1], v[2:3]
	v_add_f64 v[26:27], v[14:15], v[16:17]
	v_mov_b32_dpp v23, v19 row_shr:4 row_mask:0xf bank_mask:0xe
	v_mov_b32_dpp v2, v0 row_shr:4 row_mask:0xf bank_mask:0xe
	;; [unrolled: 1-line block ×7, first 2 shown]
	v_cmp_eq_u32_e32 vcc, 7, v13
	s_and_b64 exec, exec, vcc
	s_cbranch_execz .LBB269_25
; %bb.21:
	s_load_dwordx2 s[2:3], s[2:3], 0x48
	v_cmp_eq_f64_e32 vcc, 0, v[8:9]
	v_cmp_eq_f64_e64 s[0:1], 0, v[10:11]
	v_add_f64 v[14:15], v[0:1], v[2:3]
	v_add_f64 v[16:17], v[18:19], v[22:23]
	;; [unrolled: 1-line block ×4, first 2 shown]
	s_and_b64 s[0:1], vcc, s[0:1]
	s_and_saveexec_b64 s[4:5], s[0:1]
	s_xor_b64 s[0:1], exec, s[4:5]
	s_cbranch_execz .LBB269_23
; %bb.22:
	v_lshlrev_b32_e32 v12, 1, v12
	v_mul_f64 v[8:9], v[16:17], -v[6:7]
	v_mul_f64 v[10:11], v[4:5], v[16:17]
	v_ashrrev_i32_e32 v13, 31, v12
	v_fmac_f64_e32 v[8:9], v[4:5], v[14:15]
	v_fmac_f64_e32 v[10:11], v[6:7], v[14:15]
	s_waitcnt lgkmcnt(0)
	v_lshl_add_u64 v[12:13], v[12:13], 4, s[2:3]
	global_store_dwordx4 v[12:13], v[8:11], off
                                        ; implicit-def: $vgpr14_vgpr15
                                        ; implicit-def: $vgpr16_vgpr17
	s_nop 1
	v_mul_f64 v[8:9], v[2:3], -v[6:7]
	v_mul_f64 v[10:11], v[4:5], v[2:3]
	v_fmac_f64_e32 v[8:9], v[4:5], v[0:1]
	v_fmac_f64_e32 v[10:11], v[6:7], v[0:1]
	global_store_dwordx4 v[12:13], v[8:11], off offset:16
                                        ; implicit-def: $vgpr4_vgpr5
                                        ; implicit-def: $vgpr6_vgpr7
                                        ; implicit-def: $vgpr8_vgpr9
                                        ; implicit-def: $vgpr10_vgpr11
                                        ; implicit-def: $vgpr12
                                        ; implicit-def: $vgpr0_vgpr1
                                        ; implicit-def: $vgpr2_vgpr3
.LBB269_23:
	s_andn2_saveexec_b64 s[0:1], s[0:1]
	s_cbranch_execz .LBB269_25
; %bb.24:
	v_lshlrev_b32_e32 v12, 1, v12
	v_ashrrev_i32_e32 v13, 31, v12
	s_waitcnt lgkmcnt(0)
	v_lshl_add_u64 v[12:13], v[12:13], 4, s[2:3]
	global_load_dwordx4 v[18:21], v[12:13], off
	global_load_dwordx4 v[22:25], v[12:13], off offset:16
	v_mul_f64 v[26:27], v[16:17], -v[6:7]
	v_mul_f64 v[16:17], v[4:5], v[16:17]
	v_mul_f64 v[28:29], v[2:3], -v[6:7]
	v_mul_f64 v[2:3], v[4:5], v[2:3]
	v_fmac_f64_e32 v[26:27], v[4:5], v[14:15]
	v_fmac_f64_e32 v[16:17], v[6:7], v[14:15]
	;; [unrolled: 1-line block ×4, first 2 shown]
	s_waitcnt vmcnt(1)
	v_fmac_f64_e32 v[26:27], v[8:9], v[18:19]
	v_fmac_f64_e32 v[16:17], v[10:11], v[18:19]
	s_waitcnt vmcnt(0)
	v_fmac_f64_e32 v[28:29], v[8:9], v[22:23]
	v_fmac_f64_e32 v[2:3], v[10:11], v[22:23]
	v_fma_f64 v[14:15], -v[10:11], v[20:21], v[26:27]
	v_fmac_f64_e32 v[16:17], v[8:9], v[20:21]
	v_fma_f64 v[0:1], -v[10:11], v[24:25], v[28:29]
	v_fmac_f64_e32 v[2:3], v[8:9], v[24:25]
	global_store_dwordx4 v[12:13], v[14:17], off
	global_store_dwordx4 v[12:13], v[0:3], off offset:16
.LBB269_25:
	s_endpgm
	.section	.rodata,"a",@progbits
	.p2align	6, 0x0
	.amdhsa_kernel _ZN9rocsparseL19gebsrmvn_2xn_kernelILj128ELj10ELj8E21rocsparse_complex_numIdEEEvi20rocsparse_direction_NS_24const_host_device_scalarIT2_EEPKiS8_PKS5_SA_S6_PS5_21rocsparse_index_base_b
		.amdhsa_group_segment_fixed_size 2048
		.amdhsa_private_segment_fixed_size 0
		.amdhsa_kernarg_size 88
		.amdhsa_user_sgpr_count 4
		.amdhsa_user_sgpr_dispatch_ptr 1
		.amdhsa_user_sgpr_queue_ptr 0
		.amdhsa_user_sgpr_kernarg_segment_ptr 1
		.amdhsa_user_sgpr_dispatch_id 0
		.amdhsa_user_sgpr_kernarg_preload_length 0
		.amdhsa_user_sgpr_kernarg_preload_offset 0
		.amdhsa_user_sgpr_private_segment_size 0
		.amdhsa_uses_dynamic_stack 0
		.amdhsa_enable_private_segment 0
		.amdhsa_system_sgpr_workgroup_id_x 1
		.amdhsa_system_sgpr_workgroup_id_y 0
		.amdhsa_system_sgpr_workgroup_id_z 0
		.amdhsa_system_sgpr_workgroup_info 0
		.amdhsa_system_vgpr_workitem_id 2
		.amdhsa_next_free_vgpr 92
		.amdhsa_next_free_sgpr 20
		.amdhsa_accum_offset 92
		.amdhsa_reserve_vcc 1
		.amdhsa_float_round_mode_32 0
		.amdhsa_float_round_mode_16_64 0
		.amdhsa_float_denorm_mode_32 3
		.amdhsa_float_denorm_mode_16_64 3
		.amdhsa_dx10_clamp 1
		.amdhsa_ieee_mode 1
		.amdhsa_fp16_overflow 0
		.amdhsa_tg_split 0
		.amdhsa_exception_fp_ieee_invalid_op 0
		.amdhsa_exception_fp_denorm_src 0
		.amdhsa_exception_fp_ieee_div_zero 0
		.amdhsa_exception_fp_ieee_overflow 0
		.amdhsa_exception_fp_ieee_underflow 0
		.amdhsa_exception_fp_ieee_inexact 0
		.amdhsa_exception_int_div_zero 0
	.end_amdhsa_kernel
	.section	.text._ZN9rocsparseL19gebsrmvn_2xn_kernelILj128ELj10ELj8E21rocsparse_complex_numIdEEEvi20rocsparse_direction_NS_24const_host_device_scalarIT2_EEPKiS8_PKS5_SA_S6_PS5_21rocsparse_index_base_b,"axG",@progbits,_ZN9rocsparseL19gebsrmvn_2xn_kernelILj128ELj10ELj8E21rocsparse_complex_numIdEEEvi20rocsparse_direction_NS_24const_host_device_scalarIT2_EEPKiS8_PKS5_SA_S6_PS5_21rocsparse_index_base_b,comdat
.Lfunc_end269:
	.size	_ZN9rocsparseL19gebsrmvn_2xn_kernelILj128ELj10ELj8E21rocsparse_complex_numIdEEEvi20rocsparse_direction_NS_24const_host_device_scalarIT2_EEPKiS8_PKS5_SA_S6_PS5_21rocsparse_index_base_b, .Lfunc_end269-_ZN9rocsparseL19gebsrmvn_2xn_kernelILj128ELj10ELj8E21rocsparse_complex_numIdEEEvi20rocsparse_direction_NS_24const_host_device_scalarIT2_EEPKiS8_PKS5_SA_S6_PS5_21rocsparse_index_base_b
                                        ; -- End function
	.section	.AMDGPU.csdata,"",@progbits
; Kernel info:
; codeLenInByte = 3088
; NumSgprs: 26
; NumVgprs: 92
; NumAgprs: 0
; TotalNumVgprs: 92
; ScratchSize: 0
; MemoryBound: 1
; FloatMode: 240
; IeeeMode: 1
; LDSByteSize: 2048 bytes/workgroup (compile time only)
; SGPRBlocks: 3
; VGPRBlocks: 11
; NumSGPRsForWavesPerEU: 26
; NumVGPRsForWavesPerEU: 92
; AccumOffset: 92
; Occupancy: 5
; WaveLimiterHint : 1
; COMPUTE_PGM_RSRC2:SCRATCH_EN: 0
; COMPUTE_PGM_RSRC2:USER_SGPR: 4
; COMPUTE_PGM_RSRC2:TRAP_HANDLER: 0
; COMPUTE_PGM_RSRC2:TGID_X_EN: 1
; COMPUTE_PGM_RSRC2:TGID_Y_EN: 0
; COMPUTE_PGM_RSRC2:TGID_Z_EN: 0
; COMPUTE_PGM_RSRC2:TIDIG_COMP_CNT: 2
; COMPUTE_PGM_RSRC3_GFX90A:ACCUM_OFFSET: 22
; COMPUTE_PGM_RSRC3_GFX90A:TG_SPLIT: 0
	.section	.text._ZN9rocsparseL19gebsrmvn_2xn_kernelILj128ELj10ELj16E21rocsparse_complex_numIdEEEvi20rocsparse_direction_NS_24const_host_device_scalarIT2_EEPKiS8_PKS5_SA_S6_PS5_21rocsparse_index_base_b,"axG",@progbits,_ZN9rocsparseL19gebsrmvn_2xn_kernelILj128ELj10ELj16E21rocsparse_complex_numIdEEEvi20rocsparse_direction_NS_24const_host_device_scalarIT2_EEPKiS8_PKS5_SA_S6_PS5_21rocsparse_index_base_b,comdat
	.globl	_ZN9rocsparseL19gebsrmvn_2xn_kernelILj128ELj10ELj16E21rocsparse_complex_numIdEEEvi20rocsparse_direction_NS_24const_host_device_scalarIT2_EEPKiS8_PKS5_SA_S6_PS5_21rocsparse_index_base_b ; -- Begin function _ZN9rocsparseL19gebsrmvn_2xn_kernelILj128ELj10ELj16E21rocsparse_complex_numIdEEEvi20rocsparse_direction_NS_24const_host_device_scalarIT2_EEPKiS8_PKS5_SA_S6_PS5_21rocsparse_index_base_b
	.p2align	8
	.type	_ZN9rocsparseL19gebsrmvn_2xn_kernelILj128ELj10ELj16E21rocsparse_complex_numIdEEEvi20rocsparse_direction_NS_24const_host_device_scalarIT2_EEPKiS8_PKS5_SA_S6_PS5_21rocsparse_index_base_b,@function
_ZN9rocsparseL19gebsrmvn_2xn_kernelILj128ELj10ELj16E21rocsparse_complex_numIdEEEvi20rocsparse_direction_NS_24const_host_device_scalarIT2_EEPKiS8_PKS5_SA_S6_PS5_21rocsparse_index_base_b: ; @_ZN9rocsparseL19gebsrmvn_2xn_kernelILj128ELj10ELj16E21rocsparse_complex_numIdEEEvi20rocsparse_direction_NS_24const_host_device_scalarIT2_EEPKiS8_PKS5_SA_S6_PS5_21rocsparse_index_base_b
; %bb.0:
	s_load_dwordx2 s[16:17], s[2:3], 0x50
	s_load_dwordx4 s[12:15], s[2:3], 0x8
	s_load_dwordx4 s[8:11], s[2:3], 0x38
	s_load_dwordx2 s[18:19], s[0:1], 0x4
	s_mov_b64 s[6:7], src_shared_base
	s_waitcnt lgkmcnt(0)
	s_bitcmp1_b32 s17, 0
	s_cselect_b64 s[0:1], -1, 0
	s_and_b64 vcc, s[0:1], exec
	s_cselect_b32 s5, s7, s13
	s_lshr_b32 s6, s18, 16
	v_bfe_u32 v2, v0, 10, 10
	v_and_b32_e32 v1, 0x3ff, v0
	s_mul_i32 s6, s6, s19
	v_mul_u32_u24_e32 v2, s19, v2
	v_mad_u32_u24 v2, s6, v1, v2
	v_bfe_u32 v0, v0, 20, 10
	v_add_lshl_u32 v0, v2, v0, 3
	v_mov_b32_e32 v6, s12
	v_add_u32_e32 v7, 0x400, v0
	v_mov_b64_e32 v[2:3], s[12:13]
	v_mov_b64_e32 v[4:5], s[8:9]
	ds_write2st64_b64 v0, v[4:5], v[2:3] offset1:2
	v_cndmask_b32_e64 v2, v6, v7, s[0:1]
	v_mov_b32_e32 v3, s5
	flat_load_dwordx2 v[4:5], v[2:3]
	s_xor_b64 s[18:19], s[0:1], -1
	v_mov_b64_e32 v[6:7], s[14:15]
	s_cbranch_vccnz .LBB270_2
; %bb.1:
	v_mov_b64_e32 v[2:3], s[12:13]
	flat_load_dwordx2 v[6:7], v[2:3] offset:8
.LBB270_2:
	s_and_b64 s[12:13], s[0:1], exec
	s_cselect_b32 s5, s7, s9
	v_mov_b32_e32 v2, s8
	v_cndmask_b32_e64 v2, v2, v0, s[0:1]
	v_mov_b32_e32 v3, s5
	flat_load_dwordx2 v[8:9], v[2:3]
	s_andn2_b64 vcc, exec, s[18:19]
	v_mov_b64_e32 v[10:11], s[10:11]
	s_cbranch_vccnz .LBB270_4
; %bb.3:
	v_mov_b64_e32 v[2:3], s[8:9]
	flat_load_dwordx2 v[10:11], v[2:3] offset:8
.LBB270_4:
	s_waitcnt vmcnt(0) lgkmcnt(0)
	v_cmp_eq_f64_e32 vcc, 0, v[4:5]
	v_cmp_eq_f64_e64 s[0:1], 0, v[6:7]
	s_and_b64 s[8:9], vcc, s[0:1]
	s_mov_b64 s[0:1], -1
	s_and_saveexec_b64 s[6:7], s[8:9]
; %bb.5:
	v_cmp_neq_f64_e32 vcc, 1.0, v[8:9]
	v_cmp_neq_f64_e64 s[0:1], 0, v[10:11]
	s_or_b64 s[0:1], vcc, s[0:1]
	s_orn2_b64 s[0:1], s[0:1], exec
; %bb.6:
	s_or_b64 exec, exec, s[6:7]
	s_and_saveexec_b64 s[6:7], s[0:1]
	s_cbranch_execz .LBB270_25
; %bb.7:
	s_load_dwordx2 s[0:1], s[2:3], 0x0
	v_lshrrev_b32_e32 v0, 4, v1
	v_lshl_or_b32 v12, s4, 3, v0
	s_waitcnt lgkmcnt(0)
	v_cmp_gt_i32_e32 vcc, s0, v12
	s_and_b64 exec, exec, vcc
	s_cbranch_execz .LBB270_25
; %bb.8:
	s_load_dwordx8 s[4:11], s[2:3], 0x18
	v_ashrrev_i32_e32 v13, 31, v12
	s_cmp_lg_u32 s1, 0
	s_waitcnt lgkmcnt(0)
	v_lshl_add_u64 v[2:3], v[12:13], 2, s[4:5]
	global_load_dwordx2 v[2:3], v[2:3], off
	v_and_b32_e32 v13, 15, v1
	s_waitcnt vmcnt(0)
	v_subrev_u32_e32 v0, s16, v2
	v_subrev_u32_e32 v32, s16, v3
	v_add_u32_e32 v18, v0, v13
	v_cmp_lt_i32_e64 s[0:1], v18, v32
	s_cbranch_scc0 .LBB270_14
; %bb.9:
	v_mov_b64_e32 v[16:17], 0
	s_mov_b64 s[4:5], 0
	v_mov_b64_e32 v[22:23], v[16:17]
	v_mov_b64_e32 v[20:21], v[16:17]
	;; [unrolled: 1-line block ×3, first 2 shown]
	s_and_saveexec_b64 s[12:13], s[0:1]
	s_cbranch_execz .LBB270_13
; %bb.10:
	v_mad_u64_u32 v[24:25], s[14:15], v18, 20, 18
	v_mov_b64_e32 v[16:17], 0
	s_mov_b64 s[14:15], 0
	v_mov_b32_e32 v27, 0
	v_mov_b32_e32 v28, v18
	v_mov_b64_e32 v[22:23], v[16:17]
	v_mov_b64_e32 v[20:21], v[16:17]
	;; [unrolled: 1-line block ×3, first 2 shown]
.LBB270_11:                             ; =>This Inner Loop Header: Depth=1
	v_ashrrev_i32_e32 v29, 31, v28
	v_subrev_u32_e32 v26, 18, v24
	v_lshl_add_u64 v[0:1], v[28:29], 2, s[6:7]
	v_lshl_add_u64 v[2:3], v[26:27], 4, s[8:9]
	global_load_dword v19, v[0:1], off
	global_load_dwordx4 v[34:37], v[2:3], off offset:48
	global_load_dwordx4 v[38:41], v[2:3], off offset:32
	global_load_dwordx4 v[42:45], v[2:3], off offset:16
	global_load_dwordx4 v[46:49], v[2:3], off
	v_mov_b32_e32 v31, v27
	v_mov_b32_e32 v25, v27
	v_add_u32_e32 v26, -14, v24
	v_lshl_add_u64 v[62:63], v[24:25], 4, s[8:9]
	v_lshl_add_u64 v[64:65], v[26:27], 4, s[8:9]
	global_load_dwordx4 v[0:3], v[62:63], off
	global_load_dwordx4 v[50:53], v[62:63], off offset:16
	global_load_dwordx4 v[54:57], v[64:65], off offset:16
	global_load_dwordx4 v[58:61], v[64:65], off
	v_add_u32_e32 v28, 16, v28
	v_cmp_ge_i32_e32 vcc, v28, v32
	s_or_b64 s[14:15], vcc, s[14:15]
	s_waitcnt vmcnt(8)
	v_subrev_u32_e32 v19, s16, v19
	v_mul_lo_u32 v30, v19, 10
	v_lshl_add_u64 v[70:71], v[30:31], 4, s[10:11]
	global_load_dwordx4 v[62:65], v[70:71], off
	global_load_dwordx4 v[66:69], v[70:71], off offset:16
	v_add_u32_e32 v26, 2, v30
	v_lshl_add_u64 v[78:79], v[26:27], 4, s[10:11]
	v_add_u32_e32 v26, -12, v24
	global_load_dwordx4 v[70:73], v[78:79], off
	global_load_dwordx4 v[74:77], v[78:79], off offset:16
	v_lshl_add_u64 v[86:87], v[26:27], 4, s[8:9]
	v_add_u32_e32 v26, -10, v24
	global_load_dwordx4 v[78:81], v[86:87], off offset:16
	global_load_dwordx4 v[82:85], v[86:87], off
	v_lshl_add_u64 v[86:87], v[26:27], 4, s[8:9]
	v_add_u32_e32 v26, 4, v30
	s_waitcnt vmcnt(5)
	v_fmac_f64_e32 v[22:23], v[46:47], v[62:63]
	v_fmac_f64_e32 v[16:17], v[48:49], v[62:63]
	;; [unrolled: 1-line block ×4, first 2 shown]
	v_fma_f64 v[88:89], -v[48:49], v[64:65], v[22:23]
	v_fmac_f64_e32 v[16:17], v[46:47], v[64:65]
	v_fma_f64 v[62:63], -v[44:45], v[64:65], v[20:21]
	v_fmac_f64_e32 v[14:15], v[42:43], v[64:65]
	v_lshl_add_u64 v[64:65], v[26:27], 4, s[10:11]
	global_load_dwordx4 v[46:49], v[86:87], off offset:16
	global_load_dwordx4 v[20:23], v[86:87], off
	global_load_dwordx4 v[42:45], v[64:65], off
	v_add_u32_e32 v26, -8, v24
	s_waitcnt vmcnt(7)
	v_fmac_f64_e32 v[88:89], v[38:39], v[66:67]
	v_fmac_f64_e32 v[16:17], v[40:41], v[66:67]
	v_fma_f64 v[86:87], -v[40:41], v[68:69], v[88:89]
	v_lshl_add_u64 v[88:89], v[26:27], 4, s[8:9]
	v_add_u32_e32 v26, -6, v24
	v_fmac_f64_e32 v[62:63], v[34:35], v[66:67]
	v_fmac_f64_e32 v[14:15], v[36:37], v[66:67]
	;; [unrolled: 1-line block ×3, first 2 shown]
	global_load_dwordx4 v[38:41], v[64:65], off offset:16
	v_fma_f64 v[66:67], -v[36:37], v[68:69], v[62:63]
	v_fmac_f64_e32 v[14:15], v[34:35], v[68:69]
	global_load_dwordx4 v[34:37], v[88:89], off
	global_load_dwordx4 v[62:65], v[88:89], off offset:16
	v_lshl_add_u64 v[68:69], v[26:27], 4, s[8:9]
	v_add_u32_e32 v26, 6, v30
	s_waitcnt vmcnt(9)
	v_fmac_f64_e32 v[86:87], v[58:59], v[70:71]
	v_fmac_f64_e32 v[16:17], v[60:61], v[70:71]
	;; [unrolled: 1-line block ×4, first 2 shown]
	v_lshl_add_u64 v[70:71], v[26:27], 4, s[10:11]
	v_fma_f64 v[86:87], -v[60:61], v[72:73], v[86:87]
	v_fmac_f64_e32 v[16:17], v[58:59], v[72:73]
	global_load_dwordx4 v[58:61], v[68:69], off offset:16
	v_fma_f64 v[88:89], -v[56:57], v[72:73], v[66:67]
	v_fmac_f64_e32 v[14:15], v[54:55], v[72:73]
	global_load_dwordx4 v[54:57], v[68:69], off
	v_add_u32_e32 v26, -4, v24
	global_load_dwordx4 v[66:69], v[70:71], off
	v_lshl_add_u64 v[90:91], v[26:27], 4, s[8:9]
	v_add_u32_e32 v26, -2, v24
	s_waitcnt vmcnt(9)
	v_fmac_f64_e32 v[86:87], v[82:83], v[74:75]
	v_fmac_f64_e32 v[16:17], v[84:85], v[74:75]
	;; [unrolled: 1-line block ×4, first 2 shown]
	v_fma_f64 v[84:85], -v[84:85], v[76:77], v[86:87]
	v_fmac_f64_e32 v[16:17], v[82:83], v[76:77]
	v_lshl_add_u64 v[86:87], v[26:27], 4, s[8:9]
	v_add_u32_e32 v26, 8, v30
	global_load_dwordx4 v[70:73], v[70:71], off offset:16
	v_fma_f64 v[30:31], -v[80:81], v[76:77], v[88:89]
	v_fmac_f64_e32 v[14:15], v[78:79], v[76:77]
	global_load_dwordx4 v[74:77], v[90:91], off offset:16
	global_load_dwordx4 v[78:81], v[90:91], off
	v_add_u32_e32 v24, 0x140, v24
	s_waitcnt vmcnt(9)
	v_fmac_f64_e32 v[84:85], v[20:21], v[42:43]
	v_fmac_f64_e32 v[16:17], v[22:23], v[42:43]
	v_fma_f64 v[88:89], -v[22:23], v[44:45], v[84:85]
	v_fmac_f64_e32 v[16:17], v[20:21], v[44:45]
	global_load_dwordx4 v[20:23], v[86:87], off offset:16
	global_load_dwordx4 v[82:85], v[86:87], off
	v_fmac_f64_e32 v[30:31], v[46:47], v[42:43]
	v_fmac_f64_e32 v[14:15], v[48:49], v[42:43]
	v_lshl_add_u64 v[86:87], v[26:27], 4, s[10:11]
	v_fma_f64 v[30:31], -v[48:49], v[44:45], v[30:31]
	v_fmac_f64_e32 v[14:15], v[46:47], v[44:45]
	global_load_dwordx4 v[42:45], v[86:87], off
	global_load_dwordx4 v[46:49], v[86:87], off offset:16
	s_waitcnt vmcnt(11)
	v_fmac_f64_e32 v[88:89], v[34:35], v[38:39]
	v_fmac_f64_e32 v[16:17], v[36:37], v[38:39]
	s_waitcnt vmcnt(10)
	v_fmac_f64_e32 v[30:31], v[62:63], v[38:39]
	v_fmac_f64_e32 v[14:15], v[64:65], v[38:39]
	v_fma_f64 v[36:37], -v[36:37], v[40:41], v[88:89]
	v_fmac_f64_e32 v[16:17], v[34:35], v[40:41]
	v_fma_f64 v[30:31], -v[64:65], v[40:41], v[30:31]
	v_fmac_f64_e32 v[14:15], v[62:63], v[40:41]
	s_waitcnt vmcnt(7)
	v_fmac_f64_e32 v[36:37], v[54:55], v[66:67]
	v_fmac_f64_e32 v[16:17], v[56:57], v[66:67]
	v_fmac_f64_e32 v[30:31], v[58:59], v[66:67]
	v_fmac_f64_e32 v[14:15], v[60:61], v[66:67]
	v_fma_f64 v[34:35], -v[56:57], v[68:69], v[36:37]
	v_fmac_f64_e32 v[16:17], v[54:55], v[68:69]
	v_fma_f64 v[30:31], -v[60:61], v[68:69], v[30:31]
	v_fmac_f64_e32 v[14:15], v[58:59], v[68:69]
	s_waitcnt vmcnt(5)
	v_fmac_f64_e32 v[30:31], v[74:75], v[70:71]
	s_waitcnt vmcnt(4)
	v_fmac_f64_e32 v[34:35], v[78:79], v[70:71]
	v_fmac_f64_e32 v[16:17], v[80:81], v[70:71]
	;; [unrolled: 1-line block ×3, first 2 shown]
	v_fma_f64 v[34:35], -v[80:81], v[72:73], v[34:35]
	v_fmac_f64_e32 v[16:17], v[78:79], v[72:73]
	v_fma_f64 v[30:31], -v[76:77], v[72:73], v[30:31]
	v_fmac_f64_e32 v[14:15], v[74:75], v[72:73]
	s_waitcnt vmcnt(1)
	v_fmac_f64_e32 v[34:35], v[82:83], v[42:43]
	v_fmac_f64_e32 v[16:17], v[84:85], v[42:43]
	;; [unrolled: 1-line block ×4, first 2 shown]
	v_fma_f64 v[34:35], -v[84:85], v[44:45], v[34:35]
	v_fmac_f64_e32 v[16:17], v[82:83], v[44:45]
	v_fma_f64 v[30:31], -v[22:23], v[44:45], v[30:31]
	v_fmac_f64_e32 v[14:15], v[20:21], v[44:45]
	s_waitcnt vmcnt(0)
	v_fmac_f64_e32 v[34:35], v[0:1], v[46:47]
	v_fmac_f64_e32 v[16:17], v[2:3], v[46:47]
	;; [unrolled: 1-line block ×4, first 2 shown]
	v_fma_f64 v[22:23], -v[2:3], v[48:49], v[34:35]
	v_fmac_f64_e32 v[16:17], v[0:1], v[48:49]
	v_fma_f64 v[20:21], -v[52:53], v[48:49], v[30:31]
	v_fmac_f64_e32 v[14:15], v[50:51], v[48:49]
	s_andn2_b64 exec, exec, s[14:15]
	s_cbranch_execnz .LBB270_11
; %bb.12:
	s_or_b64 exec, exec, s[14:15]
.LBB270_13:
	s_or_b64 exec, exec, s[12:13]
	s_andn2_b64 vcc, exec, s[4:5]
	s_cbranch_vccz .LBB270_15
	s_branch .LBB270_20
.LBB270_14:
                                        ; implicit-def: $vgpr16_vgpr17
                                        ; implicit-def: $vgpr22_vgpr23
                                        ; implicit-def: $vgpr20_vgpr21
                                        ; implicit-def: $vgpr14_vgpr15
.LBB270_15:
	v_mov_b64_e32 v[16:17], 0
	v_mov_b64_e32 v[22:23], v[16:17]
	;; [unrolled: 1-line block ×4, first 2 shown]
	s_and_saveexec_b64 s[4:5], s[0:1]
	s_cbranch_execz .LBB270_19
; %bb.16:
	v_mad_u64_u32 v[0:1], s[0:1], v18, 20, 19
	v_mov_b64_e32 v[16:17], 0
	s_mov_b64 s[0:1], 0
	v_mov_b32_e32 v3, 0
	v_mov_b64_e32 v[22:23], v[16:17]
	v_mov_b64_e32 v[20:21], v[16:17]
	;; [unrolled: 1-line block ×3, first 2 shown]
.LBB270_17:                             ; =>This Inner Loop Header: Depth=1
	v_ashrrev_i32_e32 v19, 31, v18
	v_subrev_u32_e32 v2, 19, v0
	v_add_u32_e32 v26, -9, v0
	v_mov_b32_e32 v27, v3
	v_mov_b32_e32 v1, v3
	v_lshl_add_u64 v[30:31], v[18:19], 2, s[6:7]
	v_lshl_add_u64 v[46:47], v[2:3], 4, s[8:9]
	;; [unrolled: 1-line block ×4, first 2 shown]
	global_load_dword v1, v[30:31], off
	global_load_dwordx4 v[26:29], v[46:47], off offset:48
	global_load_dwordx4 v[34:37], v[46:47], off offset:32
	;; [unrolled: 1-line block ×3, first 2 shown]
	global_load_dwordx4 v[42:45], v[46:47], off
	v_add_u32_e32 v2, -8, v0
	v_mov_b32_e32 v25, v3
	v_lshl_add_u64 v[30:31], v[2:3], 4, s[8:9]
	global_load_dwordx4 v[46:49], v[60:61], off
	global_load_dwordx4 v[50:53], v[58:59], off
	;; [unrolled: 1-line block ×3, first 2 shown]
	v_add_u32_e32 v18, 16, v18
	v_cmp_ge_i32_e32 vcc, v18, v32
	s_or_b64 s[0:1], vcc, s[0:1]
	s_waitcnt vmcnt(7)
	v_subrev_u32_e32 v1, s16, v1
	v_mul_lo_u32 v24, v1, 10
	v_lshl_add_u64 v[30:31], v[24:25], 4, s[10:11]
	global_load_dwordx4 v[58:61], v[30:31], off
	global_load_dwordx4 v[62:65], v[30:31], off offset:16
	v_add_u32_e32 v2, 2, v24
	v_lshl_add_u64 v[30:31], v[2:3], 4, s[10:11]
	global_load_dwordx4 v[66:69], v[30:31], off
	global_load_dwordx4 v[70:73], v[30:31], off offset:16
	v_add_u32_e32 v2, -7, v0
	v_lshl_add_u64 v[30:31], v[2:3], 4, s[8:9]
	v_add_u32_e32 v2, -6, v0
	global_load_dwordx4 v[74:77], v[30:31], off
	v_lshl_add_u64 v[30:31], v[2:3], 4, s[8:9]
	v_add_u32_e32 v2, -15, v0
	s_waitcnt vmcnt(4)
	v_fmac_f64_e32 v[22:23], v[42:43], v[58:59]
	v_fmac_f64_e32 v[16:17], v[44:45], v[58:59]
	v_fma_f64 v[78:79], -v[44:45], v[60:61], v[22:23]
	v_fmac_f64_e32 v[16:17], v[42:43], v[60:61]
	v_lshl_add_u64 v[22:23], v[2:3], 4, s[8:9]
	v_add_u32_e32 v2, 4, v24
	v_fmac_f64_e32 v[20:21], v[50:51], v[58:59]
	v_fmac_f64_e32 v[14:15], v[52:53], v[58:59]
	global_load_dwordx4 v[42:45], v[30:31], off
	v_fma_f64 v[30:31], -v[52:53], v[60:61], v[20:21]
	v_fmac_f64_e32 v[14:15], v[50:51], v[60:61]
	v_lshl_add_u64 v[58:59], v[2:3], 4, s[10:11]
	v_add_u32_e32 v2, -5, v0
	s_waitcnt vmcnt(4)
	v_fmac_f64_e32 v[78:79], v[38:39], v[62:63]
	v_fmac_f64_e32 v[16:17], v[40:41], v[62:63]
	global_load_dwordx4 v[20:23], v[22:23], off
	v_fma_f64 v[78:79], -v[40:41], v[64:65], v[78:79]
	global_load_dwordx4 v[50:53], v[58:59], off offset:16
	v_fmac_f64_e32 v[16:17], v[38:39], v[64:65]
	global_load_dwordx4 v[38:41], v[58:59], off
	v_lshl_add_u64 v[58:59], v[2:3], 4, s[8:9]
	v_add_u32_e32 v2, -14, v0
	v_fmac_f64_e32 v[30:31], v[54:55], v[62:63]
	v_fmac_f64_e32 v[14:15], v[56:57], v[62:63]
	v_fma_f64 v[30:31], -v[56:57], v[64:65], v[30:31]
	v_fmac_f64_e32 v[14:15], v[54:55], v[64:65]
	global_load_dwordx4 v[54:57], v[58:59], off
	v_lshl_add_u64 v[58:59], v[2:3], 4, s[8:9]
	v_add_u32_e32 v2, -4, v0
	global_load_dwordx4 v[58:61], v[58:59], off
	v_lshl_add_u64 v[62:63], v[2:3], 4, s[8:9]
	s_waitcnt vmcnt(8)
	v_fmac_f64_e32 v[78:79], v[34:35], v[66:67]
	v_fmac_f64_e32 v[16:17], v[36:37], v[66:67]
	v_fma_f64 v[78:79], -v[36:37], v[68:69], v[78:79]
	v_fmac_f64_e32 v[16:17], v[34:35], v[68:69]
	global_load_dwordx4 v[34:37], v[62:63], off
	v_add_u32_e32 v2, -13, v0
	v_lshl_add_u64 v[62:63], v[2:3], 4, s[8:9]
	v_add_u32_e32 v2, 6, v24
	s_waitcnt vmcnt(7)
	v_fmac_f64_e32 v[14:15], v[76:77], v[66:67]
	v_fmac_f64_e32 v[30:31], v[74:75], v[66:67]
	;; [unrolled: 1-line block ×3, first 2 shown]
	v_lshl_add_u64 v[74:75], v[2:3], 4, s[10:11]
	v_add_u32_e32 v2, -3, v0
	v_fmac_f64_e32 v[78:79], v[26:27], v[70:71]
	v_fmac_f64_e32 v[16:17], v[28:29], v[70:71]
	v_fma_f64 v[30:31], -v[76:77], v[68:69], v[30:31]
	global_load_dwordx4 v[66:69], v[74:75], off
	v_fma_f64 v[76:77], -v[28:29], v[72:73], v[78:79]
	v_fmac_f64_e32 v[16:17], v[26:27], v[72:73]
	global_load_dwordx4 v[26:29], v[74:75], off offset:16
	v_lshl_add_u64 v[74:75], v[2:3], 4, s[8:9]
	v_add_u32_e32 v2, -12, v0
	global_load_dwordx4 v[62:65], v[62:63], off
	s_waitcnt vmcnt(9)
	v_fmac_f64_e32 v[30:31], v[42:43], v[70:71]
	v_fmac_f64_e32 v[14:15], v[44:45], v[70:71]
	v_lshl_add_u64 v[70:71], v[2:3], 4, s[8:9]
	v_add_u32_e32 v2, -2, v0
	v_fma_f64 v[30:31], -v[44:45], v[72:73], v[30:31]
	v_fmac_f64_e32 v[14:15], v[42:43], v[72:73]
	global_load_dwordx4 v[70:73], v[70:71], off
	v_lshl_add_u64 v[78:79], v[2:3], 4, s[8:9]
	global_load_dwordx4 v[42:45], v[74:75], off
	v_add_u32_e32 v2, -11, v0
	v_lshl_add_u64 v[80:81], v[2:3], 4, s[8:9]
	s_waitcnt vmcnt(8)
	v_fmac_f64_e32 v[16:17], v[22:23], v[38:39]
	v_add_u32_e32 v2, 8, v24
	v_fmac_f64_e32 v[76:77], v[20:21], v[38:39]
	v_fmac_f64_e32 v[16:17], v[20:21], v[40:41]
	v_fma_f64 v[24:25], -v[22:23], v[40:41], v[76:77]
	global_load_dwordx4 v[20:23], v[78:79], off
	global_load_dwordx4 v[74:77], v[80:81], off
	v_lshl_add_u64 v[78:79], v[2:3], 4, s[10:11]
	s_waitcnt vmcnt(9)
	v_fmac_f64_e32 v[14:15], v[56:57], v[38:39]
	v_add_u32_e32 v2, -1, v0
	v_fmac_f64_e32 v[30:31], v[54:55], v[38:39]
	s_waitcnt vmcnt(8)
	v_fmac_f64_e32 v[16:17], v[60:61], v[50:51]
	v_fmac_f64_e32 v[14:15], v[54:55], v[40:41]
	;; [unrolled: 1-line block ×4, first 2 shown]
	v_lshl_add_u64 v[58:59], v[2:3], 4, s[8:9]
	v_fma_f64 v[30:31], -v[56:57], v[40:41], v[30:31]
	global_load_dwordx4 v[38:41], v[78:79], off offset:16
	global_load_dwordx4 v[54:57], v[78:79], off
	v_fma_f64 v[24:25], -v[60:61], v[52:53], v[24:25]
	v_add_u32_e32 v2, -10, v0
	global_load_dwordx4 v[58:61], v[58:59], off
	s_waitcnt vmcnt(10)
	v_fmac_f64_e32 v[14:15], v[36:37], v[50:51]
	v_fmac_f64_e32 v[30:31], v[34:35], v[50:51]
	;; [unrolled: 1-line block ×3, first 2 shown]
	v_lshl_add_u64 v[34:35], v[2:3], 4, s[8:9]
	v_fma_f64 v[30:31], -v[36:37], v[52:53], v[30:31]
	global_load_dwordx4 v[34:37], v[34:35], off
	v_add_u32_e32 v0, 0x140, v0
	s_waitcnt vmcnt(8)
	v_fmac_f64_e32 v[24:25], v[62:63], v[66:67]
	v_fmac_f64_e32 v[16:17], v[64:65], v[66:67]
	v_fma_f64 v[24:25], -v[64:65], v[68:69], v[24:25]
	v_fmac_f64_e32 v[16:17], v[62:63], v[68:69]
	s_waitcnt vmcnt(7)
	v_fmac_f64_e32 v[24:25], v[70:71], v[26:27]
	v_fmac_f64_e32 v[16:17], v[72:73], v[26:27]
	s_waitcnt vmcnt(6)
	v_fmac_f64_e32 v[30:31], v[42:43], v[66:67]
	v_fmac_f64_e32 v[14:15], v[44:45], v[66:67]
	v_fma_f64 v[30:31], -v[44:45], v[68:69], v[30:31]
	v_fmac_f64_e32 v[14:15], v[42:43], v[68:69]
	v_fma_f64 v[24:25], -v[72:73], v[28:29], v[24:25]
	v_fmac_f64_e32 v[16:17], v[70:71], v[28:29]
	s_waitcnt vmcnt(5)
	v_fmac_f64_e32 v[30:31], v[20:21], v[26:27]
	v_fmac_f64_e32 v[14:15], v[22:23], v[26:27]
	v_fma_f64 v[22:23], -v[22:23], v[28:29], v[30:31]
	v_fmac_f64_e32 v[14:15], v[20:21], v[28:29]
	s_waitcnt vmcnt(2)
	v_fmac_f64_e32 v[24:25], v[74:75], v[54:55]
	v_fmac_f64_e32 v[16:17], v[76:77], v[54:55]
	v_fma_f64 v[20:21], -v[76:77], v[56:57], v[24:25]
	s_waitcnt vmcnt(1)
	v_fmac_f64_e32 v[22:23], v[58:59], v[54:55]
	v_fmac_f64_e32 v[14:15], v[60:61], v[54:55]
	;; [unrolled: 1-line block ×3, first 2 shown]
	v_fma_f64 v[24:25], -v[60:61], v[56:57], v[22:23]
	v_fmac_f64_e32 v[14:15], v[58:59], v[56:57]
	v_fmac_f64_e32 v[24:25], v[46:47], v[38:39]
	s_waitcnt vmcnt(0)
	v_fmac_f64_e32 v[20:21], v[34:35], v[38:39]
	v_fmac_f64_e32 v[16:17], v[36:37], v[38:39]
	;; [unrolled: 1-line block ×3, first 2 shown]
	v_fma_f64 v[22:23], -v[36:37], v[40:41], v[20:21]
	v_fmac_f64_e32 v[16:17], v[34:35], v[40:41]
	v_fma_f64 v[20:21], -v[48:49], v[40:41], v[24:25]
	v_fmac_f64_e32 v[14:15], v[46:47], v[40:41]
	s_andn2_b64 exec, exec, s[0:1]
	s_cbranch_execnz .LBB270_17
; %bb.18:
	s_or_b64 exec, exec, s[0:1]
.LBB270_19:
	s_or_b64 exec, exec, s[4:5]
.LBB270_20:
	v_mov_b32_dpp v0, v22 row_shr:1 row_mask:0xf bank_mask:0xf
	v_mov_b32_dpp v1, v23 row_shr:1 row_mask:0xf bank_mask:0xf
	v_add_f64 v[0:1], v[22:23], v[0:1]
	v_mov_b32_dpp v18, v16 row_shr:1 row_mask:0xf bank_mask:0xf
	v_mov_b32_dpp v19, v17 row_shr:1 row_mask:0xf bank_mask:0xf
	;; [unrolled: 1-line block ×6, first 2 shown]
	v_add_f64 v[16:17], v[16:17], v[18:19]
	v_add_f64 v[20:21], v[20:21], v[22:23]
	;; [unrolled: 1-line block ×3, first 2 shown]
	v_mov_b32_dpp v2, v0 row_shr:2 row_mask:0xf bank_mask:0xf
	v_mov_b32_dpp v3, v1 row_shr:2 row_mask:0xf bank_mask:0xf
	;; [unrolled: 1-line block ×8, first 2 shown]
	v_add_f64 v[0:1], v[0:1], v[2:3]
	v_add_f64 v[16:17], v[16:17], v[18:19]
	;; [unrolled: 1-line block ×4, first 2 shown]
	v_mov_b32_dpp v2, v0 row_shr:4 row_mask:0xf bank_mask:0xe
	v_mov_b32_dpp v3, v1 row_shr:4 row_mask:0xf bank_mask:0xe
	;; [unrolled: 1-line block ×8, first 2 shown]
	v_add_f64 v[0:1], v[0:1], v[2:3]
	v_add_f64 v[16:17], v[16:17], v[18:19]
	;; [unrolled: 1-line block ×4, first 2 shown]
	v_mov_b32_dpp v2, v0 row_shr:8 row_mask:0xf bank_mask:0xc
	v_mov_b32_dpp v3, v1 row_shr:8 row_mask:0xf bank_mask:0xc
	;; [unrolled: 1-line block ×8, first 2 shown]
	v_cmp_eq_u32_e32 vcc, 15, v13
	s_and_b64 exec, exec, vcc
	s_cbranch_execz .LBB270_25
; %bb.21:
	s_load_dwordx2 s[2:3], s[2:3], 0x48
	v_cmp_eq_f64_e32 vcc, 0, v[8:9]
	v_cmp_eq_f64_e64 s[0:1], 0, v[10:11]
	v_add_f64 v[14:15], v[0:1], v[2:3]
	v_add_f64 v[16:17], v[16:17], v[18:19]
	;; [unrolled: 1-line block ×4, first 2 shown]
	s_and_b64 s[0:1], vcc, s[0:1]
	s_and_saveexec_b64 s[4:5], s[0:1]
	s_xor_b64 s[0:1], exec, s[4:5]
	s_cbranch_execz .LBB270_23
; %bb.22:
	v_lshlrev_b32_e32 v12, 1, v12
	v_mul_f64 v[8:9], v[16:17], -v[6:7]
	v_mul_f64 v[10:11], v[4:5], v[16:17]
	v_ashrrev_i32_e32 v13, 31, v12
	v_fmac_f64_e32 v[8:9], v[4:5], v[14:15]
	v_fmac_f64_e32 v[10:11], v[6:7], v[14:15]
	s_waitcnt lgkmcnt(0)
	v_lshl_add_u64 v[12:13], v[12:13], 4, s[2:3]
	global_store_dwordx4 v[12:13], v[8:11], off
                                        ; implicit-def: $vgpr14_vgpr15
                                        ; implicit-def: $vgpr16_vgpr17
	s_nop 1
	v_mul_f64 v[8:9], v[2:3], -v[6:7]
	v_mul_f64 v[10:11], v[4:5], v[2:3]
	v_fmac_f64_e32 v[8:9], v[4:5], v[0:1]
	v_fmac_f64_e32 v[10:11], v[6:7], v[0:1]
	global_store_dwordx4 v[12:13], v[8:11], off offset:16
                                        ; implicit-def: $vgpr4_vgpr5
                                        ; implicit-def: $vgpr6_vgpr7
                                        ; implicit-def: $vgpr8_vgpr9
                                        ; implicit-def: $vgpr10_vgpr11
                                        ; implicit-def: $vgpr12
                                        ; implicit-def: $vgpr0_vgpr1
                                        ; implicit-def: $vgpr2_vgpr3
.LBB270_23:
	s_andn2_saveexec_b64 s[0:1], s[0:1]
	s_cbranch_execz .LBB270_25
; %bb.24:
	v_lshlrev_b32_e32 v12, 1, v12
	v_ashrrev_i32_e32 v13, 31, v12
	s_waitcnt lgkmcnt(0)
	v_lshl_add_u64 v[12:13], v[12:13], 4, s[2:3]
	global_load_dwordx4 v[18:21], v[12:13], off
	global_load_dwordx4 v[22:25], v[12:13], off offset:16
	v_mul_f64 v[26:27], v[16:17], -v[6:7]
	v_mul_f64 v[16:17], v[4:5], v[16:17]
	v_mul_f64 v[28:29], v[2:3], -v[6:7]
	v_mul_f64 v[2:3], v[4:5], v[2:3]
	v_fmac_f64_e32 v[26:27], v[4:5], v[14:15]
	v_fmac_f64_e32 v[16:17], v[6:7], v[14:15]
	;; [unrolled: 1-line block ×4, first 2 shown]
	s_waitcnt vmcnt(1)
	v_fmac_f64_e32 v[26:27], v[8:9], v[18:19]
	v_fmac_f64_e32 v[16:17], v[10:11], v[18:19]
	s_waitcnt vmcnt(0)
	v_fmac_f64_e32 v[28:29], v[8:9], v[22:23]
	v_fmac_f64_e32 v[2:3], v[10:11], v[22:23]
	v_fma_f64 v[14:15], -v[10:11], v[20:21], v[26:27]
	v_fmac_f64_e32 v[16:17], v[8:9], v[20:21]
	v_fma_f64 v[0:1], -v[10:11], v[24:25], v[28:29]
	v_fmac_f64_e32 v[2:3], v[8:9], v[24:25]
	global_store_dwordx4 v[12:13], v[14:17], off
	global_store_dwordx4 v[12:13], v[0:3], off offset:16
.LBB270_25:
	s_endpgm
	.section	.rodata,"a",@progbits
	.p2align	6, 0x0
	.amdhsa_kernel _ZN9rocsparseL19gebsrmvn_2xn_kernelILj128ELj10ELj16E21rocsparse_complex_numIdEEEvi20rocsparse_direction_NS_24const_host_device_scalarIT2_EEPKiS8_PKS5_SA_S6_PS5_21rocsparse_index_base_b
		.amdhsa_group_segment_fixed_size 2048
		.amdhsa_private_segment_fixed_size 0
		.amdhsa_kernarg_size 88
		.amdhsa_user_sgpr_count 4
		.amdhsa_user_sgpr_dispatch_ptr 1
		.amdhsa_user_sgpr_queue_ptr 0
		.amdhsa_user_sgpr_kernarg_segment_ptr 1
		.amdhsa_user_sgpr_dispatch_id 0
		.amdhsa_user_sgpr_kernarg_preload_length 0
		.amdhsa_user_sgpr_kernarg_preload_offset 0
		.amdhsa_user_sgpr_private_segment_size 0
		.amdhsa_uses_dynamic_stack 0
		.amdhsa_enable_private_segment 0
		.amdhsa_system_sgpr_workgroup_id_x 1
		.amdhsa_system_sgpr_workgroup_id_y 0
		.amdhsa_system_sgpr_workgroup_id_z 0
		.amdhsa_system_sgpr_workgroup_info 0
		.amdhsa_system_vgpr_workitem_id 2
		.amdhsa_next_free_vgpr 92
		.amdhsa_next_free_sgpr 20
		.amdhsa_accum_offset 92
		.amdhsa_reserve_vcc 1
		.amdhsa_float_round_mode_32 0
		.amdhsa_float_round_mode_16_64 0
		.amdhsa_float_denorm_mode_32 3
		.amdhsa_float_denorm_mode_16_64 3
		.amdhsa_dx10_clamp 1
		.amdhsa_ieee_mode 1
		.amdhsa_fp16_overflow 0
		.amdhsa_tg_split 0
		.amdhsa_exception_fp_ieee_invalid_op 0
		.amdhsa_exception_fp_denorm_src 0
		.amdhsa_exception_fp_ieee_div_zero 0
		.amdhsa_exception_fp_ieee_overflow 0
		.amdhsa_exception_fp_ieee_underflow 0
		.amdhsa_exception_fp_ieee_inexact 0
		.amdhsa_exception_int_div_zero 0
	.end_amdhsa_kernel
	.section	.text._ZN9rocsparseL19gebsrmvn_2xn_kernelILj128ELj10ELj16E21rocsparse_complex_numIdEEEvi20rocsparse_direction_NS_24const_host_device_scalarIT2_EEPKiS8_PKS5_SA_S6_PS5_21rocsparse_index_base_b,"axG",@progbits,_ZN9rocsparseL19gebsrmvn_2xn_kernelILj128ELj10ELj16E21rocsparse_complex_numIdEEEvi20rocsparse_direction_NS_24const_host_device_scalarIT2_EEPKiS8_PKS5_SA_S6_PS5_21rocsparse_index_base_b,comdat
.Lfunc_end270:
	.size	_ZN9rocsparseL19gebsrmvn_2xn_kernelILj128ELj10ELj16E21rocsparse_complex_numIdEEEvi20rocsparse_direction_NS_24const_host_device_scalarIT2_EEPKiS8_PKS5_SA_S6_PS5_21rocsparse_index_base_b, .Lfunc_end270-_ZN9rocsparseL19gebsrmvn_2xn_kernelILj128ELj10ELj16E21rocsparse_complex_numIdEEEvi20rocsparse_direction_NS_24const_host_device_scalarIT2_EEPKiS8_PKS5_SA_S6_PS5_21rocsparse_index_base_b
                                        ; -- End function
	.section	.AMDGPU.csdata,"",@progbits
; Kernel info:
; codeLenInByte = 3184
; NumSgprs: 26
; NumVgprs: 92
; NumAgprs: 0
; TotalNumVgprs: 92
; ScratchSize: 0
; MemoryBound: 1
; FloatMode: 240
; IeeeMode: 1
; LDSByteSize: 2048 bytes/workgroup (compile time only)
; SGPRBlocks: 3
; VGPRBlocks: 11
; NumSGPRsForWavesPerEU: 26
; NumVGPRsForWavesPerEU: 92
; AccumOffset: 92
; Occupancy: 5
; WaveLimiterHint : 1
; COMPUTE_PGM_RSRC2:SCRATCH_EN: 0
; COMPUTE_PGM_RSRC2:USER_SGPR: 4
; COMPUTE_PGM_RSRC2:TRAP_HANDLER: 0
; COMPUTE_PGM_RSRC2:TGID_X_EN: 1
; COMPUTE_PGM_RSRC2:TGID_Y_EN: 0
; COMPUTE_PGM_RSRC2:TGID_Z_EN: 0
; COMPUTE_PGM_RSRC2:TIDIG_COMP_CNT: 2
; COMPUTE_PGM_RSRC3_GFX90A:ACCUM_OFFSET: 22
; COMPUTE_PGM_RSRC3_GFX90A:TG_SPLIT: 0
	.section	.text._ZN9rocsparseL19gebsrmvn_2xn_kernelILj128ELj10ELj32E21rocsparse_complex_numIdEEEvi20rocsparse_direction_NS_24const_host_device_scalarIT2_EEPKiS8_PKS5_SA_S6_PS5_21rocsparse_index_base_b,"axG",@progbits,_ZN9rocsparseL19gebsrmvn_2xn_kernelILj128ELj10ELj32E21rocsparse_complex_numIdEEEvi20rocsparse_direction_NS_24const_host_device_scalarIT2_EEPKiS8_PKS5_SA_S6_PS5_21rocsparse_index_base_b,comdat
	.globl	_ZN9rocsparseL19gebsrmvn_2xn_kernelILj128ELj10ELj32E21rocsparse_complex_numIdEEEvi20rocsparse_direction_NS_24const_host_device_scalarIT2_EEPKiS8_PKS5_SA_S6_PS5_21rocsparse_index_base_b ; -- Begin function _ZN9rocsparseL19gebsrmvn_2xn_kernelILj128ELj10ELj32E21rocsparse_complex_numIdEEEvi20rocsparse_direction_NS_24const_host_device_scalarIT2_EEPKiS8_PKS5_SA_S6_PS5_21rocsparse_index_base_b
	.p2align	8
	.type	_ZN9rocsparseL19gebsrmvn_2xn_kernelILj128ELj10ELj32E21rocsparse_complex_numIdEEEvi20rocsparse_direction_NS_24const_host_device_scalarIT2_EEPKiS8_PKS5_SA_S6_PS5_21rocsparse_index_base_b,@function
_ZN9rocsparseL19gebsrmvn_2xn_kernelILj128ELj10ELj32E21rocsparse_complex_numIdEEEvi20rocsparse_direction_NS_24const_host_device_scalarIT2_EEPKiS8_PKS5_SA_S6_PS5_21rocsparse_index_base_b: ; @_ZN9rocsparseL19gebsrmvn_2xn_kernelILj128ELj10ELj32E21rocsparse_complex_numIdEEEvi20rocsparse_direction_NS_24const_host_device_scalarIT2_EEPKiS8_PKS5_SA_S6_PS5_21rocsparse_index_base_b
; %bb.0:
	s_load_dwordx2 s[16:17], s[2:3], 0x50
	s_load_dwordx4 s[12:15], s[2:3], 0x8
	s_load_dwordx4 s[8:11], s[2:3], 0x38
	s_load_dwordx2 s[18:19], s[0:1], 0x4
	s_mov_b64 s[6:7], src_shared_base
	s_waitcnt lgkmcnt(0)
	s_bitcmp1_b32 s17, 0
	s_cselect_b64 s[0:1], -1, 0
	s_and_b64 vcc, s[0:1], exec
	s_cselect_b32 s5, s7, s13
	s_lshr_b32 s6, s18, 16
	v_bfe_u32 v2, v0, 10, 10
	v_and_b32_e32 v1, 0x3ff, v0
	s_mul_i32 s6, s6, s19
	v_mul_u32_u24_e32 v2, s19, v2
	v_mad_u32_u24 v2, s6, v1, v2
	v_bfe_u32 v0, v0, 20, 10
	v_add_lshl_u32 v0, v2, v0, 3
	v_mov_b32_e32 v6, s12
	v_add_u32_e32 v7, 0x400, v0
	v_mov_b64_e32 v[2:3], s[12:13]
	v_mov_b64_e32 v[4:5], s[8:9]
	ds_write2st64_b64 v0, v[4:5], v[2:3] offset1:2
	v_cndmask_b32_e64 v2, v6, v7, s[0:1]
	v_mov_b32_e32 v3, s5
	flat_load_dwordx2 v[4:5], v[2:3]
	s_xor_b64 s[18:19], s[0:1], -1
	v_mov_b64_e32 v[6:7], s[14:15]
	s_cbranch_vccnz .LBB271_2
; %bb.1:
	v_mov_b64_e32 v[2:3], s[12:13]
	flat_load_dwordx2 v[6:7], v[2:3] offset:8
.LBB271_2:
	s_and_b64 s[12:13], s[0:1], exec
	s_cselect_b32 s5, s7, s9
	v_mov_b32_e32 v2, s8
	v_cndmask_b32_e64 v2, v2, v0, s[0:1]
	v_mov_b32_e32 v3, s5
	flat_load_dwordx2 v[8:9], v[2:3]
	s_andn2_b64 vcc, exec, s[18:19]
	v_mov_b64_e32 v[10:11], s[10:11]
	s_cbranch_vccnz .LBB271_4
; %bb.3:
	v_mov_b64_e32 v[2:3], s[8:9]
	flat_load_dwordx2 v[10:11], v[2:3] offset:8
.LBB271_4:
	s_waitcnt vmcnt(0) lgkmcnt(0)
	v_cmp_eq_f64_e32 vcc, 0, v[4:5]
	v_cmp_eq_f64_e64 s[0:1], 0, v[6:7]
	s_and_b64 s[8:9], vcc, s[0:1]
	s_mov_b64 s[0:1], -1
	s_and_saveexec_b64 s[6:7], s[8:9]
; %bb.5:
	v_cmp_neq_f64_e32 vcc, 1.0, v[8:9]
	v_cmp_neq_f64_e64 s[0:1], 0, v[10:11]
	s_or_b64 s[0:1], vcc, s[0:1]
	s_orn2_b64 s[0:1], s[0:1], exec
; %bb.6:
	s_or_b64 exec, exec, s[6:7]
	s_and_saveexec_b64 s[6:7], s[0:1]
	s_cbranch_execz .LBB271_25
; %bb.7:
	s_load_dwordx2 s[0:1], s[2:3], 0x0
	v_lshrrev_b32_e32 v0, 5, v1
	v_lshl_or_b32 v12, s4, 2, v0
	s_waitcnt lgkmcnt(0)
	v_cmp_gt_i32_e32 vcc, s0, v12
	s_and_b64 exec, exec, vcc
	s_cbranch_execz .LBB271_25
; %bb.8:
	s_load_dwordx8 s[4:11], s[2:3], 0x18
	v_ashrrev_i32_e32 v13, 31, v12
	s_cmp_lg_u32 s1, 0
	s_waitcnt lgkmcnt(0)
	v_lshl_add_u64 v[2:3], v[12:13], 2, s[4:5]
	global_load_dwordx2 v[2:3], v[2:3], off
	v_and_b32_e32 v13, 31, v1
	s_waitcnt vmcnt(0)
	v_subrev_u32_e32 v0, s16, v2
	v_subrev_u32_e32 v32, s16, v3
	v_add_u32_e32 v18, v0, v13
	v_cmp_lt_i32_e64 s[0:1], v18, v32
	s_cbranch_scc0 .LBB271_14
; %bb.9:
	v_mov_b64_e32 v[16:17], 0
	s_mov_b64 s[4:5], 0
	v_mov_b64_e32 v[22:23], v[16:17]
	v_mov_b64_e32 v[20:21], v[16:17]
	;; [unrolled: 1-line block ×3, first 2 shown]
	s_and_saveexec_b64 s[12:13], s[0:1]
	s_cbranch_execz .LBB271_13
; %bb.10:
	v_mad_u64_u32 v[24:25], s[14:15], v18, 20, 18
	v_mov_b64_e32 v[16:17], 0
	s_mov_b64 s[14:15], 0
	v_mov_b32_e32 v27, 0
	v_mov_b32_e32 v28, v18
	v_mov_b64_e32 v[22:23], v[16:17]
	v_mov_b64_e32 v[20:21], v[16:17]
	;; [unrolled: 1-line block ×3, first 2 shown]
.LBB271_11:                             ; =>This Inner Loop Header: Depth=1
	v_ashrrev_i32_e32 v29, 31, v28
	v_subrev_u32_e32 v26, 18, v24
	v_lshl_add_u64 v[0:1], v[28:29], 2, s[6:7]
	v_lshl_add_u64 v[2:3], v[26:27], 4, s[8:9]
	global_load_dword v19, v[0:1], off
	global_load_dwordx4 v[34:37], v[2:3], off offset:48
	global_load_dwordx4 v[38:41], v[2:3], off offset:32
	;; [unrolled: 1-line block ×3, first 2 shown]
	global_load_dwordx4 v[46:49], v[2:3], off
	v_mov_b32_e32 v31, v27
	v_mov_b32_e32 v25, v27
	v_add_u32_e32 v26, -14, v24
	v_lshl_add_u64 v[62:63], v[24:25], 4, s[8:9]
	v_lshl_add_u64 v[64:65], v[26:27], 4, s[8:9]
	global_load_dwordx4 v[0:3], v[62:63], off
	global_load_dwordx4 v[50:53], v[62:63], off offset:16
	global_load_dwordx4 v[54:57], v[64:65], off offset:16
	global_load_dwordx4 v[58:61], v[64:65], off
	v_add_u32_e32 v28, 32, v28
	v_cmp_ge_i32_e32 vcc, v28, v32
	s_or_b64 s[14:15], vcc, s[14:15]
	s_waitcnt vmcnt(8)
	v_subrev_u32_e32 v19, s16, v19
	v_mul_lo_u32 v30, v19, 10
	v_lshl_add_u64 v[70:71], v[30:31], 4, s[10:11]
	global_load_dwordx4 v[62:65], v[70:71], off
	global_load_dwordx4 v[66:69], v[70:71], off offset:16
	v_add_u32_e32 v26, 2, v30
	v_lshl_add_u64 v[78:79], v[26:27], 4, s[10:11]
	v_add_u32_e32 v26, -12, v24
	global_load_dwordx4 v[70:73], v[78:79], off
	global_load_dwordx4 v[74:77], v[78:79], off offset:16
	v_lshl_add_u64 v[86:87], v[26:27], 4, s[8:9]
	v_add_u32_e32 v26, -10, v24
	global_load_dwordx4 v[78:81], v[86:87], off offset:16
	global_load_dwordx4 v[82:85], v[86:87], off
	v_lshl_add_u64 v[86:87], v[26:27], 4, s[8:9]
	v_add_u32_e32 v26, 4, v30
	s_waitcnt vmcnt(5)
	v_fmac_f64_e32 v[22:23], v[46:47], v[62:63]
	v_fmac_f64_e32 v[16:17], v[48:49], v[62:63]
	;; [unrolled: 1-line block ×4, first 2 shown]
	v_fma_f64 v[88:89], -v[48:49], v[64:65], v[22:23]
	v_fmac_f64_e32 v[16:17], v[46:47], v[64:65]
	v_fma_f64 v[62:63], -v[44:45], v[64:65], v[20:21]
	v_fmac_f64_e32 v[14:15], v[42:43], v[64:65]
	v_lshl_add_u64 v[64:65], v[26:27], 4, s[10:11]
	global_load_dwordx4 v[46:49], v[86:87], off offset:16
	global_load_dwordx4 v[20:23], v[86:87], off
	global_load_dwordx4 v[42:45], v[64:65], off
	v_add_u32_e32 v26, -8, v24
	s_waitcnt vmcnt(7)
	v_fmac_f64_e32 v[88:89], v[38:39], v[66:67]
	v_fmac_f64_e32 v[16:17], v[40:41], v[66:67]
	v_fma_f64 v[86:87], -v[40:41], v[68:69], v[88:89]
	v_lshl_add_u64 v[88:89], v[26:27], 4, s[8:9]
	v_add_u32_e32 v26, -6, v24
	v_fmac_f64_e32 v[62:63], v[34:35], v[66:67]
	v_fmac_f64_e32 v[14:15], v[36:37], v[66:67]
	;; [unrolled: 1-line block ×3, first 2 shown]
	global_load_dwordx4 v[38:41], v[64:65], off offset:16
	v_fma_f64 v[66:67], -v[36:37], v[68:69], v[62:63]
	v_fmac_f64_e32 v[14:15], v[34:35], v[68:69]
	global_load_dwordx4 v[34:37], v[88:89], off
	global_load_dwordx4 v[62:65], v[88:89], off offset:16
	v_lshl_add_u64 v[68:69], v[26:27], 4, s[8:9]
	v_add_u32_e32 v26, 6, v30
	s_waitcnt vmcnt(9)
	v_fmac_f64_e32 v[86:87], v[58:59], v[70:71]
	v_fmac_f64_e32 v[16:17], v[60:61], v[70:71]
	;; [unrolled: 1-line block ×4, first 2 shown]
	v_lshl_add_u64 v[70:71], v[26:27], 4, s[10:11]
	v_fma_f64 v[86:87], -v[60:61], v[72:73], v[86:87]
	v_fmac_f64_e32 v[16:17], v[58:59], v[72:73]
	global_load_dwordx4 v[58:61], v[68:69], off offset:16
	v_fma_f64 v[88:89], -v[56:57], v[72:73], v[66:67]
	v_fmac_f64_e32 v[14:15], v[54:55], v[72:73]
	global_load_dwordx4 v[54:57], v[68:69], off
	v_add_u32_e32 v26, -4, v24
	global_load_dwordx4 v[66:69], v[70:71], off
	v_lshl_add_u64 v[90:91], v[26:27], 4, s[8:9]
	v_add_u32_e32 v26, -2, v24
	s_waitcnt vmcnt(9)
	v_fmac_f64_e32 v[86:87], v[82:83], v[74:75]
	v_fmac_f64_e32 v[16:17], v[84:85], v[74:75]
	;; [unrolled: 1-line block ×4, first 2 shown]
	v_fma_f64 v[84:85], -v[84:85], v[76:77], v[86:87]
	v_fmac_f64_e32 v[16:17], v[82:83], v[76:77]
	v_lshl_add_u64 v[86:87], v[26:27], 4, s[8:9]
	v_add_u32_e32 v26, 8, v30
	global_load_dwordx4 v[70:73], v[70:71], off offset:16
	v_fma_f64 v[30:31], -v[80:81], v[76:77], v[88:89]
	v_fmac_f64_e32 v[14:15], v[78:79], v[76:77]
	global_load_dwordx4 v[74:77], v[90:91], off offset:16
	global_load_dwordx4 v[78:81], v[90:91], off
	v_add_u32_e32 v24, 0x280, v24
	s_waitcnt vmcnt(9)
	v_fmac_f64_e32 v[84:85], v[20:21], v[42:43]
	v_fmac_f64_e32 v[16:17], v[22:23], v[42:43]
	v_fma_f64 v[88:89], -v[22:23], v[44:45], v[84:85]
	v_fmac_f64_e32 v[16:17], v[20:21], v[44:45]
	global_load_dwordx4 v[20:23], v[86:87], off offset:16
	global_load_dwordx4 v[82:85], v[86:87], off
	v_fmac_f64_e32 v[30:31], v[46:47], v[42:43]
	v_fmac_f64_e32 v[14:15], v[48:49], v[42:43]
	v_lshl_add_u64 v[86:87], v[26:27], 4, s[10:11]
	v_fma_f64 v[30:31], -v[48:49], v[44:45], v[30:31]
	v_fmac_f64_e32 v[14:15], v[46:47], v[44:45]
	global_load_dwordx4 v[42:45], v[86:87], off
	global_load_dwordx4 v[46:49], v[86:87], off offset:16
	s_waitcnt vmcnt(11)
	v_fmac_f64_e32 v[88:89], v[34:35], v[38:39]
	v_fmac_f64_e32 v[16:17], v[36:37], v[38:39]
	s_waitcnt vmcnt(10)
	v_fmac_f64_e32 v[30:31], v[62:63], v[38:39]
	v_fmac_f64_e32 v[14:15], v[64:65], v[38:39]
	v_fma_f64 v[36:37], -v[36:37], v[40:41], v[88:89]
	v_fmac_f64_e32 v[16:17], v[34:35], v[40:41]
	v_fma_f64 v[30:31], -v[64:65], v[40:41], v[30:31]
	v_fmac_f64_e32 v[14:15], v[62:63], v[40:41]
	s_waitcnt vmcnt(7)
	v_fmac_f64_e32 v[36:37], v[54:55], v[66:67]
	v_fmac_f64_e32 v[16:17], v[56:57], v[66:67]
	;; [unrolled: 1-line block ×4, first 2 shown]
	v_fma_f64 v[34:35], -v[56:57], v[68:69], v[36:37]
	v_fmac_f64_e32 v[16:17], v[54:55], v[68:69]
	v_fma_f64 v[30:31], -v[60:61], v[68:69], v[30:31]
	v_fmac_f64_e32 v[14:15], v[58:59], v[68:69]
	s_waitcnt vmcnt(5)
	v_fmac_f64_e32 v[30:31], v[74:75], v[70:71]
	s_waitcnt vmcnt(4)
	v_fmac_f64_e32 v[34:35], v[78:79], v[70:71]
	v_fmac_f64_e32 v[16:17], v[80:81], v[70:71]
	;; [unrolled: 1-line block ×3, first 2 shown]
	v_fma_f64 v[34:35], -v[80:81], v[72:73], v[34:35]
	v_fmac_f64_e32 v[16:17], v[78:79], v[72:73]
	v_fma_f64 v[30:31], -v[76:77], v[72:73], v[30:31]
	v_fmac_f64_e32 v[14:15], v[74:75], v[72:73]
	s_waitcnt vmcnt(1)
	v_fmac_f64_e32 v[34:35], v[82:83], v[42:43]
	v_fmac_f64_e32 v[16:17], v[84:85], v[42:43]
	;; [unrolled: 1-line block ×4, first 2 shown]
	v_fma_f64 v[34:35], -v[84:85], v[44:45], v[34:35]
	v_fmac_f64_e32 v[16:17], v[82:83], v[44:45]
	v_fma_f64 v[30:31], -v[22:23], v[44:45], v[30:31]
	v_fmac_f64_e32 v[14:15], v[20:21], v[44:45]
	s_waitcnt vmcnt(0)
	v_fmac_f64_e32 v[34:35], v[0:1], v[46:47]
	v_fmac_f64_e32 v[16:17], v[2:3], v[46:47]
	;; [unrolled: 1-line block ×4, first 2 shown]
	v_fma_f64 v[22:23], -v[2:3], v[48:49], v[34:35]
	v_fmac_f64_e32 v[16:17], v[0:1], v[48:49]
	v_fma_f64 v[20:21], -v[52:53], v[48:49], v[30:31]
	v_fmac_f64_e32 v[14:15], v[50:51], v[48:49]
	s_andn2_b64 exec, exec, s[14:15]
	s_cbranch_execnz .LBB271_11
; %bb.12:
	s_or_b64 exec, exec, s[14:15]
.LBB271_13:
	s_or_b64 exec, exec, s[12:13]
	s_andn2_b64 vcc, exec, s[4:5]
	s_cbranch_vccz .LBB271_15
	s_branch .LBB271_20
.LBB271_14:
                                        ; implicit-def: $vgpr16_vgpr17
                                        ; implicit-def: $vgpr22_vgpr23
                                        ; implicit-def: $vgpr20_vgpr21
                                        ; implicit-def: $vgpr14_vgpr15
.LBB271_15:
	v_mov_b64_e32 v[16:17], 0
	v_mov_b64_e32 v[22:23], v[16:17]
	;; [unrolled: 1-line block ×4, first 2 shown]
	s_and_saveexec_b64 s[4:5], s[0:1]
	s_cbranch_execz .LBB271_19
; %bb.16:
	v_mad_u64_u32 v[0:1], s[0:1], v18, 20, 19
	v_mov_b64_e32 v[16:17], 0
	s_mov_b64 s[0:1], 0
	v_mov_b32_e32 v3, 0
	v_mov_b64_e32 v[22:23], v[16:17]
	v_mov_b64_e32 v[20:21], v[16:17]
	;; [unrolled: 1-line block ×3, first 2 shown]
.LBB271_17:                             ; =>This Inner Loop Header: Depth=1
	v_ashrrev_i32_e32 v19, 31, v18
	v_subrev_u32_e32 v2, 19, v0
	v_add_u32_e32 v26, -9, v0
	v_mov_b32_e32 v27, v3
	v_mov_b32_e32 v1, v3
	v_lshl_add_u64 v[30:31], v[18:19], 2, s[6:7]
	v_lshl_add_u64 v[46:47], v[2:3], 4, s[8:9]
	;; [unrolled: 1-line block ×4, first 2 shown]
	global_load_dword v1, v[30:31], off
	global_load_dwordx4 v[26:29], v[46:47], off offset:48
	global_load_dwordx4 v[34:37], v[46:47], off offset:32
	;; [unrolled: 1-line block ×3, first 2 shown]
	global_load_dwordx4 v[42:45], v[46:47], off
	v_add_u32_e32 v2, -8, v0
	v_mov_b32_e32 v25, v3
	v_lshl_add_u64 v[30:31], v[2:3], 4, s[8:9]
	global_load_dwordx4 v[46:49], v[60:61], off
	global_load_dwordx4 v[50:53], v[58:59], off
	;; [unrolled: 1-line block ×3, first 2 shown]
	v_add_u32_e32 v18, 32, v18
	v_cmp_ge_i32_e32 vcc, v18, v32
	s_or_b64 s[0:1], vcc, s[0:1]
	s_waitcnt vmcnt(7)
	v_subrev_u32_e32 v1, s16, v1
	v_mul_lo_u32 v24, v1, 10
	v_lshl_add_u64 v[30:31], v[24:25], 4, s[10:11]
	global_load_dwordx4 v[58:61], v[30:31], off
	global_load_dwordx4 v[62:65], v[30:31], off offset:16
	v_add_u32_e32 v2, 2, v24
	v_lshl_add_u64 v[30:31], v[2:3], 4, s[10:11]
	global_load_dwordx4 v[66:69], v[30:31], off
	global_load_dwordx4 v[70:73], v[30:31], off offset:16
	v_add_u32_e32 v2, -7, v0
	v_lshl_add_u64 v[30:31], v[2:3], 4, s[8:9]
	v_add_u32_e32 v2, -6, v0
	global_load_dwordx4 v[74:77], v[30:31], off
	v_lshl_add_u64 v[30:31], v[2:3], 4, s[8:9]
	v_add_u32_e32 v2, -15, v0
	s_waitcnt vmcnt(4)
	v_fmac_f64_e32 v[22:23], v[42:43], v[58:59]
	v_fmac_f64_e32 v[16:17], v[44:45], v[58:59]
	v_fma_f64 v[78:79], -v[44:45], v[60:61], v[22:23]
	v_fmac_f64_e32 v[16:17], v[42:43], v[60:61]
	v_lshl_add_u64 v[22:23], v[2:3], 4, s[8:9]
	v_add_u32_e32 v2, 4, v24
	v_fmac_f64_e32 v[20:21], v[50:51], v[58:59]
	v_fmac_f64_e32 v[14:15], v[52:53], v[58:59]
	global_load_dwordx4 v[42:45], v[30:31], off
	v_fma_f64 v[30:31], -v[52:53], v[60:61], v[20:21]
	v_fmac_f64_e32 v[14:15], v[50:51], v[60:61]
	v_lshl_add_u64 v[58:59], v[2:3], 4, s[10:11]
	v_add_u32_e32 v2, -5, v0
	s_waitcnt vmcnt(4)
	v_fmac_f64_e32 v[78:79], v[38:39], v[62:63]
	v_fmac_f64_e32 v[16:17], v[40:41], v[62:63]
	global_load_dwordx4 v[20:23], v[22:23], off
	v_fma_f64 v[78:79], -v[40:41], v[64:65], v[78:79]
	global_load_dwordx4 v[50:53], v[58:59], off offset:16
	v_fmac_f64_e32 v[16:17], v[38:39], v[64:65]
	global_load_dwordx4 v[38:41], v[58:59], off
	v_lshl_add_u64 v[58:59], v[2:3], 4, s[8:9]
	v_add_u32_e32 v2, -14, v0
	v_fmac_f64_e32 v[30:31], v[54:55], v[62:63]
	v_fmac_f64_e32 v[14:15], v[56:57], v[62:63]
	v_fma_f64 v[30:31], -v[56:57], v[64:65], v[30:31]
	v_fmac_f64_e32 v[14:15], v[54:55], v[64:65]
	global_load_dwordx4 v[54:57], v[58:59], off
	v_lshl_add_u64 v[58:59], v[2:3], 4, s[8:9]
	v_add_u32_e32 v2, -4, v0
	global_load_dwordx4 v[58:61], v[58:59], off
	v_lshl_add_u64 v[62:63], v[2:3], 4, s[8:9]
	s_waitcnt vmcnt(8)
	v_fmac_f64_e32 v[78:79], v[34:35], v[66:67]
	v_fmac_f64_e32 v[16:17], v[36:37], v[66:67]
	v_fma_f64 v[78:79], -v[36:37], v[68:69], v[78:79]
	v_fmac_f64_e32 v[16:17], v[34:35], v[68:69]
	global_load_dwordx4 v[34:37], v[62:63], off
	v_add_u32_e32 v2, -13, v0
	v_lshl_add_u64 v[62:63], v[2:3], 4, s[8:9]
	v_add_u32_e32 v2, 6, v24
	s_waitcnt vmcnt(7)
	v_fmac_f64_e32 v[14:15], v[76:77], v[66:67]
	v_fmac_f64_e32 v[30:31], v[74:75], v[66:67]
	v_fmac_f64_e32 v[14:15], v[74:75], v[68:69]
	v_lshl_add_u64 v[74:75], v[2:3], 4, s[10:11]
	v_add_u32_e32 v2, -3, v0
	v_fmac_f64_e32 v[78:79], v[26:27], v[70:71]
	v_fmac_f64_e32 v[16:17], v[28:29], v[70:71]
	v_fma_f64 v[30:31], -v[76:77], v[68:69], v[30:31]
	global_load_dwordx4 v[66:69], v[74:75], off
	v_fma_f64 v[76:77], -v[28:29], v[72:73], v[78:79]
	v_fmac_f64_e32 v[16:17], v[26:27], v[72:73]
	global_load_dwordx4 v[26:29], v[74:75], off offset:16
	v_lshl_add_u64 v[74:75], v[2:3], 4, s[8:9]
	v_add_u32_e32 v2, -12, v0
	global_load_dwordx4 v[62:65], v[62:63], off
	s_waitcnt vmcnt(9)
	v_fmac_f64_e32 v[30:31], v[42:43], v[70:71]
	v_fmac_f64_e32 v[14:15], v[44:45], v[70:71]
	v_lshl_add_u64 v[70:71], v[2:3], 4, s[8:9]
	v_add_u32_e32 v2, -2, v0
	v_fma_f64 v[30:31], -v[44:45], v[72:73], v[30:31]
	v_fmac_f64_e32 v[14:15], v[42:43], v[72:73]
	global_load_dwordx4 v[70:73], v[70:71], off
	v_lshl_add_u64 v[78:79], v[2:3], 4, s[8:9]
	global_load_dwordx4 v[42:45], v[74:75], off
	v_add_u32_e32 v2, -11, v0
	v_lshl_add_u64 v[80:81], v[2:3], 4, s[8:9]
	s_waitcnt vmcnt(8)
	v_fmac_f64_e32 v[16:17], v[22:23], v[38:39]
	v_add_u32_e32 v2, 8, v24
	v_fmac_f64_e32 v[76:77], v[20:21], v[38:39]
	v_fmac_f64_e32 v[16:17], v[20:21], v[40:41]
	v_fma_f64 v[24:25], -v[22:23], v[40:41], v[76:77]
	global_load_dwordx4 v[20:23], v[78:79], off
	global_load_dwordx4 v[74:77], v[80:81], off
	v_lshl_add_u64 v[78:79], v[2:3], 4, s[10:11]
	s_waitcnt vmcnt(9)
	v_fmac_f64_e32 v[14:15], v[56:57], v[38:39]
	v_add_u32_e32 v2, -1, v0
	v_fmac_f64_e32 v[30:31], v[54:55], v[38:39]
	s_waitcnt vmcnt(8)
	v_fmac_f64_e32 v[16:17], v[60:61], v[50:51]
	v_fmac_f64_e32 v[14:15], v[54:55], v[40:41]
	;; [unrolled: 1-line block ×4, first 2 shown]
	v_lshl_add_u64 v[58:59], v[2:3], 4, s[8:9]
	v_fma_f64 v[30:31], -v[56:57], v[40:41], v[30:31]
	global_load_dwordx4 v[38:41], v[78:79], off offset:16
	global_load_dwordx4 v[54:57], v[78:79], off
	v_fma_f64 v[24:25], -v[60:61], v[52:53], v[24:25]
	v_add_u32_e32 v2, -10, v0
	global_load_dwordx4 v[58:61], v[58:59], off
	s_waitcnt vmcnt(10)
	v_fmac_f64_e32 v[14:15], v[36:37], v[50:51]
	v_fmac_f64_e32 v[30:31], v[34:35], v[50:51]
	;; [unrolled: 1-line block ×3, first 2 shown]
	v_lshl_add_u64 v[34:35], v[2:3], 4, s[8:9]
	v_fma_f64 v[30:31], -v[36:37], v[52:53], v[30:31]
	global_load_dwordx4 v[34:37], v[34:35], off
	v_add_u32_e32 v0, 0x280, v0
	s_waitcnt vmcnt(8)
	v_fmac_f64_e32 v[24:25], v[62:63], v[66:67]
	v_fmac_f64_e32 v[16:17], v[64:65], v[66:67]
	v_fma_f64 v[24:25], -v[64:65], v[68:69], v[24:25]
	v_fmac_f64_e32 v[16:17], v[62:63], v[68:69]
	s_waitcnt vmcnt(7)
	v_fmac_f64_e32 v[24:25], v[70:71], v[26:27]
	v_fmac_f64_e32 v[16:17], v[72:73], v[26:27]
	s_waitcnt vmcnt(6)
	v_fmac_f64_e32 v[30:31], v[42:43], v[66:67]
	v_fmac_f64_e32 v[14:15], v[44:45], v[66:67]
	v_fma_f64 v[30:31], -v[44:45], v[68:69], v[30:31]
	v_fmac_f64_e32 v[14:15], v[42:43], v[68:69]
	v_fma_f64 v[24:25], -v[72:73], v[28:29], v[24:25]
	v_fmac_f64_e32 v[16:17], v[70:71], v[28:29]
	s_waitcnt vmcnt(5)
	v_fmac_f64_e32 v[30:31], v[20:21], v[26:27]
	v_fmac_f64_e32 v[14:15], v[22:23], v[26:27]
	v_fma_f64 v[22:23], -v[22:23], v[28:29], v[30:31]
	v_fmac_f64_e32 v[14:15], v[20:21], v[28:29]
	s_waitcnt vmcnt(2)
	v_fmac_f64_e32 v[24:25], v[74:75], v[54:55]
	v_fmac_f64_e32 v[16:17], v[76:77], v[54:55]
	v_fma_f64 v[20:21], -v[76:77], v[56:57], v[24:25]
	s_waitcnt vmcnt(1)
	v_fmac_f64_e32 v[22:23], v[58:59], v[54:55]
	v_fmac_f64_e32 v[14:15], v[60:61], v[54:55]
	v_fmac_f64_e32 v[16:17], v[74:75], v[56:57]
	v_fma_f64 v[24:25], -v[60:61], v[56:57], v[22:23]
	v_fmac_f64_e32 v[14:15], v[58:59], v[56:57]
	v_fmac_f64_e32 v[24:25], v[46:47], v[38:39]
	s_waitcnt vmcnt(0)
	v_fmac_f64_e32 v[20:21], v[34:35], v[38:39]
	v_fmac_f64_e32 v[16:17], v[36:37], v[38:39]
	;; [unrolled: 1-line block ×3, first 2 shown]
	v_fma_f64 v[22:23], -v[36:37], v[40:41], v[20:21]
	v_fmac_f64_e32 v[16:17], v[34:35], v[40:41]
	v_fma_f64 v[20:21], -v[48:49], v[40:41], v[24:25]
	v_fmac_f64_e32 v[14:15], v[46:47], v[40:41]
	s_andn2_b64 exec, exec, s[0:1]
	s_cbranch_execnz .LBB271_17
; %bb.18:
	s_or_b64 exec, exec, s[0:1]
.LBB271_19:
	s_or_b64 exec, exec, s[4:5]
.LBB271_20:
	v_mov_b32_dpp v0, v22 row_shr:1 row_mask:0xf bank_mask:0xf
	v_mov_b32_dpp v1, v23 row_shr:1 row_mask:0xf bank_mask:0xf
	v_add_f64 v[0:1], v[22:23], v[0:1]
	v_mov_b32_dpp v18, v16 row_shr:1 row_mask:0xf bank_mask:0xf
	v_mov_b32_dpp v19, v17 row_shr:1 row_mask:0xf bank_mask:0xf
	;; [unrolled: 1-line block ×6, first 2 shown]
	v_add_f64 v[16:17], v[16:17], v[18:19]
	v_add_f64 v[20:21], v[20:21], v[22:23]
	v_add_f64 v[14:15], v[14:15], v[24:25]
	v_mov_b32_dpp v2, v0 row_shr:2 row_mask:0xf bank_mask:0xf
	v_mov_b32_dpp v3, v1 row_shr:2 row_mask:0xf bank_mask:0xf
	v_mov_b32_dpp v18, v16 row_shr:2 row_mask:0xf bank_mask:0xf
	v_mov_b32_dpp v19, v17 row_shr:2 row_mask:0xf bank_mask:0xf
	v_mov_b32_dpp v22, v20 row_shr:2 row_mask:0xf bank_mask:0xf
	v_mov_b32_dpp v23, v21 row_shr:2 row_mask:0xf bank_mask:0xf
	v_mov_b32_dpp v24, v14 row_shr:2 row_mask:0xf bank_mask:0xf
	v_mov_b32_dpp v25, v15 row_shr:2 row_mask:0xf bank_mask:0xf
	v_add_f64 v[0:1], v[0:1], v[2:3]
	v_add_f64 v[16:17], v[16:17], v[18:19]
	v_add_f64 v[20:21], v[20:21], v[22:23]
	v_add_f64 v[14:15], v[14:15], v[24:25]
	v_mov_b32_dpp v2, v0 row_shr:4 row_mask:0xf bank_mask:0xe
	v_mov_b32_dpp v3, v1 row_shr:4 row_mask:0xf bank_mask:0xe
	v_mov_b32_dpp v18, v16 row_shr:4 row_mask:0xf bank_mask:0xe
	v_mov_b32_dpp v19, v17 row_shr:4 row_mask:0xf bank_mask:0xe
	v_mov_b32_dpp v22, v20 row_shr:4 row_mask:0xf bank_mask:0xe
	v_mov_b32_dpp v23, v21 row_shr:4 row_mask:0xf bank_mask:0xe
	v_mov_b32_dpp v24, v14 row_shr:4 row_mask:0xf bank_mask:0xe
	v_mov_b32_dpp v25, v15 row_shr:4 row_mask:0xf bank_mask:0xe
	v_add_f64 v[0:1], v[0:1], v[2:3]
	;; [unrolled: 12-line block ×3, first 2 shown]
	v_add_f64 v[16:17], v[16:17], v[18:19]
	v_add_f64 v[20:21], v[20:21], v[22:23]
	;; [unrolled: 1-line block ×3, first 2 shown]
	v_mov_b32_dpp v2, v0 row_bcast:15 row_mask:0xa bank_mask:0xf
	v_mov_b32_dpp v3, v1 row_bcast:15 row_mask:0xa bank_mask:0xf
	;; [unrolled: 1-line block ×8, first 2 shown]
	v_cmp_eq_u32_e32 vcc, 31, v13
	s_and_b64 exec, exec, vcc
	s_cbranch_execz .LBB271_25
; %bb.21:
	s_load_dwordx2 s[2:3], s[2:3], 0x48
	v_cmp_eq_f64_e32 vcc, 0, v[8:9]
	v_cmp_eq_f64_e64 s[0:1], 0, v[10:11]
	v_add_f64 v[14:15], v[0:1], v[2:3]
	v_add_f64 v[16:17], v[16:17], v[18:19]
	;; [unrolled: 1-line block ×4, first 2 shown]
	s_and_b64 s[0:1], vcc, s[0:1]
	s_and_saveexec_b64 s[4:5], s[0:1]
	s_xor_b64 s[0:1], exec, s[4:5]
	s_cbranch_execz .LBB271_23
; %bb.22:
	v_lshlrev_b32_e32 v12, 1, v12
	v_mul_f64 v[8:9], v[16:17], -v[6:7]
	v_mul_f64 v[10:11], v[4:5], v[16:17]
	v_ashrrev_i32_e32 v13, 31, v12
	v_fmac_f64_e32 v[8:9], v[4:5], v[14:15]
	v_fmac_f64_e32 v[10:11], v[6:7], v[14:15]
	s_waitcnt lgkmcnt(0)
	v_lshl_add_u64 v[12:13], v[12:13], 4, s[2:3]
	global_store_dwordx4 v[12:13], v[8:11], off
                                        ; implicit-def: $vgpr14_vgpr15
                                        ; implicit-def: $vgpr16_vgpr17
	s_nop 1
	v_mul_f64 v[8:9], v[2:3], -v[6:7]
	v_mul_f64 v[10:11], v[4:5], v[2:3]
	v_fmac_f64_e32 v[8:9], v[4:5], v[0:1]
	v_fmac_f64_e32 v[10:11], v[6:7], v[0:1]
	global_store_dwordx4 v[12:13], v[8:11], off offset:16
                                        ; implicit-def: $vgpr4_vgpr5
                                        ; implicit-def: $vgpr6_vgpr7
                                        ; implicit-def: $vgpr8_vgpr9
                                        ; implicit-def: $vgpr10_vgpr11
                                        ; implicit-def: $vgpr12
                                        ; implicit-def: $vgpr0_vgpr1
                                        ; implicit-def: $vgpr2_vgpr3
.LBB271_23:
	s_andn2_saveexec_b64 s[0:1], s[0:1]
	s_cbranch_execz .LBB271_25
; %bb.24:
	v_lshlrev_b32_e32 v12, 1, v12
	v_ashrrev_i32_e32 v13, 31, v12
	s_waitcnt lgkmcnt(0)
	v_lshl_add_u64 v[12:13], v[12:13], 4, s[2:3]
	global_load_dwordx4 v[18:21], v[12:13], off
	global_load_dwordx4 v[22:25], v[12:13], off offset:16
	v_mul_f64 v[26:27], v[16:17], -v[6:7]
	v_mul_f64 v[16:17], v[4:5], v[16:17]
	v_mul_f64 v[28:29], v[2:3], -v[6:7]
	v_mul_f64 v[2:3], v[4:5], v[2:3]
	v_fmac_f64_e32 v[26:27], v[4:5], v[14:15]
	v_fmac_f64_e32 v[16:17], v[6:7], v[14:15]
	;; [unrolled: 1-line block ×4, first 2 shown]
	s_waitcnt vmcnt(1)
	v_fmac_f64_e32 v[26:27], v[8:9], v[18:19]
	v_fmac_f64_e32 v[16:17], v[10:11], v[18:19]
	s_waitcnt vmcnt(0)
	v_fmac_f64_e32 v[28:29], v[8:9], v[22:23]
	v_fmac_f64_e32 v[2:3], v[10:11], v[22:23]
	v_fma_f64 v[14:15], -v[10:11], v[20:21], v[26:27]
	v_fmac_f64_e32 v[16:17], v[8:9], v[20:21]
	v_fma_f64 v[0:1], -v[10:11], v[24:25], v[28:29]
	v_fmac_f64_e32 v[2:3], v[8:9], v[24:25]
	global_store_dwordx4 v[12:13], v[14:17], off
	global_store_dwordx4 v[12:13], v[0:3], off offset:16
.LBB271_25:
	s_endpgm
	.section	.rodata,"a",@progbits
	.p2align	6, 0x0
	.amdhsa_kernel _ZN9rocsparseL19gebsrmvn_2xn_kernelILj128ELj10ELj32E21rocsparse_complex_numIdEEEvi20rocsparse_direction_NS_24const_host_device_scalarIT2_EEPKiS8_PKS5_SA_S6_PS5_21rocsparse_index_base_b
		.amdhsa_group_segment_fixed_size 2048
		.amdhsa_private_segment_fixed_size 0
		.amdhsa_kernarg_size 88
		.amdhsa_user_sgpr_count 4
		.amdhsa_user_sgpr_dispatch_ptr 1
		.amdhsa_user_sgpr_queue_ptr 0
		.amdhsa_user_sgpr_kernarg_segment_ptr 1
		.amdhsa_user_sgpr_dispatch_id 0
		.amdhsa_user_sgpr_kernarg_preload_length 0
		.amdhsa_user_sgpr_kernarg_preload_offset 0
		.amdhsa_user_sgpr_private_segment_size 0
		.amdhsa_uses_dynamic_stack 0
		.amdhsa_enable_private_segment 0
		.amdhsa_system_sgpr_workgroup_id_x 1
		.amdhsa_system_sgpr_workgroup_id_y 0
		.amdhsa_system_sgpr_workgroup_id_z 0
		.amdhsa_system_sgpr_workgroup_info 0
		.amdhsa_system_vgpr_workitem_id 2
		.amdhsa_next_free_vgpr 92
		.amdhsa_next_free_sgpr 20
		.amdhsa_accum_offset 92
		.amdhsa_reserve_vcc 1
		.amdhsa_float_round_mode_32 0
		.amdhsa_float_round_mode_16_64 0
		.amdhsa_float_denorm_mode_32 3
		.amdhsa_float_denorm_mode_16_64 3
		.amdhsa_dx10_clamp 1
		.amdhsa_ieee_mode 1
		.amdhsa_fp16_overflow 0
		.amdhsa_tg_split 0
		.amdhsa_exception_fp_ieee_invalid_op 0
		.amdhsa_exception_fp_denorm_src 0
		.amdhsa_exception_fp_ieee_div_zero 0
		.amdhsa_exception_fp_ieee_overflow 0
		.amdhsa_exception_fp_ieee_underflow 0
		.amdhsa_exception_fp_ieee_inexact 0
		.amdhsa_exception_int_div_zero 0
	.end_amdhsa_kernel
	.section	.text._ZN9rocsparseL19gebsrmvn_2xn_kernelILj128ELj10ELj32E21rocsparse_complex_numIdEEEvi20rocsparse_direction_NS_24const_host_device_scalarIT2_EEPKiS8_PKS5_SA_S6_PS5_21rocsparse_index_base_b,"axG",@progbits,_ZN9rocsparseL19gebsrmvn_2xn_kernelILj128ELj10ELj32E21rocsparse_complex_numIdEEEvi20rocsparse_direction_NS_24const_host_device_scalarIT2_EEPKiS8_PKS5_SA_S6_PS5_21rocsparse_index_base_b,comdat
.Lfunc_end271:
	.size	_ZN9rocsparseL19gebsrmvn_2xn_kernelILj128ELj10ELj32E21rocsparse_complex_numIdEEEvi20rocsparse_direction_NS_24const_host_device_scalarIT2_EEPKiS8_PKS5_SA_S6_PS5_21rocsparse_index_base_b, .Lfunc_end271-_ZN9rocsparseL19gebsrmvn_2xn_kernelILj128ELj10ELj32E21rocsparse_complex_numIdEEEvi20rocsparse_direction_NS_24const_host_device_scalarIT2_EEPKiS8_PKS5_SA_S6_PS5_21rocsparse_index_base_b
                                        ; -- End function
	.section	.AMDGPU.csdata,"",@progbits
; Kernel info:
; codeLenInByte = 3280
; NumSgprs: 26
; NumVgprs: 92
; NumAgprs: 0
; TotalNumVgprs: 92
; ScratchSize: 0
; MemoryBound: 1
; FloatMode: 240
; IeeeMode: 1
; LDSByteSize: 2048 bytes/workgroup (compile time only)
; SGPRBlocks: 3
; VGPRBlocks: 11
; NumSGPRsForWavesPerEU: 26
; NumVGPRsForWavesPerEU: 92
; AccumOffset: 92
; Occupancy: 5
; WaveLimiterHint : 1
; COMPUTE_PGM_RSRC2:SCRATCH_EN: 0
; COMPUTE_PGM_RSRC2:USER_SGPR: 4
; COMPUTE_PGM_RSRC2:TRAP_HANDLER: 0
; COMPUTE_PGM_RSRC2:TGID_X_EN: 1
; COMPUTE_PGM_RSRC2:TGID_Y_EN: 0
; COMPUTE_PGM_RSRC2:TGID_Z_EN: 0
; COMPUTE_PGM_RSRC2:TIDIG_COMP_CNT: 2
; COMPUTE_PGM_RSRC3_GFX90A:ACCUM_OFFSET: 22
; COMPUTE_PGM_RSRC3_GFX90A:TG_SPLIT: 0
	.section	.text._ZN9rocsparseL19gebsrmvn_2xn_kernelILj128ELj10ELj64E21rocsparse_complex_numIdEEEvi20rocsparse_direction_NS_24const_host_device_scalarIT2_EEPKiS8_PKS5_SA_S6_PS5_21rocsparse_index_base_b,"axG",@progbits,_ZN9rocsparseL19gebsrmvn_2xn_kernelILj128ELj10ELj64E21rocsparse_complex_numIdEEEvi20rocsparse_direction_NS_24const_host_device_scalarIT2_EEPKiS8_PKS5_SA_S6_PS5_21rocsparse_index_base_b,comdat
	.globl	_ZN9rocsparseL19gebsrmvn_2xn_kernelILj128ELj10ELj64E21rocsparse_complex_numIdEEEvi20rocsparse_direction_NS_24const_host_device_scalarIT2_EEPKiS8_PKS5_SA_S6_PS5_21rocsparse_index_base_b ; -- Begin function _ZN9rocsparseL19gebsrmvn_2xn_kernelILj128ELj10ELj64E21rocsparse_complex_numIdEEEvi20rocsparse_direction_NS_24const_host_device_scalarIT2_EEPKiS8_PKS5_SA_S6_PS5_21rocsparse_index_base_b
	.p2align	8
	.type	_ZN9rocsparseL19gebsrmvn_2xn_kernelILj128ELj10ELj64E21rocsparse_complex_numIdEEEvi20rocsparse_direction_NS_24const_host_device_scalarIT2_EEPKiS8_PKS5_SA_S6_PS5_21rocsparse_index_base_b,@function
_ZN9rocsparseL19gebsrmvn_2xn_kernelILj128ELj10ELj64E21rocsparse_complex_numIdEEEvi20rocsparse_direction_NS_24const_host_device_scalarIT2_EEPKiS8_PKS5_SA_S6_PS5_21rocsparse_index_base_b: ; @_ZN9rocsparseL19gebsrmvn_2xn_kernelILj128ELj10ELj64E21rocsparse_complex_numIdEEEvi20rocsparse_direction_NS_24const_host_device_scalarIT2_EEPKiS8_PKS5_SA_S6_PS5_21rocsparse_index_base_b
; %bb.0:
	s_load_dwordx2 s[16:17], s[2:3], 0x50
	s_load_dwordx4 s[12:15], s[2:3], 0x8
	s_load_dwordx4 s[8:11], s[2:3], 0x38
	s_load_dwordx2 s[18:19], s[0:1], 0x4
	s_mov_b64 s[6:7], src_shared_base
	s_waitcnt lgkmcnt(0)
	s_bitcmp1_b32 s17, 0
	s_cselect_b64 s[0:1], -1, 0
	s_and_b64 vcc, s[0:1], exec
	s_cselect_b32 s5, s7, s13
	s_lshr_b32 s6, s18, 16
	v_bfe_u32 v2, v0, 10, 10
	v_and_b32_e32 v1, 0x3ff, v0
	s_mul_i32 s6, s6, s19
	v_mul_u32_u24_e32 v2, s19, v2
	v_mad_u32_u24 v2, s6, v1, v2
	v_bfe_u32 v0, v0, 20, 10
	v_add_lshl_u32 v0, v2, v0, 3
	v_mov_b32_e32 v6, s12
	v_add_u32_e32 v7, 0x400, v0
	v_mov_b64_e32 v[2:3], s[12:13]
	v_mov_b64_e32 v[4:5], s[8:9]
	ds_write2st64_b64 v0, v[4:5], v[2:3] offset1:2
	v_cndmask_b32_e64 v2, v6, v7, s[0:1]
	v_mov_b32_e32 v3, s5
	flat_load_dwordx2 v[4:5], v[2:3]
	s_xor_b64 s[18:19], s[0:1], -1
	v_mov_b64_e32 v[6:7], s[14:15]
	s_cbranch_vccnz .LBB272_2
; %bb.1:
	v_mov_b64_e32 v[2:3], s[12:13]
	flat_load_dwordx2 v[6:7], v[2:3] offset:8
.LBB272_2:
	s_and_b64 s[12:13], s[0:1], exec
	s_cselect_b32 s5, s7, s9
	v_mov_b32_e32 v2, s8
	v_cndmask_b32_e64 v2, v2, v0, s[0:1]
	v_mov_b32_e32 v3, s5
	flat_load_dwordx2 v[8:9], v[2:3]
	s_andn2_b64 vcc, exec, s[18:19]
	v_mov_b64_e32 v[10:11], s[10:11]
	s_cbranch_vccnz .LBB272_4
; %bb.3:
	v_mov_b64_e32 v[2:3], s[8:9]
	flat_load_dwordx2 v[10:11], v[2:3] offset:8
.LBB272_4:
	s_waitcnt vmcnt(0) lgkmcnt(0)
	v_cmp_eq_f64_e32 vcc, 0, v[4:5]
	v_cmp_eq_f64_e64 s[0:1], 0, v[6:7]
	s_and_b64 s[8:9], vcc, s[0:1]
	s_mov_b64 s[0:1], -1
	s_and_saveexec_b64 s[6:7], s[8:9]
; %bb.5:
	v_cmp_neq_f64_e32 vcc, 1.0, v[8:9]
	v_cmp_neq_f64_e64 s[0:1], 0, v[10:11]
	s_or_b64 s[0:1], vcc, s[0:1]
	s_orn2_b64 s[0:1], s[0:1], exec
; %bb.6:
	s_or_b64 exec, exec, s[6:7]
	s_and_saveexec_b64 s[6:7], s[0:1]
	s_cbranch_execz .LBB272_25
; %bb.7:
	s_load_dwordx2 s[0:1], s[2:3], 0x0
	v_lshrrev_b32_e32 v0, 6, v1
	v_lshl_or_b32 v12, s4, 1, v0
	s_waitcnt lgkmcnt(0)
	v_cmp_gt_i32_e32 vcc, s0, v12
	s_and_b64 exec, exec, vcc
	s_cbranch_execz .LBB272_25
; %bb.8:
	s_load_dwordx8 s[4:11], s[2:3], 0x18
	v_ashrrev_i32_e32 v13, 31, v12
	s_cmp_lg_u32 s1, 0
	s_waitcnt lgkmcnt(0)
	v_lshl_add_u64 v[2:3], v[12:13], 2, s[4:5]
	global_load_dwordx2 v[2:3], v[2:3], off
	v_and_b32_e32 v13, 63, v1
	s_waitcnt vmcnt(0)
	v_subrev_u32_e32 v0, s16, v2
	v_subrev_u32_e32 v32, s16, v3
	v_add_u32_e32 v18, v0, v13
	v_cmp_lt_i32_e64 s[0:1], v18, v32
	s_cbranch_scc0 .LBB272_14
; %bb.9:
	v_mov_b64_e32 v[16:17], 0
	s_mov_b64 s[4:5], 0
	v_mov_b64_e32 v[22:23], v[16:17]
	v_mov_b64_e32 v[20:21], v[16:17]
	;; [unrolled: 1-line block ×3, first 2 shown]
	s_and_saveexec_b64 s[12:13], s[0:1]
	s_cbranch_execz .LBB272_13
; %bb.10:
	v_mad_u64_u32 v[24:25], s[14:15], v18, 20, 18
	v_mov_b64_e32 v[16:17], 0
	s_mov_b64 s[14:15], 0
	v_mov_b32_e32 v27, 0
	v_mov_b32_e32 v28, v18
	v_mov_b64_e32 v[22:23], v[16:17]
	v_mov_b64_e32 v[20:21], v[16:17]
	v_mov_b64_e32 v[14:15], v[16:17]
.LBB272_11:                             ; =>This Inner Loop Header: Depth=1
	v_ashrrev_i32_e32 v29, 31, v28
	v_subrev_u32_e32 v26, 18, v24
	v_lshl_add_u64 v[0:1], v[28:29], 2, s[6:7]
	v_lshl_add_u64 v[2:3], v[26:27], 4, s[8:9]
	global_load_dword v19, v[0:1], off
	global_load_dwordx4 v[34:37], v[2:3], off offset:48
	global_load_dwordx4 v[38:41], v[2:3], off offset:32
	;; [unrolled: 1-line block ×3, first 2 shown]
	global_load_dwordx4 v[46:49], v[2:3], off
	v_mov_b32_e32 v31, v27
	v_mov_b32_e32 v25, v27
	v_add_u32_e32 v26, -14, v24
	v_lshl_add_u64 v[62:63], v[24:25], 4, s[8:9]
	v_lshl_add_u64 v[64:65], v[26:27], 4, s[8:9]
	global_load_dwordx4 v[0:3], v[62:63], off
	global_load_dwordx4 v[50:53], v[62:63], off offset:16
	global_load_dwordx4 v[54:57], v[64:65], off offset:16
	global_load_dwordx4 v[58:61], v[64:65], off
	v_add_u32_e32 v28, 64, v28
	v_cmp_ge_i32_e32 vcc, v28, v32
	s_or_b64 s[14:15], vcc, s[14:15]
	s_waitcnt vmcnt(8)
	v_subrev_u32_e32 v19, s16, v19
	v_mul_lo_u32 v30, v19, 10
	v_lshl_add_u64 v[70:71], v[30:31], 4, s[10:11]
	global_load_dwordx4 v[62:65], v[70:71], off
	global_load_dwordx4 v[66:69], v[70:71], off offset:16
	v_add_u32_e32 v26, 2, v30
	v_lshl_add_u64 v[78:79], v[26:27], 4, s[10:11]
	v_add_u32_e32 v26, -12, v24
	global_load_dwordx4 v[70:73], v[78:79], off
	global_load_dwordx4 v[74:77], v[78:79], off offset:16
	v_lshl_add_u64 v[86:87], v[26:27], 4, s[8:9]
	v_add_u32_e32 v26, -10, v24
	global_load_dwordx4 v[78:81], v[86:87], off offset:16
	global_load_dwordx4 v[82:85], v[86:87], off
	v_lshl_add_u64 v[86:87], v[26:27], 4, s[8:9]
	v_add_u32_e32 v26, 4, v30
	s_waitcnt vmcnt(5)
	v_fmac_f64_e32 v[22:23], v[46:47], v[62:63]
	v_fmac_f64_e32 v[16:17], v[48:49], v[62:63]
	;; [unrolled: 1-line block ×4, first 2 shown]
	v_fma_f64 v[88:89], -v[48:49], v[64:65], v[22:23]
	v_fmac_f64_e32 v[16:17], v[46:47], v[64:65]
	v_fma_f64 v[62:63], -v[44:45], v[64:65], v[20:21]
	v_fmac_f64_e32 v[14:15], v[42:43], v[64:65]
	v_lshl_add_u64 v[64:65], v[26:27], 4, s[10:11]
	global_load_dwordx4 v[46:49], v[86:87], off offset:16
	global_load_dwordx4 v[20:23], v[86:87], off
	global_load_dwordx4 v[42:45], v[64:65], off
	v_add_u32_e32 v26, -8, v24
	s_waitcnt vmcnt(7)
	v_fmac_f64_e32 v[88:89], v[38:39], v[66:67]
	v_fmac_f64_e32 v[16:17], v[40:41], v[66:67]
	v_fma_f64 v[86:87], -v[40:41], v[68:69], v[88:89]
	v_lshl_add_u64 v[88:89], v[26:27], 4, s[8:9]
	v_add_u32_e32 v26, -6, v24
	v_fmac_f64_e32 v[62:63], v[34:35], v[66:67]
	v_fmac_f64_e32 v[14:15], v[36:37], v[66:67]
	;; [unrolled: 1-line block ×3, first 2 shown]
	global_load_dwordx4 v[38:41], v[64:65], off offset:16
	v_fma_f64 v[66:67], -v[36:37], v[68:69], v[62:63]
	v_fmac_f64_e32 v[14:15], v[34:35], v[68:69]
	global_load_dwordx4 v[34:37], v[88:89], off
	global_load_dwordx4 v[62:65], v[88:89], off offset:16
	v_lshl_add_u64 v[68:69], v[26:27], 4, s[8:9]
	v_add_u32_e32 v26, 6, v30
	s_waitcnt vmcnt(9)
	v_fmac_f64_e32 v[86:87], v[58:59], v[70:71]
	v_fmac_f64_e32 v[16:17], v[60:61], v[70:71]
	;; [unrolled: 1-line block ×4, first 2 shown]
	v_lshl_add_u64 v[70:71], v[26:27], 4, s[10:11]
	v_fma_f64 v[86:87], -v[60:61], v[72:73], v[86:87]
	v_fmac_f64_e32 v[16:17], v[58:59], v[72:73]
	global_load_dwordx4 v[58:61], v[68:69], off offset:16
	v_fma_f64 v[88:89], -v[56:57], v[72:73], v[66:67]
	v_fmac_f64_e32 v[14:15], v[54:55], v[72:73]
	global_load_dwordx4 v[54:57], v[68:69], off
	v_add_u32_e32 v26, -4, v24
	global_load_dwordx4 v[66:69], v[70:71], off
	v_lshl_add_u64 v[90:91], v[26:27], 4, s[8:9]
	v_add_u32_e32 v26, -2, v24
	s_waitcnt vmcnt(9)
	v_fmac_f64_e32 v[86:87], v[82:83], v[74:75]
	v_fmac_f64_e32 v[16:17], v[84:85], v[74:75]
	;; [unrolled: 1-line block ×4, first 2 shown]
	v_fma_f64 v[84:85], -v[84:85], v[76:77], v[86:87]
	v_fmac_f64_e32 v[16:17], v[82:83], v[76:77]
	v_lshl_add_u64 v[86:87], v[26:27], 4, s[8:9]
	v_add_u32_e32 v26, 8, v30
	global_load_dwordx4 v[70:73], v[70:71], off offset:16
	v_fma_f64 v[30:31], -v[80:81], v[76:77], v[88:89]
	v_fmac_f64_e32 v[14:15], v[78:79], v[76:77]
	global_load_dwordx4 v[74:77], v[90:91], off offset:16
	global_load_dwordx4 v[78:81], v[90:91], off
	v_add_u32_e32 v24, 0x500, v24
	s_waitcnt vmcnt(9)
	v_fmac_f64_e32 v[84:85], v[20:21], v[42:43]
	v_fmac_f64_e32 v[16:17], v[22:23], v[42:43]
	v_fma_f64 v[88:89], -v[22:23], v[44:45], v[84:85]
	v_fmac_f64_e32 v[16:17], v[20:21], v[44:45]
	global_load_dwordx4 v[20:23], v[86:87], off offset:16
	global_load_dwordx4 v[82:85], v[86:87], off
	v_fmac_f64_e32 v[30:31], v[46:47], v[42:43]
	v_fmac_f64_e32 v[14:15], v[48:49], v[42:43]
	v_lshl_add_u64 v[86:87], v[26:27], 4, s[10:11]
	v_fma_f64 v[30:31], -v[48:49], v[44:45], v[30:31]
	v_fmac_f64_e32 v[14:15], v[46:47], v[44:45]
	global_load_dwordx4 v[42:45], v[86:87], off
	global_load_dwordx4 v[46:49], v[86:87], off offset:16
	s_waitcnt vmcnt(11)
	v_fmac_f64_e32 v[88:89], v[34:35], v[38:39]
	v_fmac_f64_e32 v[16:17], v[36:37], v[38:39]
	s_waitcnt vmcnt(10)
	v_fmac_f64_e32 v[30:31], v[62:63], v[38:39]
	v_fmac_f64_e32 v[14:15], v[64:65], v[38:39]
	v_fma_f64 v[36:37], -v[36:37], v[40:41], v[88:89]
	v_fmac_f64_e32 v[16:17], v[34:35], v[40:41]
	v_fma_f64 v[30:31], -v[64:65], v[40:41], v[30:31]
	v_fmac_f64_e32 v[14:15], v[62:63], v[40:41]
	s_waitcnt vmcnt(7)
	v_fmac_f64_e32 v[36:37], v[54:55], v[66:67]
	v_fmac_f64_e32 v[16:17], v[56:57], v[66:67]
	;; [unrolled: 1-line block ×4, first 2 shown]
	v_fma_f64 v[34:35], -v[56:57], v[68:69], v[36:37]
	v_fmac_f64_e32 v[16:17], v[54:55], v[68:69]
	v_fma_f64 v[30:31], -v[60:61], v[68:69], v[30:31]
	v_fmac_f64_e32 v[14:15], v[58:59], v[68:69]
	s_waitcnt vmcnt(5)
	v_fmac_f64_e32 v[30:31], v[74:75], v[70:71]
	s_waitcnt vmcnt(4)
	v_fmac_f64_e32 v[34:35], v[78:79], v[70:71]
	v_fmac_f64_e32 v[16:17], v[80:81], v[70:71]
	;; [unrolled: 1-line block ×3, first 2 shown]
	v_fma_f64 v[34:35], -v[80:81], v[72:73], v[34:35]
	v_fmac_f64_e32 v[16:17], v[78:79], v[72:73]
	v_fma_f64 v[30:31], -v[76:77], v[72:73], v[30:31]
	v_fmac_f64_e32 v[14:15], v[74:75], v[72:73]
	s_waitcnt vmcnt(1)
	v_fmac_f64_e32 v[34:35], v[82:83], v[42:43]
	v_fmac_f64_e32 v[16:17], v[84:85], v[42:43]
	;; [unrolled: 1-line block ×4, first 2 shown]
	v_fma_f64 v[34:35], -v[84:85], v[44:45], v[34:35]
	v_fmac_f64_e32 v[16:17], v[82:83], v[44:45]
	v_fma_f64 v[30:31], -v[22:23], v[44:45], v[30:31]
	v_fmac_f64_e32 v[14:15], v[20:21], v[44:45]
	s_waitcnt vmcnt(0)
	v_fmac_f64_e32 v[34:35], v[0:1], v[46:47]
	v_fmac_f64_e32 v[16:17], v[2:3], v[46:47]
	;; [unrolled: 1-line block ×4, first 2 shown]
	v_fma_f64 v[22:23], -v[2:3], v[48:49], v[34:35]
	v_fmac_f64_e32 v[16:17], v[0:1], v[48:49]
	v_fma_f64 v[20:21], -v[52:53], v[48:49], v[30:31]
	v_fmac_f64_e32 v[14:15], v[50:51], v[48:49]
	s_andn2_b64 exec, exec, s[14:15]
	s_cbranch_execnz .LBB272_11
; %bb.12:
	s_or_b64 exec, exec, s[14:15]
.LBB272_13:
	s_or_b64 exec, exec, s[12:13]
	s_andn2_b64 vcc, exec, s[4:5]
	s_cbranch_vccz .LBB272_15
	s_branch .LBB272_20
.LBB272_14:
                                        ; implicit-def: $vgpr16_vgpr17
                                        ; implicit-def: $vgpr22_vgpr23
                                        ; implicit-def: $vgpr20_vgpr21
                                        ; implicit-def: $vgpr14_vgpr15
.LBB272_15:
	v_mov_b64_e32 v[16:17], 0
	v_mov_b64_e32 v[22:23], v[16:17]
	;; [unrolled: 1-line block ×4, first 2 shown]
	s_and_saveexec_b64 s[4:5], s[0:1]
	s_cbranch_execz .LBB272_19
; %bb.16:
	v_mad_u64_u32 v[0:1], s[0:1], v18, 20, 19
	v_mov_b64_e32 v[16:17], 0
	s_mov_b64 s[0:1], 0
	v_mov_b32_e32 v3, 0
	v_mov_b64_e32 v[22:23], v[16:17]
	v_mov_b64_e32 v[20:21], v[16:17]
	;; [unrolled: 1-line block ×3, first 2 shown]
.LBB272_17:                             ; =>This Inner Loop Header: Depth=1
	v_ashrrev_i32_e32 v19, 31, v18
	v_subrev_u32_e32 v2, 19, v0
	v_add_u32_e32 v26, -9, v0
	v_mov_b32_e32 v27, v3
	v_mov_b32_e32 v1, v3
	v_lshl_add_u64 v[30:31], v[18:19], 2, s[6:7]
	v_lshl_add_u64 v[46:47], v[2:3], 4, s[8:9]
	;; [unrolled: 1-line block ×4, first 2 shown]
	global_load_dword v1, v[30:31], off
	global_load_dwordx4 v[26:29], v[46:47], off offset:48
	global_load_dwordx4 v[34:37], v[46:47], off offset:32
	;; [unrolled: 1-line block ×3, first 2 shown]
	global_load_dwordx4 v[42:45], v[46:47], off
	v_add_u32_e32 v2, -8, v0
	v_mov_b32_e32 v25, v3
	v_lshl_add_u64 v[30:31], v[2:3], 4, s[8:9]
	global_load_dwordx4 v[46:49], v[60:61], off
	global_load_dwordx4 v[50:53], v[58:59], off
	;; [unrolled: 1-line block ×3, first 2 shown]
	v_add_u32_e32 v18, 64, v18
	v_cmp_ge_i32_e32 vcc, v18, v32
	s_or_b64 s[0:1], vcc, s[0:1]
	s_waitcnt vmcnt(7)
	v_subrev_u32_e32 v1, s16, v1
	v_mul_lo_u32 v24, v1, 10
	v_lshl_add_u64 v[30:31], v[24:25], 4, s[10:11]
	global_load_dwordx4 v[58:61], v[30:31], off
	global_load_dwordx4 v[62:65], v[30:31], off offset:16
	v_add_u32_e32 v2, 2, v24
	v_lshl_add_u64 v[30:31], v[2:3], 4, s[10:11]
	global_load_dwordx4 v[66:69], v[30:31], off
	global_load_dwordx4 v[70:73], v[30:31], off offset:16
	v_add_u32_e32 v2, -7, v0
	v_lshl_add_u64 v[30:31], v[2:3], 4, s[8:9]
	v_add_u32_e32 v2, -6, v0
	global_load_dwordx4 v[74:77], v[30:31], off
	v_lshl_add_u64 v[30:31], v[2:3], 4, s[8:9]
	v_add_u32_e32 v2, -15, v0
	s_waitcnt vmcnt(4)
	v_fmac_f64_e32 v[22:23], v[42:43], v[58:59]
	v_fmac_f64_e32 v[16:17], v[44:45], v[58:59]
	v_fma_f64 v[78:79], -v[44:45], v[60:61], v[22:23]
	v_fmac_f64_e32 v[16:17], v[42:43], v[60:61]
	v_lshl_add_u64 v[22:23], v[2:3], 4, s[8:9]
	v_add_u32_e32 v2, 4, v24
	v_fmac_f64_e32 v[20:21], v[50:51], v[58:59]
	v_fmac_f64_e32 v[14:15], v[52:53], v[58:59]
	global_load_dwordx4 v[42:45], v[30:31], off
	v_fma_f64 v[30:31], -v[52:53], v[60:61], v[20:21]
	v_fmac_f64_e32 v[14:15], v[50:51], v[60:61]
	v_lshl_add_u64 v[58:59], v[2:3], 4, s[10:11]
	v_add_u32_e32 v2, -5, v0
	s_waitcnt vmcnt(4)
	v_fmac_f64_e32 v[78:79], v[38:39], v[62:63]
	v_fmac_f64_e32 v[16:17], v[40:41], v[62:63]
	global_load_dwordx4 v[20:23], v[22:23], off
	v_fma_f64 v[78:79], -v[40:41], v[64:65], v[78:79]
	global_load_dwordx4 v[50:53], v[58:59], off offset:16
	v_fmac_f64_e32 v[16:17], v[38:39], v[64:65]
	global_load_dwordx4 v[38:41], v[58:59], off
	v_lshl_add_u64 v[58:59], v[2:3], 4, s[8:9]
	v_add_u32_e32 v2, -14, v0
	v_fmac_f64_e32 v[30:31], v[54:55], v[62:63]
	v_fmac_f64_e32 v[14:15], v[56:57], v[62:63]
	v_fma_f64 v[30:31], -v[56:57], v[64:65], v[30:31]
	v_fmac_f64_e32 v[14:15], v[54:55], v[64:65]
	global_load_dwordx4 v[54:57], v[58:59], off
	v_lshl_add_u64 v[58:59], v[2:3], 4, s[8:9]
	v_add_u32_e32 v2, -4, v0
	global_load_dwordx4 v[58:61], v[58:59], off
	v_lshl_add_u64 v[62:63], v[2:3], 4, s[8:9]
	s_waitcnt vmcnt(8)
	v_fmac_f64_e32 v[78:79], v[34:35], v[66:67]
	v_fmac_f64_e32 v[16:17], v[36:37], v[66:67]
	v_fma_f64 v[78:79], -v[36:37], v[68:69], v[78:79]
	v_fmac_f64_e32 v[16:17], v[34:35], v[68:69]
	global_load_dwordx4 v[34:37], v[62:63], off
	v_add_u32_e32 v2, -13, v0
	v_lshl_add_u64 v[62:63], v[2:3], 4, s[8:9]
	v_add_u32_e32 v2, 6, v24
	s_waitcnt vmcnt(7)
	v_fmac_f64_e32 v[14:15], v[76:77], v[66:67]
	v_fmac_f64_e32 v[30:31], v[74:75], v[66:67]
	;; [unrolled: 1-line block ×3, first 2 shown]
	v_lshl_add_u64 v[74:75], v[2:3], 4, s[10:11]
	v_add_u32_e32 v2, -3, v0
	v_fmac_f64_e32 v[78:79], v[26:27], v[70:71]
	v_fmac_f64_e32 v[16:17], v[28:29], v[70:71]
	v_fma_f64 v[30:31], -v[76:77], v[68:69], v[30:31]
	global_load_dwordx4 v[66:69], v[74:75], off
	v_fma_f64 v[76:77], -v[28:29], v[72:73], v[78:79]
	v_fmac_f64_e32 v[16:17], v[26:27], v[72:73]
	global_load_dwordx4 v[26:29], v[74:75], off offset:16
	v_lshl_add_u64 v[74:75], v[2:3], 4, s[8:9]
	v_add_u32_e32 v2, -12, v0
	global_load_dwordx4 v[62:65], v[62:63], off
	s_waitcnt vmcnt(9)
	v_fmac_f64_e32 v[30:31], v[42:43], v[70:71]
	v_fmac_f64_e32 v[14:15], v[44:45], v[70:71]
	v_lshl_add_u64 v[70:71], v[2:3], 4, s[8:9]
	v_add_u32_e32 v2, -2, v0
	v_fma_f64 v[30:31], -v[44:45], v[72:73], v[30:31]
	v_fmac_f64_e32 v[14:15], v[42:43], v[72:73]
	global_load_dwordx4 v[70:73], v[70:71], off
	v_lshl_add_u64 v[78:79], v[2:3], 4, s[8:9]
	global_load_dwordx4 v[42:45], v[74:75], off
	v_add_u32_e32 v2, -11, v0
	v_lshl_add_u64 v[80:81], v[2:3], 4, s[8:9]
	s_waitcnt vmcnt(8)
	v_fmac_f64_e32 v[16:17], v[22:23], v[38:39]
	v_add_u32_e32 v2, 8, v24
	v_fmac_f64_e32 v[76:77], v[20:21], v[38:39]
	v_fmac_f64_e32 v[16:17], v[20:21], v[40:41]
	v_fma_f64 v[24:25], -v[22:23], v[40:41], v[76:77]
	global_load_dwordx4 v[20:23], v[78:79], off
	global_load_dwordx4 v[74:77], v[80:81], off
	v_lshl_add_u64 v[78:79], v[2:3], 4, s[10:11]
	s_waitcnt vmcnt(9)
	v_fmac_f64_e32 v[14:15], v[56:57], v[38:39]
	v_add_u32_e32 v2, -1, v0
	v_fmac_f64_e32 v[30:31], v[54:55], v[38:39]
	s_waitcnt vmcnt(8)
	v_fmac_f64_e32 v[16:17], v[60:61], v[50:51]
	v_fmac_f64_e32 v[14:15], v[54:55], v[40:41]
	;; [unrolled: 1-line block ×4, first 2 shown]
	v_lshl_add_u64 v[58:59], v[2:3], 4, s[8:9]
	v_fma_f64 v[30:31], -v[56:57], v[40:41], v[30:31]
	global_load_dwordx4 v[38:41], v[78:79], off offset:16
	global_load_dwordx4 v[54:57], v[78:79], off
	v_fma_f64 v[24:25], -v[60:61], v[52:53], v[24:25]
	v_add_u32_e32 v2, -10, v0
	global_load_dwordx4 v[58:61], v[58:59], off
	s_waitcnt vmcnt(10)
	v_fmac_f64_e32 v[14:15], v[36:37], v[50:51]
	v_fmac_f64_e32 v[30:31], v[34:35], v[50:51]
	v_fmac_f64_e32 v[14:15], v[34:35], v[52:53]
	v_lshl_add_u64 v[34:35], v[2:3], 4, s[8:9]
	v_fma_f64 v[30:31], -v[36:37], v[52:53], v[30:31]
	global_load_dwordx4 v[34:37], v[34:35], off
	v_add_u32_e32 v0, 0x500, v0
	s_waitcnt vmcnt(8)
	v_fmac_f64_e32 v[24:25], v[62:63], v[66:67]
	v_fmac_f64_e32 v[16:17], v[64:65], v[66:67]
	v_fma_f64 v[24:25], -v[64:65], v[68:69], v[24:25]
	v_fmac_f64_e32 v[16:17], v[62:63], v[68:69]
	s_waitcnt vmcnt(7)
	v_fmac_f64_e32 v[24:25], v[70:71], v[26:27]
	v_fmac_f64_e32 v[16:17], v[72:73], v[26:27]
	s_waitcnt vmcnt(6)
	v_fmac_f64_e32 v[30:31], v[42:43], v[66:67]
	v_fmac_f64_e32 v[14:15], v[44:45], v[66:67]
	v_fma_f64 v[30:31], -v[44:45], v[68:69], v[30:31]
	v_fmac_f64_e32 v[14:15], v[42:43], v[68:69]
	v_fma_f64 v[24:25], -v[72:73], v[28:29], v[24:25]
	v_fmac_f64_e32 v[16:17], v[70:71], v[28:29]
	s_waitcnt vmcnt(5)
	v_fmac_f64_e32 v[30:31], v[20:21], v[26:27]
	v_fmac_f64_e32 v[14:15], v[22:23], v[26:27]
	v_fma_f64 v[22:23], -v[22:23], v[28:29], v[30:31]
	v_fmac_f64_e32 v[14:15], v[20:21], v[28:29]
	s_waitcnt vmcnt(2)
	v_fmac_f64_e32 v[24:25], v[74:75], v[54:55]
	v_fmac_f64_e32 v[16:17], v[76:77], v[54:55]
	v_fma_f64 v[20:21], -v[76:77], v[56:57], v[24:25]
	s_waitcnt vmcnt(1)
	v_fmac_f64_e32 v[22:23], v[58:59], v[54:55]
	v_fmac_f64_e32 v[14:15], v[60:61], v[54:55]
	;; [unrolled: 1-line block ×3, first 2 shown]
	v_fma_f64 v[24:25], -v[60:61], v[56:57], v[22:23]
	v_fmac_f64_e32 v[14:15], v[58:59], v[56:57]
	v_fmac_f64_e32 v[24:25], v[46:47], v[38:39]
	s_waitcnt vmcnt(0)
	v_fmac_f64_e32 v[20:21], v[34:35], v[38:39]
	v_fmac_f64_e32 v[16:17], v[36:37], v[38:39]
	;; [unrolled: 1-line block ×3, first 2 shown]
	v_fma_f64 v[22:23], -v[36:37], v[40:41], v[20:21]
	v_fmac_f64_e32 v[16:17], v[34:35], v[40:41]
	v_fma_f64 v[20:21], -v[48:49], v[40:41], v[24:25]
	v_fmac_f64_e32 v[14:15], v[46:47], v[40:41]
	s_andn2_b64 exec, exec, s[0:1]
	s_cbranch_execnz .LBB272_17
; %bb.18:
	s_or_b64 exec, exec, s[0:1]
.LBB272_19:
	s_or_b64 exec, exec, s[4:5]
.LBB272_20:
	v_mov_b32_dpp v0, v22 row_shr:1 row_mask:0xf bank_mask:0xf
	v_mov_b32_dpp v1, v23 row_shr:1 row_mask:0xf bank_mask:0xf
	v_add_f64 v[0:1], v[22:23], v[0:1]
	v_mov_b32_dpp v18, v16 row_shr:1 row_mask:0xf bank_mask:0xf
	v_mov_b32_dpp v19, v17 row_shr:1 row_mask:0xf bank_mask:0xf
	;; [unrolled: 1-line block ×6, first 2 shown]
	v_add_f64 v[16:17], v[16:17], v[18:19]
	v_add_f64 v[20:21], v[20:21], v[22:23]
	v_add_f64 v[14:15], v[14:15], v[24:25]
	v_mov_b32_dpp v2, v0 row_shr:2 row_mask:0xf bank_mask:0xf
	v_mov_b32_dpp v3, v1 row_shr:2 row_mask:0xf bank_mask:0xf
	v_mov_b32_dpp v18, v16 row_shr:2 row_mask:0xf bank_mask:0xf
	v_mov_b32_dpp v19, v17 row_shr:2 row_mask:0xf bank_mask:0xf
	v_mov_b32_dpp v22, v20 row_shr:2 row_mask:0xf bank_mask:0xf
	v_mov_b32_dpp v23, v21 row_shr:2 row_mask:0xf bank_mask:0xf
	v_mov_b32_dpp v24, v14 row_shr:2 row_mask:0xf bank_mask:0xf
	v_mov_b32_dpp v25, v15 row_shr:2 row_mask:0xf bank_mask:0xf
	v_add_f64 v[0:1], v[0:1], v[2:3]
	v_add_f64 v[16:17], v[16:17], v[18:19]
	v_add_f64 v[20:21], v[20:21], v[22:23]
	v_add_f64 v[14:15], v[14:15], v[24:25]
	v_mov_b32_dpp v2, v0 row_shr:4 row_mask:0xf bank_mask:0xe
	v_mov_b32_dpp v3, v1 row_shr:4 row_mask:0xf bank_mask:0xe
	v_mov_b32_dpp v18, v16 row_shr:4 row_mask:0xf bank_mask:0xe
	v_mov_b32_dpp v19, v17 row_shr:4 row_mask:0xf bank_mask:0xe
	v_mov_b32_dpp v22, v20 row_shr:4 row_mask:0xf bank_mask:0xe
	v_mov_b32_dpp v23, v21 row_shr:4 row_mask:0xf bank_mask:0xe
	v_mov_b32_dpp v24, v14 row_shr:4 row_mask:0xf bank_mask:0xe
	v_mov_b32_dpp v25, v15 row_shr:4 row_mask:0xf bank_mask:0xe
	v_add_f64 v[0:1], v[0:1], v[2:3]
	;; [unrolled: 12-line block ×3, first 2 shown]
	v_add_f64 v[16:17], v[16:17], v[18:19]
	v_add_f64 v[20:21], v[20:21], v[22:23]
	;; [unrolled: 1-line block ×3, first 2 shown]
	v_mov_b32_dpp v2, v0 row_bcast:15 row_mask:0xa bank_mask:0xf
	v_mov_b32_dpp v3, v1 row_bcast:15 row_mask:0xa bank_mask:0xf
	;; [unrolled: 1-line block ×8, first 2 shown]
	v_add_f64 v[0:1], v[0:1], v[2:3]
	v_add_f64 v[16:17], v[16:17], v[18:19]
	;; [unrolled: 1-line block ×4, first 2 shown]
	v_mov_b32_dpp v2, v0 row_bcast:31 row_mask:0xc bank_mask:0xf
	v_mov_b32_dpp v3, v1 row_bcast:31 row_mask:0xc bank_mask:0xf
	;; [unrolled: 1-line block ×8, first 2 shown]
	v_cmp_eq_u32_e32 vcc, 63, v13
	s_and_b64 exec, exec, vcc
	s_cbranch_execz .LBB272_25
; %bb.21:
	s_load_dwordx2 s[2:3], s[2:3], 0x48
	v_cmp_eq_f64_e32 vcc, 0, v[8:9]
	v_cmp_eq_f64_e64 s[0:1], 0, v[10:11]
	v_add_f64 v[14:15], v[0:1], v[2:3]
	v_add_f64 v[16:17], v[16:17], v[18:19]
	;; [unrolled: 1-line block ×4, first 2 shown]
	s_and_b64 s[0:1], vcc, s[0:1]
	s_and_saveexec_b64 s[4:5], s[0:1]
	s_xor_b64 s[0:1], exec, s[4:5]
	s_cbranch_execz .LBB272_23
; %bb.22:
	v_lshlrev_b32_e32 v12, 1, v12
	v_mul_f64 v[8:9], v[16:17], -v[6:7]
	v_mul_f64 v[10:11], v[4:5], v[16:17]
	v_ashrrev_i32_e32 v13, 31, v12
	v_fmac_f64_e32 v[8:9], v[4:5], v[14:15]
	v_fmac_f64_e32 v[10:11], v[6:7], v[14:15]
	s_waitcnt lgkmcnt(0)
	v_lshl_add_u64 v[12:13], v[12:13], 4, s[2:3]
	global_store_dwordx4 v[12:13], v[8:11], off
                                        ; implicit-def: $vgpr14_vgpr15
                                        ; implicit-def: $vgpr16_vgpr17
	s_nop 1
	v_mul_f64 v[8:9], v[2:3], -v[6:7]
	v_mul_f64 v[10:11], v[4:5], v[2:3]
	v_fmac_f64_e32 v[8:9], v[4:5], v[0:1]
	v_fmac_f64_e32 v[10:11], v[6:7], v[0:1]
	global_store_dwordx4 v[12:13], v[8:11], off offset:16
                                        ; implicit-def: $vgpr4_vgpr5
                                        ; implicit-def: $vgpr6_vgpr7
                                        ; implicit-def: $vgpr8_vgpr9
                                        ; implicit-def: $vgpr10_vgpr11
                                        ; implicit-def: $vgpr12
                                        ; implicit-def: $vgpr0_vgpr1
                                        ; implicit-def: $vgpr2_vgpr3
.LBB272_23:
	s_andn2_saveexec_b64 s[0:1], s[0:1]
	s_cbranch_execz .LBB272_25
; %bb.24:
	v_lshlrev_b32_e32 v12, 1, v12
	v_ashrrev_i32_e32 v13, 31, v12
	s_waitcnt lgkmcnt(0)
	v_lshl_add_u64 v[12:13], v[12:13], 4, s[2:3]
	global_load_dwordx4 v[18:21], v[12:13], off
	global_load_dwordx4 v[22:25], v[12:13], off offset:16
	v_mul_f64 v[26:27], v[16:17], -v[6:7]
	v_mul_f64 v[16:17], v[4:5], v[16:17]
	v_mul_f64 v[28:29], v[2:3], -v[6:7]
	v_mul_f64 v[2:3], v[4:5], v[2:3]
	v_fmac_f64_e32 v[26:27], v[4:5], v[14:15]
	v_fmac_f64_e32 v[16:17], v[6:7], v[14:15]
	;; [unrolled: 1-line block ×4, first 2 shown]
	s_waitcnt vmcnt(1)
	v_fmac_f64_e32 v[26:27], v[8:9], v[18:19]
	v_fmac_f64_e32 v[16:17], v[10:11], v[18:19]
	s_waitcnt vmcnt(0)
	v_fmac_f64_e32 v[28:29], v[8:9], v[22:23]
	v_fmac_f64_e32 v[2:3], v[10:11], v[22:23]
	v_fma_f64 v[14:15], -v[10:11], v[20:21], v[26:27]
	v_fmac_f64_e32 v[16:17], v[8:9], v[20:21]
	v_fma_f64 v[0:1], -v[10:11], v[24:25], v[28:29]
	v_fmac_f64_e32 v[2:3], v[8:9], v[24:25]
	global_store_dwordx4 v[12:13], v[14:17], off
	global_store_dwordx4 v[12:13], v[0:3], off offset:16
.LBB272_25:
	s_endpgm
	.section	.rodata,"a",@progbits
	.p2align	6, 0x0
	.amdhsa_kernel _ZN9rocsparseL19gebsrmvn_2xn_kernelILj128ELj10ELj64E21rocsparse_complex_numIdEEEvi20rocsparse_direction_NS_24const_host_device_scalarIT2_EEPKiS8_PKS5_SA_S6_PS5_21rocsparse_index_base_b
		.amdhsa_group_segment_fixed_size 2048
		.amdhsa_private_segment_fixed_size 0
		.amdhsa_kernarg_size 88
		.amdhsa_user_sgpr_count 4
		.amdhsa_user_sgpr_dispatch_ptr 1
		.amdhsa_user_sgpr_queue_ptr 0
		.amdhsa_user_sgpr_kernarg_segment_ptr 1
		.amdhsa_user_sgpr_dispatch_id 0
		.amdhsa_user_sgpr_kernarg_preload_length 0
		.amdhsa_user_sgpr_kernarg_preload_offset 0
		.amdhsa_user_sgpr_private_segment_size 0
		.amdhsa_uses_dynamic_stack 0
		.amdhsa_enable_private_segment 0
		.amdhsa_system_sgpr_workgroup_id_x 1
		.amdhsa_system_sgpr_workgroup_id_y 0
		.amdhsa_system_sgpr_workgroup_id_z 0
		.amdhsa_system_sgpr_workgroup_info 0
		.amdhsa_system_vgpr_workitem_id 2
		.amdhsa_next_free_vgpr 92
		.amdhsa_next_free_sgpr 20
		.amdhsa_accum_offset 92
		.amdhsa_reserve_vcc 1
		.amdhsa_float_round_mode_32 0
		.amdhsa_float_round_mode_16_64 0
		.amdhsa_float_denorm_mode_32 3
		.amdhsa_float_denorm_mode_16_64 3
		.amdhsa_dx10_clamp 1
		.amdhsa_ieee_mode 1
		.amdhsa_fp16_overflow 0
		.amdhsa_tg_split 0
		.amdhsa_exception_fp_ieee_invalid_op 0
		.amdhsa_exception_fp_denorm_src 0
		.amdhsa_exception_fp_ieee_div_zero 0
		.amdhsa_exception_fp_ieee_overflow 0
		.amdhsa_exception_fp_ieee_underflow 0
		.amdhsa_exception_fp_ieee_inexact 0
		.amdhsa_exception_int_div_zero 0
	.end_amdhsa_kernel
	.section	.text._ZN9rocsparseL19gebsrmvn_2xn_kernelILj128ELj10ELj64E21rocsparse_complex_numIdEEEvi20rocsparse_direction_NS_24const_host_device_scalarIT2_EEPKiS8_PKS5_SA_S6_PS5_21rocsparse_index_base_b,"axG",@progbits,_ZN9rocsparseL19gebsrmvn_2xn_kernelILj128ELj10ELj64E21rocsparse_complex_numIdEEEvi20rocsparse_direction_NS_24const_host_device_scalarIT2_EEPKiS8_PKS5_SA_S6_PS5_21rocsparse_index_base_b,comdat
.Lfunc_end272:
	.size	_ZN9rocsparseL19gebsrmvn_2xn_kernelILj128ELj10ELj64E21rocsparse_complex_numIdEEEvi20rocsparse_direction_NS_24const_host_device_scalarIT2_EEPKiS8_PKS5_SA_S6_PS5_21rocsparse_index_base_b, .Lfunc_end272-_ZN9rocsparseL19gebsrmvn_2xn_kernelILj128ELj10ELj64E21rocsparse_complex_numIdEEEvi20rocsparse_direction_NS_24const_host_device_scalarIT2_EEPKiS8_PKS5_SA_S6_PS5_21rocsparse_index_base_b
                                        ; -- End function
	.section	.AMDGPU.csdata,"",@progbits
; Kernel info:
; codeLenInByte = 3376
; NumSgprs: 26
; NumVgprs: 92
; NumAgprs: 0
; TotalNumVgprs: 92
; ScratchSize: 0
; MemoryBound: 1
; FloatMode: 240
; IeeeMode: 1
; LDSByteSize: 2048 bytes/workgroup (compile time only)
; SGPRBlocks: 3
; VGPRBlocks: 11
; NumSGPRsForWavesPerEU: 26
; NumVGPRsForWavesPerEU: 92
; AccumOffset: 92
; Occupancy: 5
; WaveLimiterHint : 1
; COMPUTE_PGM_RSRC2:SCRATCH_EN: 0
; COMPUTE_PGM_RSRC2:USER_SGPR: 4
; COMPUTE_PGM_RSRC2:TRAP_HANDLER: 0
; COMPUTE_PGM_RSRC2:TGID_X_EN: 1
; COMPUTE_PGM_RSRC2:TGID_Y_EN: 0
; COMPUTE_PGM_RSRC2:TGID_Z_EN: 0
; COMPUTE_PGM_RSRC2:TIDIG_COMP_CNT: 2
; COMPUTE_PGM_RSRC3_GFX90A:ACCUM_OFFSET: 22
; COMPUTE_PGM_RSRC3_GFX90A:TG_SPLIT: 0
	.section	.text._ZN9rocsparseL19gebsrmvn_2xn_kernelILj128ELj11ELj4E21rocsparse_complex_numIdEEEvi20rocsparse_direction_NS_24const_host_device_scalarIT2_EEPKiS8_PKS5_SA_S6_PS5_21rocsparse_index_base_b,"axG",@progbits,_ZN9rocsparseL19gebsrmvn_2xn_kernelILj128ELj11ELj4E21rocsparse_complex_numIdEEEvi20rocsparse_direction_NS_24const_host_device_scalarIT2_EEPKiS8_PKS5_SA_S6_PS5_21rocsparse_index_base_b,comdat
	.globl	_ZN9rocsparseL19gebsrmvn_2xn_kernelILj128ELj11ELj4E21rocsparse_complex_numIdEEEvi20rocsparse_direction_NS_24const_host_device_scalarIT2_EEPKiS8_PKS5_SA_S6_PS5_21rocsparse_index_base_b ; -- Begin function _ZN9rocsparseL19gebsrmvn_2xn_kernelILj128ELj11ELj4E21rocsparse_complex_numIdEEEvi20rocsparse_direction_NS_24const_host_device_scalarIT2_EEPKiS8_PKS5_SA_S6_PS5_21rocsparse_index_base_b
	.p2align	8
	.type	_ZN9rocsparseL19gebsrmvn_2xn_kernelILj128ELj11ELj4E21rocsparse_complex_numIdEEEvi20rocsparse_direction_NS_24const_host_device_scalarIT2_EEPKiS8_PKS5_SA_S6_PS5_21rocsparse_index_base_b,@function
_ZN9rocsparseL19gebsrmvn_2xn_kernelILj128ELj11ELj4E21rocsparse_complex_numIdEEEvi20rocsparse_direction_NS_24const_host_device_scalarIT2_EEPKiS8_PKS5_SA_S6_PS5_21rocsparse_index_base_b: ; @_ZN9rocsparseL19gebsrmvn_2xn_kernelILj128ELj11ELj4E21rocsparse_complex_numIdEEEvi20rocsparse_direction_NS_24const_host_device_scalarIT2_EEPKiS8_PKS5_SA_S6_PS5_21rocsparse_index_base_b
; %bb.0:
	s_load_dwordx2 s[16:17], s[2:3], 0x50
	s_load_dwordx4 s[12:15], s[2:3], 0x8
	s_load_dwordx4 s[8:11], s[2:3], 0x38
	s_load_dwordx2 s[18:19], s[0:1], 0x4
	s_mov_b64 s[6:7], src_shared_base
	s_waitcnt lgkmcnt(0)
	s_bitcmp1_b32 s17, 0
	s_cselect_b64 s[0:1], -1, 0
	s_and_b64 vcc, s[0:1], exec
	s_cselect_b32 s5, s7, s13
	s_lshr_b32 s6, s18, 16
	v_bfe_u32 v2, v0, 10, 10
	v_and_b32_e32 v1, 0x3ff, v0
	s_mul_i32 s6, s6, s19
	v_mul_u32_u24_e32 v2, s19, v2
	v_mad_u32_u24 v2, s6, v1, v2
	v_bfe_u32 v0, v0, 20, 10
	v_add_lshl_u32 v0, v2, v0, 3
	v_mov_b32_e32 v6, s12
	v_add_u32_e32 v7, 0x400, v0
	v_mov_b64_e32 v[2:3], s[12:13]
	v_mov_b64_e32 v[4:5], s[8:9]
	ds_write2st64_b64 v0, v[4:5], v[2:3] offset1:2
	v_cndmask_b32_e64 v2, v6, v7, s[0:1]
	v_mov_b32_e32 v3, s5
	flat_load_dwordx2 v[8:9], v[2:3]
	s_xor_b64 s[18:19], s[0:1], -1
	v_mov_b64_e32 v[10:11], s[14:15]
	s_cbranch_vccnz .LBB273_2
; %bb.1:
	v_mov_b64_e32 v[2:3], s[12:13]
	flat_load_dwordx2 v[10:11], v[2:3] offset:8
.LBB273_2:
	s_and_b64 s[12:13], s[0:1], exec
	s_cselect_b32 s5, s7, s9
	v_mov_b32_e32 v2, s8
	v_cndmask_b32_e64 v2, v2, v0, s[0:1]
	v_mov_b32_e32 v3, s5
	flat_load_dwordx2 v[12:13], v[2:3]
	s_andn2_b64 vcc, exec, s[18:19]
	v_mov_b64_e32 v[14:15], s[10:11]
	s_cbranch_vccnz .LBB273_4
; %bb.3:
	v_mov_b64_e32 v[2:3], s[8:9]
	flat_load_dwordx2 v[14:15], v[2:3] offset:8
.LBB273_4:
	s_waitcnt vmcnt(0) lgkmcnt(0)
	v_cmp_eq_f64_e32 vcc, 0, v[8:9]
	v_cmp_eq_f64_e64 s[0:1], 0, v[10:11]
	s_and_b64 s[8:9], vcc, s[0:1]
	s_mov_b64 s[0:1], -1
	s_and_saveexec_b64 s[6:7], s[8:9]
; %bb.5:
	v_cmp_neq_f64_e32 vcc, 1.0, v[12:13]
	v_cmp_neq_f64_e64 s[0:1], 0, v[14:15]
	s_or_b64 s[0:1], vcc, s[0:1]
	s_orn2_b64 s[0:1], s[0:1], exec
; %bb.6:
	s_or_b64 exec, exec, s[6:7]
	s_and_saveexec_b64 s[6:7], s[0:1]
	s_cbranch_execz .LBB273_25
; %bb.7:
	s_load_dwordx2 s[0:1], s[2:3], 0x0
	v_lshrrev_b32_e32 v0, 2, v1
	v_lshl_or_b32 v16, s4, 5, v0
	s_waitcnt lgkmcnt(0)
	v_cmp_gt_i32_e32 vcc, s0, v16
	s_and_b64 exec, exec, vcc
	s_cbranch_execz .LBB273_25
; %bb.8:
	s_load_dwordx8 s[4:11], s[2:3], 0x18
	v_ashrrev_i32_e32 v17, 31, v16
	s_cmp_lg_u32 s1, 0
	s_waitcnt lgkmcnt(0)
	v_lshl_add_u64 v[2:3], v[16:17], 2, s[4:5]
	global_load_dwordx2 v[2:3], v[2:3], off
	v_and_b32_e32 v17, 3, v1
	s_waitcnt vmcnt(0)
	v_subrev_u32_e32 v0, s16, v2
	v_subrev_u32_e32 v36, s16, v3
	v_add_u32_e32 v22, v0, v17
	v_cmp_lt_i32_e64 s[0:1], v22, v36
	s_cbranch_scc0 .LBB273_14
; %bb.9:
	v_mov_b64_e32 v[18:19], 0
	s_mov_b64 s[4:5], 0
	v_mov_b64_e32 v[26:27], v[18:19]
	v_mov_b64_e32 v[24:25], v[18:19]
	;; [unrolled: 1-line block ×3, first 2 shown]
	s_and_saveexec_b64 s[12:13], s[0:1]
	s_cbranch_execz .LBB273_13
; %bb.10:
	v_mad_u64_u32 v[28:29], s[14:15], v22, 22, 20
	v_mov_b64_e32 v[18:19], 0
	s_mov_b64 s[14:15], 0
	v_mov_b32_e32 v31, 0
	v_mov_b32_e32 v32, v22
	v_mov_b64_e32 v[26:27], v[18:19]
	v_mov_b64_e32 v[24:25], v[18:19]
	;; [unrolled: 1-line block ×3, first 2 shown]
.LBB273_11:                             ; =>This Inner Loop Header: Depth=1
	v_ashrrev_i32_e32 v33, 31, v32
	v_subrev_u32_e32 v30, 20, v28
	v_lshl_add_u64 v[0:1], v[32:33], 2, s[6:7]
	v_lshl_add_u64 v[2:3], v[30:31], 4, s[8:9]
	global_load_dword v23, v[0:1], off
	global_load_dwordx4 v[38:41], v[2:3], off offset:16
	global_load_dwordx4 v[42:45], v[2:3], off
	v_mov_b32_e32 v29, v31
	v_mov_b32_e32 v35, v31
	v_subrev_u32_e32 v30, 18, v28
	v_lshl_add_u64 v[54:55], v[28:29], 4, s[8:9]
	v_lshl_add_u64 v[56:57], v[30:31], 4, s[8:9]
	global_load_dwordx4 v[0:3], v[54:55], off offset:16
	global_load_dwordx4 v[4:7], v[54:55], off
	global_load_dwordx4 v[46:49], v[56:57], off offset:16
	global_load_dwordx4 v[50:53], v[56:57], off
	v_add_u32_e32 v32, 4, v32
	v_cmp_ge_i32_e32 vcc, v32, v36
	s_or_b64 s[14:15], vcc, s[14:15]
	s_waitcnt vmcnt(6)
	v_subrev_u32_e32 v23, s16, v23
	v_mul_lo_u32 v34, v23, 11
	v_lshl_add_u64 v[54:55], v[34:35], 4, s[10:11]
	global_load_dwordx4 v[54:57], v[54:55], off
	v_add_u32_e32 v30, 1, v34
	v_lshl_add_u64 v[58:59], v[30:31], 4, s[10:11]
	global_load_dwordx4 v[58:61], v[58:59], off
	v_add_u32_e32 v30, -16, v28
	v_lshl_add_u64 v[70:71], v[30:31], 4, s[8:9]
	v_add_u32_e32 v30, 2, v34
	global_load_dwordx4 v[62:65], v[70:71], off offset:16
	global_load_dwordx4 v[66:69], v[70:71], off
	v_lshl_add_u64 v[70:71], v[30:31], 4, s[10:11]
	v_add_u32_e32 v30, -14, v28
	global_load_dwordx4 v[70:73], v[70:71], off
	v_lshl_add_u64 v[82:83], v[30:31], 4, s[8:9]
	v_add_u32_e32 v30, 3, v34
	global_load_dwordx4 v[74:77], v[82:83], off offset:16
	global_load_dwordx4 v[78:81], v[82:83], off
	v_lshl_add_u64 v[82:83], v[30:31], 4, s[10:11]
	v_add_u32_e32 v30, -12, v28
	global_load_dwordx4 v[82:85], v[82:83], off
	v_lshl_add_u64 v[86:87], v[30:31], 4, s[8:9]
	v_add_u32_e32 v30, 4, v34
	s_waitcnt vmcnt(7)
	v_fmac_f64_e32 v[20:21], v[40:41], v[54:55]
	v_fmac_f64_e32 v[26:27], v[42:43], v[54:55]
	;; [unrolled: 1-line block ×5, first 2 shown]
	v_lshl_add_u64 v[38:39], v[30:31], 4, s[10:11]
	v_fma_f64 v[88:89], -v[44:45], v[56:57], v[26:27]
	v_fmac_f64_e32 v[18:19], v[42:43], v[56:57]
	global_load_dwordx4 v[42:45], v[86:87], off offset:16
	v_fma_f64 v[54:55], -v[40:41], v[56:57], v[24:25]
	global_load_dwordx4 v[24:27], v[86:87], off
	v_add_u32_e32 v30, -10, v28
	global_load_dwordx4 v[38:41], v[38:39], off
	v_lshl_add_u64 v[56:57], v[30:31], 4, s[8:9]
	v_add_u32_e32 v30, 5, v34
	s_waitcnt vmcnt(9)
	v_fmac_f64_e32 v[88:89], v[50:51], v[58:59]
	v_fmac_f64_e32 v[54:55], v[46:47], v[58:59]
	;; [unrolled: 1-line block ×3, first 2 shown]
	v_fma_f64 v[86:87], -v[52:53], v[60:61], v[88:89]
	v_fmac_f64_e32 v[20:21], v[48:49], v[58:59]
	v_fma_f64 v[88:89], -v[48:49], v[60:61], v[54:55]
	v_lshl_add_u64 v[54:55], v[30:31], 4, s[10:11]
	v_fmac_f64_e32 v[18:19], v[50:51], v[60:61]
	global_load_dwordx4 v[50:53], v[56:57], off offset:16
	v_fmac_f64_e32 v[20:21], v[46:47], v[60:61]
	global_load_dwordx4 v[46:49], v[56:57], off
	v_add_u32_e32 v30, -8, v28
	global_load_dwordx4 v[54:57], v[54:55], off
	v_lshl_add_u64 v[90:91], v[30:31], 4, s[8:9]
	v_add_u32_e32 v30, 6, v34
	s_waitcnt vmcnt(9)
	v_fmac_f64_e32 v[18:19], v[68:69], v[70:71]
	v_fmac_f64_e32 v[20:21], v[64:65], v[70:71]
	;; [unrolled: 1-line block ×6, first 2 shown]
	v_lshl_add_u64 v[66:67], v[30:31], 4, s[10:11]
	v_add_u32_e32 v30, -6, v28
	v_fma_f64 v[86:87], -v[68:69], v[72:73], v[86:87]
	global_load_dwordx4 v[58:61], v[90:91], off offset:16
	v_fma_f64 v[88:89], -v[64:65], v[72:73], v[88:89]
	global_load_dwordx4 v[62:65], v[90:91], off
	v_lshl_add_u64 v[90:91], v[30:31], 4, s[8:9]
	global_load_dwordx4 v[66:69], v[66:67], off
	v_add_u32_e32 v30, 7, v34
	s_waitcnt vmcnt(9)
	v_fmac_f64_e32 v[18:19], v[80:81], v[82:83]
	v_fmac_f64_e32 v[20:21], v[76:77], v[82:83]
	;; [unrolled: 1-line block ×6, first 2 shown]
	v_lshl_add_u64 v[78:79], v[30:31], 4, s[10:11]
	v_add_u32_e32 v30, -4, v28
	v_fma_f64 v[86:87], -v[80:81], v[84:85], v[86:87]
	global_load_dwordx4 v[70:73], v[90:91], off offset:16
	v_fma_f64 v[82:83], -v[76:77], v[84:85], v[88:89]
	global_load_dwordx4 v[74:77], v[90:91], off
	v_lshl_add_u64 v[84:85], v[30:31], 4, s[8:9]
	global_load_dwordx4 v[78:81], v[78:79], off
	v_add_u32_e32 v30, 8, v34
	s_waitcnt vmcnt(9)
	v_fmac_f64_e32 v[20:21], v[44:45], v[38:39]
	v_fmac_f64_e32 v[86:87], v[24:25], v[38:39]
	;; [unrolled: 1-line block ×5, first 2 shown]
	v_lshl_add_u64 v[42:43], v[30:31], 4, s[10:11]
	v_add_u32_e32 v30, -2, v28
	v_fma_f64 v[86:87], -v[26:27], v[40:41], v[86:87]
	v_fmac_f64_e32 v[18:19], v[24:25], v[40:41]
	global_load_dwordx4 v[24:27], v[84:85], off offset:16
	v_fma_f64 v[82:83], -v[44:45], v[40:41], v[82:83]
	global_load_dwordx4 v[38:41], v[84:85], off
	v_lshl_add_u64 v[84:85], v[30:31], 4, s[8:9]
	global_load_dwordx4 v[42:45], v[42:43], off
	v_add_u32_e32 v30, 9, v34
	s_waitcnt vmcnt(9)
	v_fmac_f64_e32 v[86:87], v[46:47], v[54:55]
	v_fmac_f64_e32 v[18:19], v[48:49], v[54:55]
	;; [unrolled: 1-line block ×4, first 2 shown]
	v_lshl_add_u64 v[54:55], v[30:31], 4, s[10:11]
	v_fma_f64 v[86:87], -v[48:49], v[56:57], v[86:87]
	v_fmac_f64_e32 v[18:19], v[46:47], v[56:57]
	global_load_dwordx4 v[46:49], v[84:85], off offset:16
	v_fma_f64 v[88:89], -v[52:53], v[56:57], v[82:83]
	v_fmac_f64_e32 v[20:21], v[50:51], v[56:57]
	global_load_dwordx4 v[50:53], v[84:85], off
	v_add_u32_e32 v30, 10, v34
	global_load_dwordx4 v[54:57], v[54:55], off
	v_lshl_add_u64 v[34:35], v[30:31], 4, s[10:11]
	global_load_dwordx4 v[82:85], v[34:35], off
	v_add_u32_e32 v28, 0x58, v28
	s_waitcnt vmcnt(10)
	v_fmac_f64_e32 v[86:87], v[62:63], v[66:67]
	v_fmac_f64_e32 v[18:19], v[64:65], v[66:67]
	v_fmac_f64_e32 v[88:89], v[58:59], v[66:67]
	v_fmac_f64_e32 v[20:21], v[60:61], v[66:67]
	v_fma_f64 v[34:35], -v[64:65], v[68:69], v[86:87]
	v_fmac_f64_e32 v[18:19], v[62:63], v[68:69]
	v_fma_f64 v[60:61], -v[60:61], v[68:69], v[88:89]
	v_fmac_f64_e32 v[20:21], v[58:59], v[68:69]
	s_waitcnt vmcnt(7)
	v_fmac_f64_e32 v[34:35], v[74:75], v[78:79]
	v_fmac_f64_e32 v[18:19], v[76:77], v[78:79]
	v_fmac_f64_e32 v[60:61], v[70:71], v[78:79]
	v_fmac_f64_e32 v[20:21], v[72:73], v[78:79]
	v_fma_f64 v[34:35], -v[76:77], v[80:81], v[34:35]
	v_fmac_f64_e32 v[18:19], v[74:75], v[80:81]
	v_fma_f64 v[58:59], -v[72:73], v[80:81], v[60:61]
	v_fmac_f64_e32 v[20:21], v[70:71], v[80:81]
	;; [unrolled: 9-line block ×5, first 2 shown]
	s_andn2_b64 exec, exec, s[14:15]
	s_cbranch_execnz .LBB273_11
; %bb.12:
	s_or_b64 exec, exec, s[14:15]
.LBB273_13:
	s_or_b64 exec, exec, s[12:13]
	s_andn2_b64 vcc, exec, s[4:5]
	s_cbranch_vccz .LBB273_15
	s_branch .LBB273_20
.LBB273_14:
                                        ; implicit-def: $vgpr18_vgpr19
                                        ; implicit-def: $vgpr26_vgpr27
                                        ; implicit-def: $vgpr24_vgpr25
                                        ; implicit-def: $vgpr20_vgpr21
.LBB273_15:
	v_mov_b64_e32 v[18:19], 0
	v_mov_b64_e32 v[26:27], v[18:19]
	;; [unrolled: 1-line block ×4, first 2 shown]
	s_and_saveexec_b64 s[4:5], s[0:1]
	s_cbranch_execz .LBB273_19
; %bb.16:
	v_mad_u64_u32 v[4:5], s[0:1], v22, 22, 21
	v_mov_b64_e32 v[18:19], 0
	s_mov_b64 s[0:1], 0
	v_mov_b32_e32 v7, 0
	v_mov_b64_e32 v[26:27], v[18:19]
	v_mov_b64_e32 v[24:25], v[18:19]
	;; [unrolled: 1-line block ×3, first 2 shown]
.LBB273_17:                             ; =>This Inner Loop Header: Depth=1
	v_ashrrev_i32_e32 v23, 31, v22
	v_subrev_u32_e32 v6, 21, v4
	v_add_u32_e32 v0, -10, v4
	v_mov_b32_e32 v1, v7
	v_mov_b32_e32 v5, v7
	v_lshl_add_u64 v[34:35], v[22:23], 2, s[6:7]
	v_lshl_add_u64 v[46:47], v[6:7], 4, s[8:9]
	;; [unrolled: 1-line block ×4, first 2 shown]
	global_load_dword v5, v[34:35], off
	global_load_dwordx4 v[30:33], v[46:47], off offset:16
	global_load_dwordx4 v[38:41], v[46:47], off
	global_load_dwordx4 v[42:45], v[48:49], off
	;; [unrolled: 1-line block ×3, first 2 shown]
	v_mov_b32_e32 v29, v7
	v_add_u32_e32 v22, 4, v22
	v_cmp_ge_i32_e32 vcc, v22, v36
	s_or_b64 s[0:1], vcc, s[0:1]
	s_waitcnt vmcnt(4)
	v_subrev_u32_e32 v5, s16, v5
	v_mul_lo_u32 v28, v5, 11
	v_lshl_add_u64 v[34:35], v[28:29], 4, s[10:11]
	global_load_dwordx4 v[46:49], v[34:35], off
	v_add_u32_e32 v6, 1, v28
	v_lshl_add_u64 v[34:35], v[6:7], 4, s[10:11]
	global_load_dwordx4 v[50:53], v[34:35], off
	v_add_u32_e32 v6, -9, v4
	v_lshl_add_u64 v[34:35], v[6:7], 4, s[8:9]
	v_subrev_u32_e32 v6, 19, v4
	global_load_dwordx4 v[54:57], v[34:35], off
	v_lshl_add_u64 v[34:35], v[6:7], 4, s[8:9]
	v_add_u32_e32 v6, 2, v28
	global_load_dwordx4 v[58:61], v[34:35], off
	v_lshl_add_u64 v[34:35], v[6:7], 4, s[10:11]
	v_add_u32_e32 v6, -8, v4
	global_load_dwordx4 v[62:65], v[34:35], off
	v_lshl_add_u64 v[34:35], v[6:7], 4, s[8:9]
	global_load_dwordx4 v[66:69], v[34:35], off
	v_subrev_u32_e32 v6, 18, v4
	v_lshl_add_u64 v[34:35], v[6:7], 4, s[8:9]
	v_add_u32_e32 v6, 3, v28
	global_load_dwordx4 v[70:73], v[34:35], off
	v_lshl_add_u64 v[34:35], v[6:7], 4, s[10:11]
	v_add_u32_e32 v6, -7, v4
	global_load_dwordx4 v[74:77], v[34:35], off
	v_lshl_add_u64 v[34:35], v[6:7], 4, s[8:9]
	v_subrev_u32_e32 v6, 17, v4
	s_waitcnt vmcnt(7)
	v_fmac_f64_e32 v[26:27], v[38:39], v[46:47]
	v_fmac_f64_e32 v[18:19], v[40:41], v[46:47]
	v_fma_f64 v[78:79], -v[40:41], v[48:49], v[26:27]
	v_lshl_add_u64 v[26:27], v[6:7], 4, s[8:9]
	v_add_u32_e32 v6, 4, v28
	v_fmac_f64_e32 v[20:21], v[44:45], v[46:47]
	v_fmac_f64_e32 v[18:19], v[38:39], v[48:49]
	global_load_dwordx4 v[38:41], v[34:35], off
	v_fmac_f64_e32 v[24:25], v[42:43], v[46:47]
	v_fmac_f64_e32 v[20:21], v[42:43], v[48:49]
	v_lshl_add_u64 v[42:43], v[6:7], 4, s[10:11]
	v_add_u32_e32 v6, -6, v4
	v_lshl_add_u64 v[46:47], v[6:7], 4, s[8:9]
	s_waitcnt vmcnt(7)
	v_fmac_f64_e32 v[78:79], v[30:31], v[50:51]
	v_fmac_f64_e32 v[18:19], v[32:33], v[50:51]
	v_add_u32_e32 v6, -16, v4
	v_fma_f64 v[78:79], -v[32:33], v[52:53], v[78:79]
	v_fmac_f64_e32 v[18:19], v[30:31], v[52:53]
	global_load_dwordx4 v[30:33], v[46:47], off
	v_fma_f64 v[34:35], -v[44:45], v[48:49], v[24:25]
	global_load_dwordx4 v[24:27], v[26:27], off
	v_lshl_add_u64 v[46:47], v[6:7], 4, s[8:9]
	global_load_dwordx4 v[42:45], v[42:43], off
	v_add_u32_e32 v6, 5, v28
	s_waitcnt vmcnt(9)
	v_fmac_f64_e32 v[34:35], v[54:55], v[50:51]
	v_fmac_f64_e32 v[20:21], v[56:57], v[50:51]
	v_lshl_add_u64 v[50:51], v[6:7], 4, s[10:11]
	v_add_u32_e32 v6, -5, v4
	v_fmac_f64_e32 v[20:21], v[54:55], v[52:53]
	v_lshl_add_u64 v[54:55], v[6:7], 4, s[8:9]
	v_fma_f64 v[34:35], -v[56:57], v[52:53], v[34:35]
	global_load_dwordx4 v[46:49], v[46:47], off
	v_add_u32_e32 v6, -15, v4
	global_load_dwordx4 v[50:53], v[50:51], off
	s_waitcnt vmcnt(9)
	v_fmac_f64_e32 v[18:19], v[60:61], v[62:63]
	global_load_dwordx4 v[54:57], v[54:55], off
	v_fmac_f64_e32 v[78:79], v[58:59], v[62:63]
	v_fmac_f64_e32 v[18:19], v[58:59], v[64:65]
	v_lshl_add_u64 v[58:59], v[6:7], 4, s[8:9]
	v_add_u32_e32 v6, 6, v28
	s_waitcnt vmcnt(9)
	v_fmac_f64_e32 v[34:35], v[66:67], v[62:63]
	v_fmac_f64_e32 v[20:21], v[68:69], v[62:63]
	v_lshl_add_u64 v[62:63], v[6:7], 4, s[10:11]
	v_add_u32_e32 v6, -4, v4
	v_fma_f64 v[78:79], -v[60:61], v[64:65], v[78:79]
	global_load_dwordx4 v[58:61], v[58:59], off
	v_fma_f64 v[34:35], -v[68:69], v[64:65], v[34:35]
	v_fmac_f64_e32 v[20:21], v[66:67], v[64:65]
	global_load_dwordx4 v[62:65], v[62:63], off
	v_lshl_add_u64 v[66:67], v[6:7], 4, s[8:9]
	global_load_dwordx4 v[66:69], v[66:67], off
	v_add_u32_e32 v6, -14, v4
	s_waitcnt vmcnt(10)
	v_fmac_f64_e32 v[18:19], v[72:73], v[74:75]
	v_fmac_f64_e32 v[78:79], v[70:71], v[74:75]
	;; [unrolled: 1-line block ×3, first 2 shown]
	v_lshl_add_u64 v[70:71], v[6:7], 4, s[8:9]
	v_add_u32_e32 v6, 7, v28
	v_fma_f64 v[78:79], -v[72:73], v[76:77], v[78:79]
	s_waitcnt vmcnt(9)
	v_fmac_f64_e32 v[34:35], v[38:39], v[74:75]
	v_fmac_f64_e32 v[20:21], v[40:41], v[74:75]
	v_fma_f64 v[34:35], -v[40:41], v[76:77], v[34:35]
	v_fmac_f64_e32 v[20:21], v[38:39], v[76:77]
	global_load_dwordx4 v[38:41], v[70:71], off
	v_lshl_add_u64 v[70:71], v[6:7], 4, s[10:11]
	v_add_u32_e32 v6, -3, v4
	v_lshl_add_u64 v[74:75], v[6:7], 4, s[8:9]
	v_add_u32_e32 v6, -13, v4
	global_load_dwordx4 v[70:73], v[70:71], off
	s_waitcnt vmcnt(8)
	v_fmac_f64_e32 v[78:79], v[24:25], v[42:43]
	v_fma_f64 v[76:77], -v[26:27], v[44:45], v[78:79]
	v_lshl_add_u64 v[78:79], v[6:7], 4, s[8:9]
	v_add_u32_e32 v6, 8, v28
	v_fmac_f64_e32 v[18:19], v[26:27], v[42:43]
	v_fmac_f64_e32 v[34:35], v[30:31], v[42:43]
	;; [unrolled: 1-line block ×3, first 2 shown]
	v_lshl_add_u64 v[42:43], v[6:7], 4, s[10:11]
	v_add_u32_e32 v6, -2, v4
	v_fmac_f64_e32 v[18:19], v[24:25], v[44:45]
	global_load_dwordx4 v[24:27], v[74:75], off
	v_fma_f64 v[34:35], -v[32:33], v[44:45], v[34:35]
	v_fmac_f64_e32 v[20:21], v[30:31], v[44:45]
	global_load_dwordx4 v[30:33], v[78:79], off
	v_lshl_add_u64 v[74:75], v[6:7], 4, s[8:9]
	v_add_u32_e32 v6, -12, v4
	s_waitcnt vmcnt(8)
	v_fmac_f64_e32 v[76:77], v[46:47], v[50:51]
	v_fmac_f64_e32 v[18:19], v[48:49], v[50:51]
	v_lshl_add_u64 v[78:79], v[6:7], 4, s[8:9]
	v_add_u32_e32 v6, 9, v28
	s_waitcnt vmcnt(7)
	v_fmac_f64_e32 v[20:21], v[56:57], v[50:51]
	global_load_dwordx4 v[42:45], v[42:43], off
	v_fma_f64 v[76:77], -v[48:49], v[52:53], v[76:77]
	v_fmac_f64_e32 v[18:19], v[46:47], v[52:53]
	global_load_dwordx4 v[46:49], v[74:75], off
	v_fmac_f64_e32 v[34:35], v[54:55], v[50:51]
	v_fmac_f64_e32 v[20:21], v[54:55], v[52:53]
	v_lshl_add_u64 v[54:55], v[6:7], 4, s[10:11]
	v_add_u32_e32 v6, -1, v4
	v_fma_f64 v[34:35], -v[56:57], v[52:53], v[34:35]
	global_load_dwordx4 v[50:53], v[78:79], off
	v_lshl_add_u64 v[78:79], v[6:7], 4, s[8:9]
	v_add_u32_e32 v6, -11, v4
	v_lshl_add_u64 v[80:81], v[6:7], 4, s[8:9]
	v_add_u32_e32 v6, 10, v28
	global_load_dwordx4 v[54:57], v[54:55], off
	s_waitcnt vmcnt(9)
	v_fmac_f64_e32 v[76:77], v[58:59], v[62:63]
	v_fmac_f64_e32 v[18:19], v[60:61], v[62:63]
	v_fma_f64 v[28:29], -v[60:61], v[64:65], v[76:77]
	v_fmac_f64_e32 v[18:19], v[58:59], v[64:65]
	global_load_dwordx4 v[58:61], v[78:79], off
	global_load_dwordx4 v[74:77], v[80:81], off
	s_waitcnt vmcnt(10)
	v_fmac_f64_e32 v[34:35], v[66:67], v[62:63]
	v_fmac_f64_e32 v[20:21], v[68:69], v[62:63]
	v_lshl_add_u64 v[62:63], v[6:7], 4, s[10:11]
	v_fma_f64 v[34:35], -v[68:69], v[64:65], v[34:35]
	v_fmac_f64_e32 v[20:21], v[66:67], v[64:65]
	global_load_dwordx4 v[62:65], v[62:63], off
	v_add_u32_e32 v4, 0x58, v4
	s_waitcnt vmcnt(9)
	v_fmac_f64_e32 v[28:29], v[38:39], v[70:71]
	v_fmac_f64_e32 v[18:19], v[40:41], v[70:71]
	v_fma_f64 v[28:29], -v[40:41], v[72:73], v[28:29]
	v_fmac_f64_e32 v[18:19], v[38:39], v[72:73]
	s_waitcnt vmcnt(8)
	v_fmac_f64_e32 v[34:35], v[24:25], v[70:71]
	v_fmac_f64_e32 v[20:21], v[26:27], v[70:71]
	v_fma_f64 v[26:27], -v[26:27], v[72:73], v[34:35]
	v_fmac_f64_e32 v[20:21], v[24:25], v[72:73]
	s_waitcnt vmcnt(6)
	v_fmac_f64_e32 v[28:29], v[30:31], v[42:43]
	v_fmac_f64_e32 v[18:19], v[32:33], v[42:43]
	v_fma_f64 v[24:25], -v[32:33], v[44:45], v[28:29]
	s_waitcnt vmcnt(5)
	v_fmac_f64_e32 v[26:27], v[46:47], v[42:43]
	v_fmac_f64_e32 v[20:21], v[48:49], v[42:43]
	;; [unrolled: 1-line block ×3, first 2 shown]
	v_fma_f64 v[26:27], -v[48:49], v[44:45], v[26:27]
	v_fmac_f64_e32 v[20:21], v[46:47], v[44:45]
	s_waitcnt vmcnt(3)
	v_fmac_f64_e32 v[24:25], v[50:51], v[54:55]
	v_fmac_f64_e32 v[18:19], v[52:53], v[54:55]
	v_fma_f64 v[24:25], -v[52:53], v[56:57], v[24:25]
	v_fmac_f64_e32 v[18:19], v[50:51], v[56:57]
	s_waitcnt vmcnt(2)
	v_fmac_f64_e32 v[26:27], v[58:59], v[54:55]
	v_fmac_f64_e32 v[20:21], v[60:61], v[54:55]
	;; [unrolled: 5-line block ×3, first 2 shown]
	v_fmac_f64_e32 v[28:29], v[0:1], v[62:63]
	v_fmac_f64_e32 v[20:21], v[2:3], v[62:63]
	v_fma_f64 v[26:27], -v[76:77], v[64:65], v[24:25]
	v_fmac_f64_e32 v[18:19], v[74:75], v[64:65]
	v_fma_f64 v[24:25], -v[2:3], v[64:65], v[28:29]
	v_fmac_f64_e32 v[20:21], v[0:1], v[64:65]
	s_andn2_b64 exec, exec, s[0:1]
	s_cbranch_execnz .LBB273_17
; %bb.18:
	s_or_b64 exec, exec, s[0:1]
.LBB273_19:
	s_or_b64 exec, exec, s[4:5]
.LBB273_20:
	v_mov_b32_dpp v4, v18 row_shr:1 row_mask:0xf bank_mask:0xf
	v_mov_b32_dpp v5, v19 row_shr:1 row_mask:0xf bank_mask:0xf
	v_add_f64 v[6:7], v[18:19], v[4:5]
	v_mov_b32_dpp v4, v24 row_shr:1 row_mask:0xf bank_mask:0xf
	v_mov_b32_dpp v5, v25 row_shr:1 row_mask:0xf bank_mask:0xf
	;; [unrolled: 1-line block ×4, first 2 shown]
	v_add_f64 v[22:23], v[24:25], v[4:5]
	v_mov_b32_dpp v4, v20 row_shr:1 row_mask:0xf bank_mask:0xf
	v_mov_b32_dpp v5, v21 row_shr:1 row_mask:0xf bank_mask:0xf
	v_add_f64 v[0:1], v[26:27], v[0:1]
	v_add_f64 v[20:21], v[20:21], v[4:5]
	v_mov_b32_dpp v18, v6 row_shr:2 row_mask:0xf bank_mask:0xf
	v_mov_b32_dpp v2, v0 row_shr:2 row_mask:0xf bank_mask:0xf
	;; [unrolled: 1-line block ×8, first 2 shown]
	v_cmp_eq_u32_e32 vcc, 3, v17
	s_and_b64 exec, exec, vcc
	s_cbranch_execz .LBB273_25
; %bb.21:
	s_load_dwordx2 s[2:3], s[2:3], 0x48
	v_cmp_eq_f64_e32 vcc, 0, v[12:13]
	v_cmp_eq_f64_e64 s[0:1], 0, v[14:15]
	v_add_f64 v[4:5], v[0:1], v[2:3]
	v_add_f64 v[6:7], v[6:7], v[18:19]
	;; [unrolled: 1-line block ×4, first 2 shown]
	s_and_b64 s[0:1], vcc, s[0:1]
	s_and_saveexec_b64 s[4:5], s[0:1]
	s_xor_b64 s[0:1], exec, s[4:5]
	s_cbranch_execz .LBB273_23
; %bb.22:
	v_mul_f64 v[12:13], v[6:7], -v[10:11]
	v_mul_f64 v[14:15], v[8:9], v[6:7]
	v_fmac_f64_e32 v[12:13], v[8:9], v[4:5]
	v_fmac_f64_e32 v[14:15], v[10:11], v[4:5]
	v_lshlrev_b32_e32 v4, 1, v16
	v_ashrrev_i32_e32 v5, 31, v4
	s_waitcnt lgkmcnt(0)
	v_lshl_add_u64 v[16:17], v[4:5], 4, s[2:3]
	v_mul_f64 v[4:5], v[2:3], -v[10:11]
	v_mul_f64 v[6:7], v[8:9], v[2:3]
	v_fmac_f64_e32 v[4:5], v[8:9], v[0:1]
	v_fmac_f64_e32 v[6:7], v[10:11], v[0:1]
	global_store_dwordx4 v[16:17], v[12:15], off
	global_store_dwordx4 v[16:17], v[4:7], off offset:16
                                        ; implicit-def: $vgpr8_vgpr9
                                        ; implicit-def: $vgpr10_vgpr11
                                        ; implicit-def: $vgpr12_vgpr13
                                        ; implicit-def: $vgpr14_vgpr15
                                        ; implicit-def: $vgpr16
                                        ; implicit-def: $vgpr4_vgpr5
                                        ; implicit-def: $vgpr6_vgpr7
                                        ; implicit-def: $vgpr0_vgpr1
                                        ; implicit-def: $vgpr2_vgpr3
.LBB273_23:
	s_andn2_saveexec_b64 s[0:1], s[0:1]
	s_cbranch_execz .LBB273_25
; %bb.24:
	v_lshlrev_b32_e32 v16, 1, v16
	v_ashrrev_i32_e32 v17, 31, v16
	s_waitcnt lgkmcnt(0)
	v_lshl_add_u64 v[24:25], v[16:17], 4, s[2:3]
	global_load_dwordx4 v[16:19], v[24:25], off
	global_load_dwordx4 v[20:23], v[24:25], off offset:16
	v_mul_f64 v[26:27], v[6:7], -v[10:11]
	v_mul_f64 v[6:7], v[8:9], v[6:7]
	v_mul_f64 v[28:29], v[2:3], -v[10:11]
	v_mul_f64 v[2:3], v[8:9], v[2:3]
	v_fmac_f64_e32 v[26:27], v[8:9], v[4:5]
	v_fmac_f64_e32 v[6:7], v[10:11], v[4:5]
	v_fmac_f64_e32 v[28:29], v[8:9], v[0:1]
	v_fmac_f64_e32 v[2:3], v[10:11], v[0:1]
	s_waitcnt vmcnt(1)
	v_fmac_f64_e32 v[26:27], v[12:13], v[16:17]
	v_fmac_f64_e32 v[6:7], v[14:15], v[16:17]
	s_waitcnt vmcnt(0)
	v_fmac_f64_e32 v[28:29], v[12:13], v[20:21]
	v_fmac_f64_e32 v[2:3], v[14:15], v[20:21]
	v_fma_f64 v[4:5], -v[14:15], v[18:19], v[26:27]
	v_fmac_f64_e32 v[6:7], v[12:13], v[18:19]
	v_fma_f64 v[0:1], -v[14:15], v[22:23], v[28:29]
	v_fmac_f64_e32 v[2:3], v[12:13], v[22:23]
	global_store_dwordx4 v[24:25], v[4:7], off
	global_store_dwordx4 v[24:25], v[0:3], off offset:16
.LBB273_25:
	s_endpgm
	.section	.rodata,"a",@progbits
	.p2align	6, 0x0
	.amdhsa_kernel _ZN9rocsparseL19gebsrmvn_2xn_kernelILj128ELj11ELj4E21rocsparse_complex_numIdEEEvi20rocsparse_direction_NS_24const_host_device_scalarIT2_EEPKiS8_PKS5_SA_S6_PS5_21rocsparse_index_base_b
		.amdhsa_group_segment_fixed_size 2048
		.amdhsa_private_segment_fixed_size 0
		.amdhsa_kernarg_size 88
		.amdhsa_user_sgpr_count 4
		.amdhsa_user_sgpr_dispatch_ptr 1
		.amdhsa_user_sgpr_queue_ptr 0
		.amdhsa_user_sgpr_kernarg_segment_ptr 1
		.amdhsa_user_sgpr_dispatch_id 0
		.amdhsa_user_sgpr_kernarg_preload_length 0
		.amdhsa_user_sgpr_kernarg_preload_offset 0
		.amdhsa_user_sgpr_private_segment_size 0
		.amdhsa_uses_dynamic_stack 0
		.amdhsa_enable_private_segment 0
		.amdhsa_system_sgpr_workgroup_id_x 1
		.amdhsa_system_sgpr_workgroup_id_y 0
		.amdhsa_system_sgpr_workgroup_id_z 0
		.amdhsa_system_sgpr_workgroup_info 0
		.amdhsa_system_vgpr_workitem_id 2
		.amdhsa_next_free_vgpr 92
		.amdhsa_next_free_sgpr 20
		.amdhsa_accum_offset 92
		.amdhsa_reserve_vcc 1
		.amdhsa_float_round_mode_32 0
		.amdhsa_float_round_mode_16_64 0
		.amdhsa_float_denorm_mode_32 3
		.amdhsa_float_denorm_mode_16_64 3
		.amdhsa_dx10_clamp 1
		.amdhsa_ieee_mode 1
		.amdhsa_fp16_overflow 0
		.amdhsa_tg_split 0
		.amdhsa_exception_fp_ieee_invalid_op 0
		.amdhsa_exception_fp_denorm_src 0
		.amdhsa_exception_fp_ieee_div_zero 0
		.amdhsa_exception_fp_ieee_overflow 0
		.amdhsa_exception_fp_ieee_underflow 0
		.amdhsa_exception_fp_ieee_inexact 0
		.amdhsa_exception_int_div_zero 0
	.end_amdhsa_kernel
	.section	.text._ZN9rocsparseL19gebsrmvn_2xn_kernelILj128ELj11ELj4E21rocsparse_complex_numIdEEEvi20rocsparse_direction_NS_24const_host_device_scalarIT2_EEPKiS8_PKS5_SA_S6_PS5_21rocsparse_index_base_b,"axG",@progbits,_ZN9rocsparseL19gebsrmvn_2xn_kernelILj128ELj11ELj4E21rocsparse_complex_numIdEEEvi20rocsparse_direction_NS_24const_host_device_scalarIT2_EEPKiS8_PKS5_SA_S6_PS5_21rocsparse_index_base_b,comdat
.Lfunc_end273:
	.size	_ZN9rocsparseL19gebsrmvn_2xn_kernelILj128ELj11ELj4E21rocsparse_complex_numIdEEEvi20rocsparse_direction_NS_24const_host_device_scalarIT2_EEPKiS8_PKS5_SA_S6_PS5_21rocsparse_index_base_b, .Lfunc_end273-_ZN9rocsparseL19gebsrmvn_2xn_kernelILj128ELj11ELj4E21rocsparse_complex_numIdEEEvi20rocsparse_direction_NS_24const_host_device_scalarIT2_EEPKiS8_PKS5_SA_S6_PS5_21rocsparse_index_base_b
                                        ; -- End function
	.section	.AMDGPU.csdata,"",@progbits
; Kernel info:
; codeLenInByte = 3340
; NumSgprs: 26
; NumVgprs: 92
; NumAgprs: 0
; TotalNumVgprs: 92
; ScratchSize: 0
; MemoryBound: 0
; FloatMode: 240
; IeeeMode: 1
; LDSByteSize: 2048 bytes/workgroup (compile time only)
; SGPRBlocks: 3
; VGPRBlocks: 11
; NumSGPRsForWavesPerEU: 26
; NumVGPRsForWavesPerEU: 92
; AccumOffset: 92
; Occupancy: 5
; WaveLimiterHint : 1
; COMPUTE_PGM_RSRC2:SCRATCH_EN: 0
; COMPUTE_PGM_RSRC2:USER_SGPR: 4
; COMPUTE_PGM_RSRC2:TRAP_HANDLER: 0
; COMPUTE_PGM_RSRC2:TGID_X_EN: 1
; COMPUTE_PGM_RSRC2:TGID_Y_EN: 0
; COMPUTE_PGM_RSRC2:TGID_Z_EN: 0
; COMPUTE_PGM_RSRC2:TIDIG_COMP_CNT: 2
; COMPUTE_PGM_RSRC3_GFX90A:ACCUM_OFFSET: 22
; COMPUTE_PGM_RSRC3_GFX90A:TG_SPLIT: 0
	.section	.text._ZN9rocsparseL19gebsrmvn_2xn_kernelILj128ELj11ELj8E21rocsparse_complex_numIdEEEvi20rocsparse_direction_NS_24const_host_device_scalarIT2_EEPKiS8_PKS5_SA_S6_PS5_21rocsparse_index_base_b,"axG",@progbits,_ZN9rocsparseL19gebsrmvn_2xn_kernelILj128ELj11ELj8E21rocsparse_complex_numIdEEEvi20rocsparse_direction_NS_24const_host_device_scalarIT2_EEPKiS8_PKS5_SA_S6_PS5_21rocsparse_index_base_b,comdat
	.globl	_ZN9rocsparseL19gebsrmvn_2xn_kernelILj128ELj11ELj8E21rocsparse_complex_numIdEEEvi20rocsparse_direction_NS_24const_host_device_scalarIT2_EEPKiS8_PKS5_SA_S6_PS5_21rocsparse_index_base_b ; -- Begin function _ZN9rocsparseL19gebsrmvn_2xn_kernelILj128ELj11ELj8E21rocsparse_complex_numIdEEEvi20rocsparse_direction_NS_24const_host_device_scalarIT2_EEPKiS8_PKS5_SA_S6_PS5_21rocsparse_index_base_b
	.p2align	8
	.type	_ZN9rocsparseL19gebsrmvn_2xn_kernelILj128ELj11ELj8E21rocsparse_complex_numIdEEEvi20rocsparse_direction_NS_24const_host_device_scalarIT2_EEPKiS8_PKS5_SA_S6_PS5_21rocsparse_index_base_b,@function
_ZN9rocsparseL19gebsrmvn_2xn_kernelILj128ELj11ELj8E21rocsparse_complex_numIdEEEvi20rocsparse_direction_NS_24const_host_device_scalarIT2_EEPKiS8_PKS5_SA_S6_PS5_21rocsparse_index_base_b: ; @_ZN9rocsparseL19gebsrmvn_2xn_kernelILj128ELj11ELj8E21rocsparse_complex_numIdEEEvi20rocsparse_direction_NS_24const_host_device_scalarIT2_EEPKiS8_PKS5_SA_S6_PS5_21rocsparse_index_base_b
; %bb.0:
	s_load_dwordx2 s[16:17], s[2:3], 0x50
	s_load_dwordx4 s[12:15], s[2:3], 0x8
	s_load_dwordx4 s[8:11], s[2:3], 0x38
	s_load_dwordx2 s[18:19], s[0:1], 0x4
	s_mov_b64 s[6:7], src_shared_base
	s_waitcnt lgkmcnt(0)
	s_bitcmp1_b32 s17, 0
	s_cselect_b64 s[0:1], -1, 0
	s_and_b64 vcc, s[0:1], exec
	s_cselect_b32 s5, s7, s13
	s_lshr_b32 s6, s18, 16
	v_bfe_u32 v2, v0, 10, 10
	v_and_b32_e32 v1, 0x3ff, v0
	s_mul_i32 s6, s6, s19
	v_mul_u32_u24_e32 v2, s19, v2
	v_mad_u32_u24 v2, s6, v1, v2
	v_bfe_u32 v0, v0, 20, 10
	v_add_lshl_u32 v0, v2, v0, 3
	v_mov_b32_e32 v6, s12
	v_add_u32_e32 v7, 0x400, v0
	v_mov_b64_e32 v[2:3], s[12:13]
	v_mov_b64_e32 v[4:5], s[8:9]
	ds_write2st64_b64 v0, v[4:5], v[2:3] offset1:2
	v_cndmask_b32_e64 v2, v6, v7, s[0:1]
	v_mov_b32_e32 v3, s5
	flat_load_dwordx2 v[8:9], v[2:3]
	s_xor_b64 s[18:19], s[0:1], -1
	v_mov_b64_e32 v[10:11], s[14:15]
	s_cbranch_vccnz .LBB274_2
; %bb.1:
	v_mov_b64_e32 v[2:3], s[12:13]
	flat_load_dwordx2 v[10:11], v[2:3] offset:8
.LBB274_2:
	s_and_b64 s[12:13], s[0:1], exec
	s_cselect_b32 s5, s7, s9
	v_mov_b32_e32 v2, s8
	v_cndmask_b32_e64 v2, v2, v0, s[0:1]
	v_mov_b32_e32 v3, s5
	flat_load_dwordx2 v[12:13], v[2:3]
	s_andn2_b64 vcc, exec, s[18:19]
	v_mov_b64_e32 v[14:15], s[10:11]
	s_cbranch_vccnz .LBB274_4
; %bb.3:
	v_mov_b64_e32 v[2:3], s[8:9]
	flat_load_dwordx2 v[14:15], v[2:3] offset:8
.LBB274_4:
	s_waitcnt vmcnt(0) lgkmcnt(0)
	v_cmp_eq_f64_e32 vcc, 0, v[8:9]
	v_cmp_eq_f64_e64 s[0:1], 0, v[10:11]
	s_and_b64 s[8:9], vcc, s[0:1]
	s_mov_b64 s[0:1], -1
	s_and_saveexec_b64 s[6:7], s[8:9]
; %bb.5:
	v_cmp_neq_f64_e32 vcc, 1.0, v[12:13]
	v_cmp_neq_f64_e64 s[0:1], 0, v[14:15]
	s_or_b64 s[0:1], vcc, s[0:1]
	s_orn2_b64 s[0:1], s[0:1], exec
; %bb.6:
	s_or_b64 exec, exec, s[6:7]
	s_and_saveexec_b64 s[6:7], s[0:1]
	s_cbranch_execz .LBB274_25
; %bb.7:
	s_load_dwordx2 s[0:1], s[2:3], 0x0
	v_lshrrev_b32_e32 v0, 3, v1
	v_lshl_or_b32 v16, s4, 4, v0
	s_waitcnt lgkmcnt(0)
	v_cmp_gt_i32_e32 vcc, s0, v16
	s_and_b64 exec, exec, vcc
	s_cbranch_execz .LBB274_25
; %bb.8:
	s_load_dwordx8 s[4:11], s[2:3], 0x18
	v_ashrrev_i32_e32 v17, 31, v16
	s_cmp_lg_u32 s1, 0
	s_waitcnt lgkmcnt(0)
	v_lshl_add_u64 v[2:3], v[16:17], 2, s[4:5]
	global_load_dwordx2 v[2:3], v[2:3], off
	v_and_b32_e32 v17, 7, v1
	s_waitcnt vmcnt(0)
	v_subrev_u32_e32 v0, s16, v2
	v_subrev_u32_e32 v36, s16, v3
	v_add_u32_e32 v22, v0, v17
	v_cmp_lt_i32_e64 s[0:1], v22, v36
	s_cbranch_scc0 .LBB274_14
; %bb.9:
	v_mov_b64_e32 v[18:19], 0
	s_mov_b64 s[4:5], 0
	v_mov_b64_e32 v[26:27], v[18:19]
	v_mov_b64_e32 v[24:25], v[18:19]
	;; [unrolled: 1-line block ×3, first 2 shown]
	s_and_saveexec_b64 s[12:13], s[0:1]
	s_cbranch_execz .LBB274_13
; %bb.10:
	v_mad_u64_u32 v[28:29], s[14:15], v22, 22, 20
	v_mov_b64_e32 v[18:19], 0
	s_mov_b64 s[14:15], 0
	v_mov_b32_e32 v31, 0
	v_mov_b32_e32 v32, v22
	v_mov_b64_e32 v[26:27], v[18:19]
	v_mov_b64_e32 v[24:25], v[18:19]
	;; [unrolled: 1-line block ×3, first 2 shown]
.LBB274_11:                             ; =>This Inner Loop Header: Depth=1
	v_ashrrev_i32_e32 v33, 31, v32
	v_subrev_u32_e32 v30, 20, v28
	v_lshl_add_u64 v[0:1], v[32:33], 2, s[6:7]
	v_lshl_add_u64 v[2:3], v[30:31], 4, s[8:9]
	global_load_dword v23, v[0:1], off
	global_load_dwordx4 v[38:41], v[2:3], off offset:16
	global_load_dwordx4 v[42:45], v[2:3], off
	v_mov_b32_e32 v29, v31
	v_mov_b32_e32 v35, v31
	v_subrev_u32_e32 v30, 18, v28
	v_lshl_add_u64 v[54:55], v[28:29], 4, s[8:9]
	v_lshl_add_u64 v[56:57], v[30:31], 4, s[8:9]
	global_load_dwordx4 v[0:3], v[54:55], off offset:16
	global_load_dwordx4 v[4:7], v[54:55], off
	global_load_dwordx4 v[46:49], v[56:57], off offset:16
	global_load_dwordx4 v[50:53], v[56:57], off
	v_add_u32_e32 v32, 8, v32
	v_cmp_ge_i32_e32 vcc, v32, v36
	s_or_b64 s[14:15], vcc, s[14:15]
	s_waitcnt vmcnt(6)
	v_subrev_u32_e32 v23, s16, v23
	v_mul_lo_u32 v34, v23, 11
	v_lshl_add_u64 v[54:55], v[34:35], 4, s[10:11]
	global_load_dwordx4 v[54:57], v[54:55], off
	v_add_u32_e32 v30, 1, v34
	v_lshl_add_u64 v[58:59], v[30:31], 4, s[10:11]
	global_load_dwordx4 v[58:61], v[58:59], off
	v_add_u32_e32 v30, -16, v28
	v_lshl_add_u64 v[70:71], v[30:31], 4, s[8:9]
	v_add_u32_e32 v30, 2, v34
	global_load_dwordx4 v[62:65], v[70:71], off offset:16
	global_load_dwordx4 v[66:69], v[70:71], off
	v_lshl_add_u64 v[70:71], v[30:31], 4, s[10:11]
	v_add_u32_e32 v30, -14, v28
	global_load_dwordx4 v[70:73], v[70:71], off
	v_lshl_add_u64 v[82:83], v[30:31], 4, s[8:9]
	v_add_u32_e32 v30, 3, v34
	global_load_dwordx4 v[74:77], v[82:83], off offset:16
	global_load_dwordx4 v[78:81], v[82:83], off
	v_lshl_add_u64 v[82:83], v[30:31], 4, s[10:11]
	v_add_u32_e32 v30, -12, v28
	global_load_dwordx4 v[82:85], v[82:83], off
	v_lshl_add_u64 v[86:87], v[30:31], 4, s[8:9]
	v_add_u32_e32 v30, 4, v34
	s_waitcnt vmcnt(7)
	v_fmac_f64_e32 v[20:21], v[40:41], v[54:55]
	v_fmac_f64_e32 v[26:27], v[42:43], v[54:55]
	;; [unrolled: 1-line block ×5, first 2 shown]
	v_lshl_add_u64 v[38:39], v[30:31], 4, s[10:11]
	v_fma_f64 v[88:89], -v[44:45], v[56:57], v[26:27]
	v_fmac_f64_e32 v[18:19], v[42:43], v[56:57]
	global_load_dwordx4 v[42:45], v[86:87], off offset:16
	v_fma_f64 v[54:55], -v[40:41], v[56:57], v[24:25]
	global_load_dwordx4 v[24:27], v[86:87], off
	v_add_u32_e32 v30, -10, v28
	global_load_dwordx4 v[38:41], v[38:39], off
	v_lshl_add_u64 v[56:57], v[30:31], 4, s[8:9]
	v_add_u32_e32 v30, 5, v34
	s_waitcnt vmcnt(9)
	v_fmac_f64_e32 v[88:89], v[50:51], v[58:59]
	v_fmac_f64_e32 v[54:55], v[46:47], v[58:59]
	;; [unrolled: 1-line block ×3, first 2 shown]
	v_fma_f64 v[86:87], -v[52:53], v[60:61], v[88:89]
	v_fmac_f64_e32 v[20:21], v[48:49], v[58:59]
	v_fma_f64 v[88:89], -v[48:49], v[60:61], v[54:55]
	v_lshl_add_u64 v[54:55], v[30:31], 4, s[10:11]
	v_fmac_f64_e32 v[18:19], v[50:51], v[60:61]
	global_load_dwordx4 v[50:53], v[56:57], off offset:16
	v_fmac_f64_e32 v[20:21], v[46:47], v[60:61]
	global_load_dwordx4 v[46:49], v[56:57], off
	v_add_u32_e32 v30, -8, v28
	global_load_dwordx4 v[54:57], v[54:55], off
	v_lshl_add_u64 v[90:91], v[30:31], 4, s[8:9]
	v_add_u32_e32 v30, 6, v34
	s_waitcnt vmcnt(9)
	v_fmac_f64_e32 v[18:19], v[68:69], v[70:71]
	v_fmac_f64_e32 v[20:21], v[64:65], v[70:71]
	;; [unrolled: 1-line block ×6, first 2 shown]
	v_lshl_add_u64 v[66:67], v[30:31], 4, s[10:11]
	v_add_u32_e32 v30, -6, v28
	v_fma_f64 v[86:87], -v[68:69], v[72:73], v[86:87]
	global_load_dwordx4 v[58:61], v[90:91], off offset:16
	v_fma_f64 v[88:89], -v[64:65], v[72:73], v[88:89]
	global_load_dwordx4 v[62:65], v[90:91], off
	v_lshl_add_u64 v[90:91], v[30:31], 4, s[8:9]
	global_load_dwordx4 v[66:69], v[66:67], off
	v_add_u32_e32 v30, 7, v34
	s_waitcnt vmcnt(9)
	v_fmac_f64_e32 v[18:19], v[80:81], v[82:83]
	v_fmac_f64_e32 v[20:21], v[76:77], v[82:83]
	;; [unrolled: 1-line block ×6, first 2 shown]
	v_lshl_add_u64 v[78:79], v[30:31], 4, s[10:11]
	v_add_u32_e32 v30, -4, v28
	v_fma_f64 v[86:87], -v[80:81], v[84:85], v[86:87]
	global_load_dwordx4 v[70:73], v[90:91], off offset:16
	v_fma_f64 v[82:83], -v[76:77], v[84:85], v[88:89]
	global_load_dwordx4 v[74:77], v[90:91], off
	v_lshl_add_u64 v[84:85], v[30:31], 4, s[8:9]
	global_load_dwordx4 v[78:81], v[78:79], off
	v_add_u32_e32 v30, 8, v34
	s_waitcnt vmcnt(9)
	v_fmac_f64_e32 v[20:21], v[44:45], v[38:39]
	v_fmac_f64_e32 v[86:87], v[24:25], v[38:39]
	;; [unrolled: 1-line block ×5, first 2 shown]
	v_lshl_add_u64 v[42:43], v[30:31], 4, s[10:11]
	v_add_u32_e32 v30, -2, v28
	v_fma_f64 v[86:87], -v[26:27], v[40:41], v[86:87]
	v_fmac_f64_e32 v[18:19], v[24:25], v[40:41]
	global_load_dwordx4 v[24:27], v[84:85], off offset:16
	v_fma_f64 v[82:83], -v[44:45], v[40:41], v[82:83]
	global_load_dwordx4 v[38:41], v[84:85], off
	v_lshl_add_u64 v[84:85], v[30:31], 4, s[8:9]
	global_load_dwordx4 v[42:45], v[42:43], off
	v_add_u32_e32 v30, 9, v34
	s_waitcnt vmcnt(9)
	v_fmac_f64_e32 v[86:87], v[46:47], v[54:55]
	v_fmac_f64_e32 v[18:19], v[48:49], v[54:55]
	;; [unrolled: 1-line block ×4, first 2 shown]
	v_lshl_add_u64 v[54:55], v[30:31], 4, s[10:11]
	v_fma_f64 v[86:87], -v[48:49], v[56:57], v[86:87]
	v_fmac_f64_e32 v[18:19], v[46:47], v[56:57]
	global_load_dwordx4 v[46:49], v[84:85], off offset:16
	v_fma_f64 v[88:89], -v[52:53], v[56:57], v[82:83]
	v_fmac_f64_e32 v[20:21], v[50:51], v[56:57]
	global_load_dwordx4 v[50:53], v[84:85], off
	v_add_u32_e32 v30, 10, v34
	global_load_dwordx4 v[54:57], v[54:55], off
	v_lshl_add_u64 v[34:35], v[30:31], 4, s[10:11]
	global_load_dwordx4 v[82:85], v[34:35], off
	v_add_u32_e32 v28, 0xb0, v28
	s_waitcnt vmcnt(10)
	v_fmac_f64_e32 v[86:87], v[62:63], v[66:67]
	v_fmac_f64_e32 v[18:19], v[64:65], v[66:67]
	v_fmac_f64_e32 v[88:89], v[58:59], v[66:67]
	v_fmac_f64_e32 v[20:21], v[60:61], v[66:67]
	v_fma_f64 v[34:35], -v[64:65], v[68:69], v[86:87]
	v_fmac_f64_e32 v[18:19], v[62:63], v[68:69]
	v_fma_f64 v[60:61], -v[60:61], v[68:69], v[88:89]
	v_fmac_f64_e32 v[20:21], v[58:59], v[68:69]
	s_waitcnt vmcnt(7)
	v_fmac_f64_e32 v[34:35], v[74:75], v[78:79]
	v_fmac_f64_e32 v[18:19], v[76:77], v[78:79]
	v_fmac_f64_e32 v[60:61], v[70:71], v[78:79]
	v_fmac_f64_e32 v[20:21], v[72:73], v[78:79]
	v_fma_f64 v[34:35], -v[76:77], v[80:81], v[34:35]
	v_fmac_f64_e32 v[18:19], v[74:75], v[80:81]
	v_fma_f64 v[58:59], -v[72:73], v[80:81], v[60:61]
	v_fmac_f64_e32 v[20:21], v[70:71], v[80:81]
	;; [unrolled: 9-line block ×5, first 2 shown]
	s_andn2_b64 exec, exec, s[14:15]
	s_cbranch_execnz .LBB274_11
; %bb.12:
	s_or_b64 exec, exec, s[14:15]
.LBB274_13:
	s_or_b64 exec, exec, s[12:13]
	s_andn2_b64 vcc, exec, s[4:5]
	s_cbranch_vccz .LBB274_15
	s_branch .LBB274_20
.LBB274_14:
                                        ; implicit-def: $vgpr18_vgpr19
                                        ; implicit-def: $vgpr26_vgpr27
                                        ; implicit-def: $vgpr24_vgpr25
                                        ; implicit-def: $vgpr20_vgpr21
.LBB274_15:
	v_mov_b64_e32 v[18:19], 0
	v_mov_b64_e32 v[26:27], v[18:19]
	;; [unrolled: 1-line block ×4, first 2 shown]
	s_and_saveexec_b64 s[4:5], s[0:1]
	s_cbranch_execz .LBB274_19
; %bb.16:
	v_mad_u64_u32 v[4:5], s[0:1], v22, 22, 21
	v_mov_b64_e32 v[18:19], 0
	s_mov_b64 s[0:1], 0
	v_mov_b32_e32 v7, 0
	v_mov_b64_e32 v[26:27], v[18:19]
	v_mov_b64_e32 v[24:25], v[18:19]
	;; [unrolled: 1-line block ×3, first 2 shown]
.LBB274_17:                             ; =>This Inner Loop Header: Depth=1
	v_ashrrev_i32_e32 v23, 31, v22
	v_subrev_u32_e32 v6, 21, v4
	v_add_u32_e32 v0, -10, v4
	v_mov_b32_e32 v1, v7
	v_mov_b32_e32 v5, v7
	v_lshl_add_u64 v[34:35], v[22:23], 2, s[6:7]
	v_lshl_add_u64 v[46:47], v[6:7], 4, s[8:9]
	;; [unrolled: 1-line block ×4, first 2 shown]
	global_load_dword v5, v[34:35], off
	global_load_dwordx4 v[30:33], v[46:47], off offset:16
	global_load_dwordx4 v[38:41], v[46:47], off
	global_load_dwordx4 v[42:45], v[48:49], off
	global_load_dwordx4 v[0:3], v[50:51], off
	v_mov_b32_e32 v29, v7
	v_add_u32_e32 v22, 8, v22
	v_cmp_ge_i32_e32 vcc, v22, v36
	s_or_b64 s[0:1], vcc, s[0:1]
	s_waitcnt vmcnt(4)
	v_subrev_u32_e32 v5, s16, v5
	v_mul_lo_u32 v28, v5, 11
	v_lshl_add_u64 v[34:35], v[28:29], 4, s[10:11]
	global_load_dwordx4 v[46:49], v[34:35], off
	v_add_u32_e32 v6, 1, v28
	v_lshl_add_u64 v[34:35], v[6:7], 4, s[10:11]
	global_load_dwordx4 v[50:53], v[34:35], off
	v_add_u32_e32 v6, -9, v4
	v_lshl_add_u64 v[34:35], v[6:7], 4, s[8:9]
	v_subrev_u32_e32 v6, 19, v4
	global_load_dwordx4 v[54:57], v[34:35], off
	v_lshl_add_u64 v[34:35], v[6:7], 4, s[8:9]
	v_add_u32_e32 v6, 2, v28
	global_load_dwordx4 v[58:61], v[34:35], off
	v_lshl_add_u64 v[34:35], v[6:7], 4, s[10:11]
	v_add_u32_e32 v6, -8, v4
	global_load_dwordx4 v[62:65], v[34:35], off
	v_lshl_add_u64 v[34:35], v[6:7], 4, s[8:9]
	global_load_dwordx4 v[66:69], v[34:35], off
	v_subrev_u32_e32 v6, 18, v4
	v_lshl_add_u64 v[34:35], v[6:7], 4, s[8:9]
	v_add_u32_e32 v6, 3, v28
	global_load_dwordx4 v[70:73], v[34:35], off
	v_lshl_add_u64 v[34:35], v[6:7], 4, s[10:11]
	v_add_u32_e32 v6, -7, v4
	global_load_dwordx4 v[74:77], v[34:35], off
	v_lshl_add_u64 v[34:35], v[6:7], 4, s[8:9]
	v_subrev_u32_e32 v6, 17, v4
	s_waitcnt vmcnt(7)
	v_fmac_f64_e32 v[26:27], v[38:39], v[46:47]
	v_fmac_f64_e32 v[18:19], v[40:41], v[46:47]
	v_fma_f64 v[78:79], -v[40:41], v[48:49], v[26:27]
	v_lshl_add_u64 v[26:27], v[6:7], 4, s[8:9]
	v_add_u32_e32 v6, 4, v28
	v_fmac_f64_e32 v[20:21], v[44:45], v[46:47]
	v_fmac_f64_e32 v[18:19], v[38:39], v[48:49]
	global_load_dwordx4 v[38:41], v[34:35], off
	v_fmac_f64_e32 v[24:25], v[42:43], v[46:47]
	v_fmac_f64_e32 v[20:21], v[42:43], v[48:49]
	v_lshl_add_u64 v[42:43], v[6:7], 4, s[10:11]
	v_add_u32_e32 v6, -6, v4
	v_lshl_add_u64 v[46:47], v[6:7], 4, s[8:9]
	s_waitcnt vmcnt(7)
	v_fmac_f64_e32 v[78:79], v[30:31], v[50:51]
	v_fmac_f64_e32 v[18:19], v[32:33], v[50:51]
	v_add_u32_e32 v6, -16, v4
	v_fma_f64 v[78:79], -v[32:33], v[52:53], v[78:79]
	v_fmac_f64_e32 v[18:19], v[30:31], v[52:53]
	global_load_dwordx4 v[30:33], v[46:47], off
	v_fma_f64 v[34:35], -v[44:45], v[48:49], v[24:25]
	global_load_dwordx4 v[24:27], v[26:27], off
	v_lshl_add_u64 v[46:47], v[6:7], 4, s[8:9]
	global_load_dwordx4 v[42:45], v[42:43], off
	v_add_u32_e32 v6, 5, v28
	s_waitcnt vmcnt(9)
	v_fmac_f64_e32 v[34:35], v[54:55], v[50:51]
	v_fmac_f64_e32 v[20:21], v[56:57], v[50:51]
	v_lshl_add_u64 v[50:51], v[6:7], 4, s[10:11]
	v_add_u32_e32 v6, -5, v4
	v_fmac_f64_e32 v[20:21], v[54:55], v[52:53]
	v_lshl_add_u64 v[54:55], v[6:7], 4, s[8:9]
	v_fma_f64 v[34:35], -v[56:57], v[52:53], v[34:35]
	global_load_dwordx4 v[46:49], v[46:47], off
	v_add_u32_e32 v6, -15, v4
	global_load_dwordx4 v[50:53], v[50:51], off
	s_waitcnt vmcnt(9)
	v_fmac_f64_e32 v[18:19], v[60:61], v[62:63]
	global_load_dwordx4 v[54:57], v[54:55], off
	v_fmac_f64_e32 v[78:79], v[58:59], v[62:63]
	v_fmac_f64_e32 v[18:19], v[58:59], v[64:65]
	v_lshl_add_u64 v[58:59], v[6:7], 4, s[8:9]
	v_add_u32_e32 v6, 6, v28
	s_waitcnt vmcnt(9)
	v_fmac_f64_e32 v[34:35], v[66:67], v[62:63]
	v_fmac_f64_e32 v[20:21], v[68:69], v[62:63]
	v_lshl_add_u64 v[62:63], v[6:7], 4, s[10:11]
	v_add_u32_e32 v6, -4, v4
	v_fma_f64 v[78:79], -v[60:61], v[64:65], v[78:79]
	global_load_dwordx4 v[58:61], v[58:59], off
	v_fma_f64 v[34:35], -v[68:69], v[64:65], v[34:35]
	v_fmac_f64_e32 v[20:21], v[66:67], v[64:65]
	global_load_dwordx4 v[62:65], v[62:63], off
	v_lshl_add_u64 v[66:67], v[6:7], 4, s[8:9]
	global_load_dwordx4 v[66:69], v[66:67], off
	v_add_u32_e32 v6, -14, v4
	s_waitcnt vmcnt(10)
	v_fmac_f64_e32 v[18:19], v[72:73], v[74:75]
	v_fmac_f64_e32 v[78:79], v[70:71], v[74:75]
	;; [unrolled: 1-line block ×3, first 2 shown]
	v_lshl_add_u64 v[70:71], v[6:7], 4, s[8:9]
	v_add_u32_e32 v6, 7, v28
	v_fma_f64 v[78:79], -v[72:73], v[76:77], v[78:79]
	s_waitcnt vmcnt(9)
	v_fmac_f64_e32 v[34:35], v[38:39], v[74:75]
	v_fmac_f64_e32 v[20:21], v[40:41], v[74:75]
	v_fma_f64 v[34:35], -v[40:41], v[76:77], v[34:35]
	v_fmac_f64_e32 v[20:21], v[38:39], v[76:77]
	global_load_dwordx4 v[38:41], v[70:71], off
	v_lshl_add_u64 v[70:71], v[6:7], 4, s[10:11]
	v_add_u32_e32 v6, -3, v4
	v_lshl_add_u64 v[74:75], v[6:7], 4, s[8:9]
	v_add_u32_e32 v6, -13, v4
	global_load_dwordx4 v[70:73], v[70:71], off
	s_waitcnt vmcnt(8)
	v_fmac_f64_e32 v[78:79], v[24:25], v[42:43]
	v_fma_f64 v[76:77], -v[26:27], v[44:45], v[78:79]
	v_lshl_add_u64 v[78:79], v[6:7], 4, s[8:9]
	v_add_u32_e32 v6, 8, v28
	v_fmac_f64_e32 v[18:19], v[26:27], v[42:43]
	v_fmac_f64_e32 v[34:35], v[30:31], v[42:43]
	;; [unrolled: 1-line block ×3, first 2 shown]
	v_lshl_add_u64 v[42:43], v[6:7], 4, s[10:11]
	v_add_u32_e32 v6, -2, v4
	v_fmac_f64_e32 v[18:19], v[24:25], v[44:45]
	global_load_dwordx4 v[24:27], v[74:75], off
	v_fma_f64 v[34:35], -v[32:33], v[44:45], v[34:35]
	v_fmac_f64_e32 v[20:21], v[30:31], v[44:45]
	global_load_dwordx4 v[30:33], v[78:79], off
	v_lshl_add_u64 v[74:75], v[6:7], 4, s[8:9]
	v_add_u32_e32 v6, -12, v4
	s_waitcnt vmcnt(8)
	v_fmac_f64_e32 v[76:77], v[46:47], v[50:51]
	v_fmac_f64_e32 v[18:19], v[48:49], v[50:51]
	v_lshl_add_u64 v[78:79], v[6:7], 4, s[8:9]
	v_add_u32_e32 v6, 9, v28
	s_waitcnt vmcnt(7)
	v_fmac_f64_e32 v[20:21], v[56:57], v[50:51]
	global_load_dwordx4 v[42:45], v[42:43], off
	v_fma_f64 v[76:77], -v[48:49], v[52:53], v[76:77]
	v_fmac_f64_e32 v[18:19], v[46:47], v[52:53]
	global_load_dwordx4 v[46:49], v[74:75], off
	v_fmac_f64_e32 v[34:35], v[54:55], v[50:51]
	v_fmac_f64_e32 v[20:21], v[54:55], v[52:53]
	v_lshl_add_u64 v[54:55], v[6:7], 4, s[10:11]
	v_add_u32_e32 v6, -1, v4
	v_fma_f64 v[34:35], -v[56:57], v[52:53], v[34:35]
	global_load_dwordx4 v[50:53], v[78:79], off
	v_lshl_add_u64 v[78:79], v[6:7], 4, s[8:9]
	v_add_u32_e32 v6, -11, v4
	v_lshl_add_u64 v[80:81], v[6:7], 4, s[8:9]
	v_add_u32_e32 v6, 10, v28
	global_load_dwordx4 v[54:57], v[54:55], off
	s_waitcnt vmcnt(9)
	v_fmac_f64_e32 v[76:77], v[58:59], v[62:63]
	v_fmac_f64_e32 v[18:19], v[60:61], v[62:63]
	v_fma_f64 v[28:29], -v[60:61], v[64:65], v[76:77]
	v_fmac_f64_e32 v[18:19], v[58:59], v[64:65]
	global_load_dwordx4 v[58:61], v[78:79], off
	global_load_dwordx4 v[74:77], v[80:81], off
	s_waitcnt vmcnt(10)
	v_fmac_f64_e32 v[34:35], v[66:67], v[62:63]
	v_fmac_f64_e32 v[20:21], v[68:69], v[62:63]
	v_lshl_add_u64 v[62:63], v[6:7], 4, s[10:11]
	v_fma_f64 v[34:35], -v[68:69], v[64:65], v[34:35]
	v_fmac_f64_e32 v[20:21], v[66:67], v[64:65]
	global_load_dwordx4 v[62:65], v[62:63], off
	v_add_u32_e32 v4, 0xb0, v4
	s_waitcnt vmcnt(9)
	v_fmac_f64_e32 v[28:29], v[38:39], v[70:71]
	v_fmac_f64_e32 v[18:19], v[40:41], v[70:71]
	v_fma_f64 v[28:29], -v[40:41], v[72:73], v[28:29]
	v_fmac_f64_e32 v[18:19], v[38:39], v[72:73]
	s_waitcnt vmcnt(8)
	v_fmac_f64_e32 v[34:35], v[24:25], v[70:71]
	v_fmac_f64_e32 v[20:21], v[26:27], v[70:71]
	v_fma_f64 v[26:27], -v[26:27], v[72:73], v[34:35]
	v_fmac_f64_e32 v[20:21], v[24:25], v[72:73]
	s_waitcnt vmcnt(6)
	v_fmac_f64_e32 v[28:29], v[30:31], v[42:43]
	v_fmac_f64_e32 v[18:19], v[32:33], v[42:43]
	v_fma_f64 v[24:25], -v[32:33], v[44:45], v[28:29]
	s_waitcnt vmcnt(5)
	v_fmac_f64_e32 v[26:27], v[46:47], v[42:43]
	v_fmac_f64_e32 v[20:21], v[48:49], v[42:43]
	;; [unrolled: 1-line block ×3, first 2 shown]
	v_fma_f64 v[26:27], -v[48:49], v[44:45], v[26:27]
	v_fmac_f64_e32 v[20:21], v[46:47], v[44:45]
	s_waitcnt vmcnt(3)
	v_fmac_f64_e32 v[24:25], v[50:51], v[54:55]
	v_fmac_f64_e32 v[18:19], v[52:53], v[54:55]
	v_fma_f64 v[24:25], -v[52:53], v[56:57], v[24:25]
	v_fmac_f64_e32 v[18:19], v[50:51], v[56:57]
	s_waitcnt vmcnt(2)
	v_fmac_f64_e32 v[26:27], v[58:59], v[54:55]
	v_fmac_f64_e32 v[20:21], v[60:61], v[54:55]
	;; [unrolled: 5-line block ×3, first 2 shown]
	v_fmac_f64_e32 v[28:29], v[0:1], v[62:63]
	v_fmac_f64_e32 v[20:21], v[2:3], v[62:63]
	v_fma_f64 v[26:27], -v[76:77], v[64:65], v[24:25]
	v_fmac_f64_e32 v[18:19], v[74:75], v[64:65]
	v_fma_f64 v[24:25], -v[2:3], v[64:65], v[28:29]
	v_fmac_f64_e32 v[20:21], v[0:1], v[64:65]
	s_andn2_b64 exec, exec, s[0:1]
	s_cbranch_execnz .LBB274_17
; %bb.18:
	s_or_b64 exec, exec, s[0:1]
.LBB274_19:
	s_or_b64 exec, exec, s[4:5]
.LBB274_20:
	v_mov_b32_dpp v4, v18 row_shr:1 row_mask:0xf bank_mask:0xf
	v_mov_b32_dpp v5, v19 row_shr:1 row_mask:0xf bank_mask:0xf
	v_add_f64 v[4:5], v[18:19], v[4:5]
	v_mov_b32_dpp v0, v26 row_shr:1 row_mask:0xf bank_mask:0xf
	v_mov_b32_dpp v1, v27 row_shr:1 row_mask:0xf bank_mask:0xf
	;; [unrolled: 1-line block ×4, first 2 shown]
	v_add_f64 v[6:7], v[4:5], v[6:7]
	v_mov_b32_dpp v4, v24 row_shr:1 row_mask:0xf bank_mask:0xf
	v_mov_b32_dpp v5, v25 row_shr:1 row_mask:0xf bank_mask:0xf
	v_add_f64 v[4:5], v[24:25], v[4:5]
	v_add_f64 v[0:1], v[26:27], v[0:1]
	v_mov_b32_dpp v18, v6 row_shr:4 row_mask:0xf bank_mask:0xe
	v_mov_b32_dpp v22, v4 row_shr:2 row_mask:0xf bank_mask:0xf
	;; [unrolled: 1-line block ×3, first 2 shown]
	v_add_f64 v[22:23], v[4:5], v[22:23]
	v_mov_b32_dpp v4, v20 row_shr:1 row_mask:0xf bank_mask:0xf
	v_mov_b32_dpp v5, v21 row_shr:1 row_mask:0xf bank_mask:0xf
	v_add_f64 v[4:5], v[20:21], v[4:5]
	v_mov_b32_dpp v2, v0 row_shr:2 row_mask:0xf bank_mask:0xf
	v_mov_b32_dpp v3, v1 row_shr:2 row_mask:0xf bank_mask:0xf
	;; [unrolled: 1-line block ×4, first 2 shown]
	v_add_f64 v[0:1], v[0:1], v[2:3]
	v_add_f64 v[20:21], v[4:5], v[20:21]
	v_mov_b32_dpp v19, v7 row_shr:4 row_mask:0xf bank_mask:0xe
	v_mov_b32_dpp v2, v0 row_shr:4 row_mask:0xf bank_mask:0xe
	v_mov_b32_dpp v3, v1 row_shr:4 row_mask:0xf bank_mask:0xe
	v_mov_b32_dpp v24, v22 row_shr:4 row_mask:0xf bank_mask:0xe
	v_mov_b32_dpp v25, v23 row_shr:4 row_mask:0xf bank_mask:0xe
	v_mov_b32_dpp v26, v20 row_shr:4 row_mask:0xf bank_mask:0xe
	v_mov_b32_dpp v27, v21 row_shr:4 row_mask:0xf bank_mask:0xe
	v_cmp_eq_u32_e32 vcc, 7, v17
	s_and_b64 exec, exec, vcc
	s_cbranch_execz .LBB274_25
; %bb.21:
	s_load_dwordx2 s[2:3], s[2:3], 0x48
	v_cmp_eq_f64_e32 vcc, 0, v[12:13]
	v_cmp_eq_f64_e64 s[0:1], 0, v[14:15]
	v_add_f64 v[4:5], v[0:1], v[2:3]
	v_add_f64 v[6:7], v[6:7], v[18:19]
	;; [unrolled: 1-line block ×4, first 2 shown]
	s_and_b64 s[0:1], vcc, s[0:1]
	s_and_saveexec_b64 s[4:5], s[0:1]
	s_xor_b64 s[0:1], exec, s[4:5]
	s_cbranch_execz .LBB274_23
; %bb.22:
	v_mul_f64 v[12:13], v[6:7], -v[10:11]
	v_mul_f64 v[14:15], v[8:9], v[6:7]
	v_fmac_f64_e32 v[12:13], v[8:9], v[4:5]
	v_fmac_f64_e32 v[14:15], v[10:11], v[4:5]
	v_lshlrev_b32_e32 v4, 1, v16
	v_ashrrev_i32_e32 v5, 31, v4
	s_waitcnt lgkmcnt(0)
	v_lshl_add_u64 v[16:17], v[4:5], 4, s[2:3]
	v_mul_f64 v[4:5], v[2:3], -v[10:11]
	v_mul_f64 v[6:7], v[8:9], v[2:3]
	v_fmac_f64_e32 v[4:5], v[8:9], v[0:1]
	v_fmac_f64_e32 v[6:7], v[10:11], v[0:1]
	global_store_dwordx4 v[16:17], v[12:15], off
	global_store_dwordx4 v[16:17], v[4:7], off offset:16
                                        ; implicit-def: $vgpr8_vgpr9
                                        ; implicit-def: $vgpr10_vgpr11
                                        ; implicit-def: $vgpr12_vgpr13
                                        ; implicit-def: $vgpr14_vgpr15
                                        ; implicit-def: $vgpr16
                                        ; implicit-def: $vgpr4_vgpr5
                                        ; implicit-def: $vgpr6_vgpr7
                                        ; implicit-def: $vgpr0_vgpr1
                                        ; implicit-def: $vgpr2_vgpr3
.LBB274_23:
	s_andn2_saveexec_b64 s[0:1], s[0:1]
	s_cbranch_execz .LBB274_25
; %bb.24:
	v_lshlrev_b32_e32 v16, 1, v16
	v_ashrrev_i32_e32 v17, 31, v16
	s_waitcnt lgkmcnt(0)
	v_lshl_add_u64 v[24:25], v[16:17], 4, s[2:3]
	global_load_dwordx4 v[16:19], v[24:25], off
	global_load_dwordx4 v[20:23], v[24:25], off offset:16
	v_mul_f64 v[26:27], v[6:7], -v[10:11]
	v_mul_f64 v[6:7], v[8:9], v[6:7]
	v_mul_f64 v[28:29], v[2:3], -v[10:11]
	v_mul_f64 v[2:3], v[8:9], v[2:3]
	v_fmac_f64_e32 v[26:27], v[8:9], v[4:5]
	v_fmac_f64_e32 v[6:7], v[10:11], v[4:5]
	;; [unrolled: 1-line block ×4, first 2 shown]
	s_waitcnt vmcnt(1)
	v_fmac_f64_e32 v[26:27], v[12:13], v[16:17]
	v_fmac_f64_e32 v[6:7], v[14:15], v[16:17]
	s_waitcnt vmcnt(0)
	v_fmac_f64_e32 v[28:29], v[12:13], v[20:21]
	v_fmac_f64_e32 v[2:3], v[14:15], v[20:21]
	v_fma_f64 v[4:5], -v[14:15], v[18:19], v[26:27]
	v_fmac_f64_e32 v[6:7], v[12:13], v[18:19]
	v_fma_f64 v[0:1], -v[14:15], v[22:23], v[28:29]
	v_fmac_f64_e32 v[2:3], v[12:13], v[22:23]
	global_store_dwordx4 v[24:25], v[4:7], off
	global_store_dwordx4 v[24:25], v[0:3], off offset:16
.LBB274_25:
	s_endpgm
	.section	.rodata,"a",@progbits
	.p2align	6, 0x0
	.amdhsa_kernel _ZN9rocsparseL19gebsrmvn_2xn_kernelILj128ELj11ELj8E21rocsparse_complex_numIdEEEvi20rocsparse_direction_NS_24const_host_device_scalarIT2_EEPKiS8_PKS5_SA_S6_PS5_21rocsparse_index_base_b
		.amdhsa_group_segment_fixed_size 2048
		.amdhsa_private_segment_fixed_size 0
		.amdhsa_kernarg_size 88
		.amdhsa_user_sgpr_count 4
		.amdhsa_user_sgpr_dispatch_ptr 1
		.amdhsa_user_sgpr_queue_ptr 0
		.amdhsa_user_sgpr_kernarg_segment_ptr 1
		.amdhsa_user_sgpr_dispatch_id 0
		.amdhsa_user_sgpr_kernarg_preload_length 0
		.amdhsa_user_sgpr_kernarg_preload_offset 0
		.amdhsa_user_sgpr_private_segment_size 0
		.amdhsa_uses_dynamic_stack 0
		.amdhsa_enable_private_segment 0
		.amdhsa_system_sgpr_workgroup_id_x 1
		.amdhsa_system_sgpr_workgroup_id_y 0
		.amdhsa_system_sgpr_workgroup_id_z 0
		.amdhsa_system_sgpr_workgroup_info 0
		.amdhsa_system_vgpr_workitem_id 2
		.amdhsa_next_free_vgpr 92
		.amdhsa_next_free_sgpr 20
		.amdhsa_accum_offset 92
		.amdhsa_reserve_vcc 1
		.amdhsa_float_round_mode_32 0
		.amdhsa_float_round_mode_16_64 0
		.amdhsa_float_denorm_mode_32 3
		.amdhsa_float_denorm_mode_16_64 3
		.amdhsa_dx10_clamp 1
		.amdhsa_ieee_mode 1
		.amdhsa_fp16_overflow 0
		.amdhsa_tg_split 0
		.amdhsa_exception_fp_ieee_invalid_op 0
		.amdhsa_exception_fp_denorm_src 0
		.amdhsa_exception_fp_ieee_div_zero 0
		.amdhsa_exception_fp_ieee_overflow 0
		.amdhsa_exception_fp_ieee_underflow 0
		.amdhsa_exception_fp_ieee_inexact 0
		.amdhsa_exception_int_div_zero 0
	.end_amdhsa_kernel
	.section	.text._ZN9rocsparseL19gebsrmvn_2xn_kernelILj128ELj11ELj8E21rocsparse_complex_numIdEEEvi20rocsparse_direction_NS_24const_host_device_scalarIT2_EEPKiS8_PKS5_SA_S6_PS5_21rocsparse_index_base_b,"axG",@progbits,_ZN9rocsparseL19gebsrmvn_2xn_kernelILj128ELj11ELj8E21rocsparse_complex_numIdEEEvi20rocsparse_direction_NS_24const_host_device_scalarIT2_EEPKiS8_PKS5_SA_S6_PS5_21rocsparse_index_base_b,comdat
.Lfunc_end274:
	.size	_ZN9rocsparseL19gebsrmvn_2xn_kernelILj128ELj11ELj8E21rocsparse_complex_numIdEEEvi20rocsparse_direction_NS_24const_host_device_scalarIT2_EEPKiS8_PKS5_SA_S6_PS5_21rocsparse_index_base_b, .Lfunc_end274-_ZN9rocsparseL19gebsrmvn_2xn_kernelILj128ELj11ELj8E21rocsparse_complex_numIdEEEvi20rocsparse_direction_NS_24const_host_device_scalarIT2_EEPKiS8_PKS5_SA_S6_PS5_21rocsparse_index_base_b
                                        ; -- End function
	.section	.AMDGPU.csdata,"",@progbits
; Kernel info:
; codeLenInByte = 3436
; NumSgprs: 26
; NumVgprs: 92
; NumAgprs: 0
; TotalNumVgprs: 92
; ScratchSize: 0
; MemoryBound: 0
; FloatMode: 240
; IeeeMode: 1
; LDSByteSize: 2048 bytes/workgroup (compile time only)
; SGPRBlocks: 3
; VGPRBlocks: 11
; NumSGPRsForWavesPerEU: 26
; NumVGPRsForWavesPerEU: 92
; AccumOffset: 92
; Occupancy: 5
; WaveLimiterHint : 1
; COMPUTE_PGM_RSRC2:SCRATCH_EN: 0
; COMPUTE_PGM_RSRC2:USER_SGPR: 4
; COMPUTE_PGM_RSRC2:TRAP_HANDLER: 0
; COMPUTE_PGM_RSRC2:TGID_X_EN: 1
; COMPUTE_PGM_RSRC2:TGID_Y_EN: 0
; COMPUTE_PGM_RSRC2:TGID_Z_EN: 0
; COMPUTE_PGM_RSRC2:TIDIG_COMP_CNT: 2
; COMPUTE_PGM_RSRC3_GFX90A:ACCUM_OFFSET: 22
; COMPUTE_PGM_RSRC3_GFX90A:TG_SPLIT: 0
	.section	.text._ZN9rocsparseL19gebsrmvn_2xn_kernelILj128ELj11ELj16E21rocsparse_complex_numIdEEEvi20rocsparse_direction_NS_24const_host_device_scalarIT2_EEPKiS8_PKS5_SA_S6_PS5_21rocsparse_index_base_b,"axG",@progbits,_ZN9rocsparseL19gebsrmvn_2xn_kernelILj128ELj11ELj16E21rocsparse_complex_numIdEEEvi20rocsparse_direction_NS_24const_host_device_scalarIT2_EEPKiS8_PKS5_SA_S6_PS5_21rocsparse_index_base_b,comdat
	.globl	_ZN9rocsparseL19gebsrmvn_2xn_kernelILj128ELj11ELj16E21rocsparse_complex_numIdEEEvi20rocsparse_direction_NS_24const_host_device_scalarIT2_EEPKiS8_PKS5_SA_S6_PS5_21rocsparse_index_base_b ; -- Begin function _ZN9rocsparseL19gebsrmvn_2xn_kernelILj128ELj11ELj16E21rocsparse_complex_numIdEEEvi20rocsparse_direction_NS_24const_host_device_scalarIT2_EEPKiS8_PKS5_SA_S6_PS5_21rocsparse_index_base_b
	.p2align	8
	.type	_ZN9rocsparseL19gebsrmvn_2xn_kernelILj128ELj11ELj16E21rocsparse_complex_numIdEEEvi20rocsparse_direction_NS_24const_host_device_scalarIT2_EEPKiS8_PKS5_SA_S6_PS5_21rocsparse_index_base_b,@function
_ZN9rocsparseL19gebsrmvn_2xn_kernelILj128ELj11ELj16E21rocsparse_complex_numIdEEEvi20rocsparse_direction_NS_24const_host_device_scalarIT2_EEPKiS8_PKS5_SA_S6_PS5_21rocsparse_index_base_b: ; @_ZN9rocsparseL19gebsrmvn_2xn_kernelILj128ELj11ELj16E21rocsparse_complex_numIdEEEvi20rocsparse_direction_NS_24const_host_device_scalarIT2_EEPKiS8_PKS5_SA_S6_PS5_21rocsparse_index_base_b
; %bb.0:
	s_load_dwordx2 s[16:17], s[2:3], 0x50
	s_load_dwordx4 s[12:15], s[2:3], 0x8
	s_load_dwordx4 s[8:11], s[2:3], 0x38
	s_load_dwordx2 s[18:19], s[0:1], 0x4
	s_mov_b64 s[6:7], src_shared_base
	s_waitcnt lgkmcnt(0)
	s_bitcmp1_b32 s17, 0
	s_cselect_b64 s[0:1], -1, 0
	s_and_b64 vcc, s[0:1], exec
	s_cselect_b32 s5, s7, s13
	s_lshr_b32 s6, s18, 16
	v_bfe_u32 v2, v0, 10, 10
	v_and_b32_e32 v1, 0x3ff, v0
	s_mul_i32 s6, s6, s19
	v_mul_u32_u24_e32 v2, s19, v2
	v_mad_u32_u24 v2, s6, v1, v2
	v_bfe_u32 v0, v0, 20, 10
	v_add_lshl_u32 v0, v2, v0, 3
	v_mov_b32_e32 v6, s12
	v_add_u32_e32 v7, 0x400, v0
	v_mov_b64_e32 v[2:3], s[12:13]
	v_mov_b64_e32 v[4:5], s[8:9]
	ds_write2st64_b64 v0, v[4:5], v[2:3] offset1:2
	v_cndmask_b32_e64 v2, v6, v7, s[0:1]
	v_mov_b32_e32 v3, s5
	flat_load_dwordx2 v[8:9], v[2:3]
	s_xor_b64 s[18:19], s[0:1], -1
	v_mov_b64_e32 v[10:11], s[14:15]
	s_cbranch_vccnz .LBB275_2
; %bb.1:
	v_mov_b64_e32 v[2:3], s[12:13]
	flat_load_dwordx2 v[10:11], v[2:3] offset:8
.LBB275_2:
	s_and_b64 s[12:13], s[0:1], exec
	s_cselect_b32 s5, s7, s9
	v_mov_b32_e32 v2, s8
	v_cndmask_b32_e64 v2, v2, v0, s[0:1]
	v_mov_b32_e32 v3, s5
	flat_load_dwordx2 v[12:13], v[2:3]
	s_andn2_b64 vcc, exec, s[18:19]
	v_mov_b64_e32 v[14:15], s[10:11]
	s_cbranch_vccnz .LBB275_4
; %bb.3:
	v_mov_b64_e32 v[2:3], s[8:9]
	flat_load_dwordx2 v[14:15], v[2:3] offset:8
.LBB275_4:
	s_waitcnt vmcnt(0) lgkmcnt(0)
	v_cmp_eq_f64_e32 vcc, 0, v[8:9]
	v_cmp_eq_f64_e64 s[0:1], 0, v[10:11]
	s_and_b64 s[8:9], vcc, s[0:1]
	s_mov_b64 s[0:1], -1
	s_and_saveexec_b64 s[6:7], s[8:9]
; %bb.5:
	v_cmp_neq_f64_e32 vcc, 1.0, v[12:13]
	v_cmp_neq_f64_e64 s[0:1], 0, v[14:15]
	s_or_b64 s[0:1], vcc, s[0:1]
	s_orn2_b64 s[0:1], s[0:1], exec
; %bb.6:
	s_or_b64 exec, exec, s[6:7]
	s_and_saveexec_b64 s[6:7], s[0:1]
	s_cbranch_execz .LBB275_25
; %bb.7:
	s_load_dwordx2 s[0:1], s[2:3], 0x0
	v_lshrrev_b32_e32 v0, 4, v1
	v_lshl_or_b32 v16, s4, 3, v0
	s_waitcnt lgkmcnt(0)
	v_cmp_gt_i32_e32 vcc, s0, v16
	s_and_b64 exec, exec, vcc
	s_cbranch_execz .LBB275_25
; %bb.8:
	s_load_dwordx8 s[4:11], s[2:3], 0x18
	v_ashrrev_i32_e32 v17, 31, v16
	s_cmp_lg_u32 s1, 0
	s_waitcnt lgkmcnt(0)
	v_lshl_add_u64 v[2:3], v[16:17], 2, s[4:5]
	global_load_dwordx2 v[2:3], v[2:3], off
	v_and_b32_e32 v17, 15, v1
	s_waitcnt vmcnt(0)
	v_subrev_u32_e32 v0, s16, v2
	v_subrev_u32_e32 v36, s16, v3
	v_add_u32_e32 v22, v0, v17
	v_cmp_lt_i32_e64 s[0:1], v22, v36
	s_cbranch_scc0 .LBB275_14
; %bb.9:
	v_mov_b64_e32 v[20:21], 0
	s_mov_b64 s[4:5], 0
	v_mov_b64_e32 v[26:27], v[20:21]
	v_mov_b64_e32 v[24:25], v[20:21]
	;; [unrolled: 1-line block ×3, first 2 shown]
	s_and_saveexec_b64 s[12:13], s[0:1]
	s_cbranch_execz .LBB275_13
; %bb.10:
	v_mad_u64_u32 v[28:29], s[14:15], v22, 22, 20
	v_mov_b64_e32 v[20:21], 0
	s_mov_b64 s[14:15], 0
	v_mov_b32_e32 v31, 0
	v_mov_b32_e32 v32, v22
	v_mov_b64_e32 v[26:27], v[20:21]
	v_mov_b64_e32 v[24:25], v[20:21]
	;; [unrolled: 1-line block ×3, first 2 shown]
.LBB275_11:                             ; =>This Inner Loop Header: Depth=1
	v_ashrrev_i32_e32 v33, 31, v32
	v_subrev_u32_e32 v30, 20, v28
	v_lshl_add_u64 v[0:1], v[32:33], 2, s[6:7]
	v_lshl_add_u64 v[2:3], v[30:31], 4, s[8:9]
	global_load_dword v23, v[0:1], off
	global_load_dwordx4 v[38:41], v[2:3], off offset:16
	global_load_dwordx4 v[42:45], v[2:3], off
	v_mov_b32_e32 v29, v31
	v_mov_b32_e32 v35, v31
	v_subrev_u32_e32 v30, 18, v28
	v_lshl_add_u64 v[54:55], v[28:29], 4, s[8:9]
	v_lshl_add_u64 v[56:57], v[30:31], 4, s[8:9]
	global_load_dwordx4 v[0:3], v[54:55], off offset:16
	global_load_dwordx4 v[4:7], v[54:55], off
	global_load_dwordx4 v[46:49], v[56:57], off offset:16
	global_load_dwordx4 v[50:53], v[56:57], off
	v_add_u32_e32 v32, 16, v32
	v_cmp_ge_i32_e32 vcc, v32, v36
	s_or_b64 s[14:15], vcc, s[14:15]
	s_waitcnt vmcnt(6)
	v_subrev_u32_e32 v23, s16, v23
	v_mul_lo_u32 v34, v23, 11
	v_lshl_add_u64 v[54:55], v[34:35], 4, s[10:11]
	global_load_dwordx4 v[54:57], v[54:55], off
	v_add_u32_e32 v30, 1, v34
	v_lshl_add_u64 v[58:59], v[30:31], 4, s[10:11]
	global_load_dwordx4 v[58:61], v[58:59], off
	v_add_u32_e32 v30, -16, v28
	v_lshl_add_u64 v[70:71], v[30:31], 4, s[8:9]
	v_add_u32_e32 v30, 2, v34
	global_load_dwordx4 v[62:65], v[70:71], off offset:16
	global_load_dwordx4 v[66:69], v[70:71], off
	v_lshl_add_u64 v[70:71], v[30:31], 4, s[10:11]
	v_add_u32_e32 v30, -14, v28
	global_load_dwordx4 v[70:73], v[70:71], off
	v_lshl_add_u64 v[82:83], v[30:31], 4, s[8:9]
	v_add_u32_e32 v30, 3, v34
	global_load_dwordx4 v[74:77], v[82:83], off offset:16
	global_load_dwordx4 v[78:81], v[82:83], off
	v_lshl_add_u64 v[82:83], v[30:31], 4, s[10:11]
	v_add_u32_e32 v30, -12, v28
	global_load_dwordx4 v[82:85], v[82:83], off
	v_lshl_add_u64 v[86:87], v[30:31], 4, s[8:9]
	v_add_u32_e32 v30, 4, v34
	s_waitcnt vmcnt(7)
	v_fmac_f64_e32 v[18:19], v[40:41], v[54:55]
	v_fmac_f64_e32 v[26:27], v[42:43], v[54:55]
	;; [unrolled: 1-line block ×5, first 2 shown]
	v_lshl_add_u64 v[38:39], v[30:31], 4, s[10:11]
	v_fma_f64 v[88:89], -v[44:45], v[56:57], v[26:27]
	v_fmac_f64_e32 v[20:21], v[42:43], v[56:57]
	global_load_dwordx4 v[42:45], v[86:87], off offset:16
	v_fma_f64 v[54:55], -v[40:41], v[56:57], v[24:25]
	global_load_dwordx4 v[24:27], v[86:87], off
	v_add_u32_e32 v30, -10, v28
	global_load_dwordx4 v[38:41], v[38:39], off
	v_lshl_add_u64 v[56:57], v[30:31], 4, s[8:9]
	v_add_u32_e32 v30, 5, v34
	s_waitcnt vmcnt(9)
	v_fmac_f64_e32 v[88:89], v[50:51], v[58:59]
	v_fmac_f64_e32 v[54:55], v[46:47], v[58:59]
	;; [unrolled: 1-line block ×3, first 2 shown]
	v_fma_f64 v[86:87], -v[52:53], v[60:61], v[88:89]
	v_fmac_f64_e32 v[18:19], v[48:49], v[58:59]
	v_fma_f64 v[88:89], -v[48:49], v[60:61], v[54:55]
	v_lshl_add_u64 v[54:55], v[30:31], 4, s[10:11]
	v_fmac_f64_e32 v[20:21], v[50:51], v[60:61]
	global_load_dwordx4 v[50:53], v[56:57], off offset:16
	v_fmac_f64_e32 v[18:19], v[46:47], v[60:61]
	global_load_dwordx4 v[46:49], v[56:57], off
	v_add_u32_e32 v30, -8, v28
	global_load_dwordx4 v[54:57], v[54:55], off
	v_lshl_add_u64 v[90:91], v[30:31], 4, s[8:9]
	v_add_u32_e32 v30, 6, v34
	s_waitcnt vmcnt(9)
	v_fmac_f64_e32 v[20:21], v[68:69], v[70:71]
	v_fmac_f64_e32 v[18:19], v[64:65], v[70:71]
	;; [unrolled: 1-line block ×6, first 2 shown]
	v_lshl_add_u64 v[66:67], v[30:31], 4, s[10:11]
	v_add_u32_e32 v30, -6, v28
	v_fma_f64 v[86:87], -v[68:69], v[72:73], v[86:87]
	global_load_dwordx4 v[58:61], v[90:91], off offset:16
	v_fma_f64 v[88:89], -v[64:65], v[72:73], v[88:89]
	global_load_dwordx4 v[62:65], v[90:91], off
	v_lshl_add_u64 v[90:91], v[30:31], 4, s[8:9]
	global_load_dwordx4 v[66:69], v[66:67], off
	v_add_u32_e32 v30, 7, v34
	s_waitcnt vmcnt(9)
	v_fmac_f64_e32 v[20:21], v[80:81], v[82:83]
	v_fmac_f64_e32 v[18:19], v[76:77], v[82:83]
	;; [unrolled: 1-line block ×6, first 2 shown]
	v_lshl_add_u64 v[78:79], v[30:31], 4, s[10:11]
	v_add_u32_e32 v30, -4, v28
	v_fma_f64 v[86:87], -v[80:81], v[84:85], v[86:87]
	global_load_dwordx4 v[70:73], v[90:91], off offset:16
	v_fma_f64 v[82:83], -v[76:77], v[84:85], v[88:89]
	global_load_dwordx4 v[74:77], v[90:91], off
	v_lshl_add_u64 v[84:85], v[30:31], 4, s[8:9]
	global_load_dwordx4 v[78:81], v[78:79], off
	v_add_u32_e32 v30, 8, v34
	s_waitcnt vmcnt(9)
	v_fmac_f64_e32 v[18:19], v[44:45], v[38:39]
	v_fmac_f64_e32 v[86:87], v[24:25], v[38:39]
	;; [unrolled: 1-line block ×5, first 2 shown]
	v_lshl_add_u64 v[42:43], v[30:31], 4, s[10:11]
	v_add_u32_e32 v30, -2, v28
	v_fma_f64 v[86:87], -v[26:27], v[40:41], v[86:87]
	v_fmac_f64_e32 v[20:21], v[24:25], v[40:41]
	global_load_dwordx4 v[24:27], v[84:85], off offset:16
	v_fma_f64 v[82:83], -v[44:45], v[40:41], v[82:83]
	global_load_dwordx4 v[38:41], v[84:85], off
	v_lshl_add_u64 v[84:85], v[30:31], 4, s[8:9]
	global_load_dwordx4 v[42:45], v[42:43], off
	v_add_u32_e32 v30, 9, v34
	s_waitcnt vmcnt(9)
	v_fmac_f64_e32 v[86:87], v[46:47], v[54:55]
	v_fmac_f64_e32 v[20:21], v[48:49], v[54:55]
	;; [unrolled: 1-line block ×4, first 2 shown]
	v_lshl_add_u64 v[54:55], v[30:31], 4, s[10:11]
	v_fma_f64 v[86:87], -v[48:49], v[56:57], v[86:87]
	v_fmac_f64_e32 v[20:21], v[46:47], v[56:57]
	global_load_dwordx4 v[46:49], v[84:85], off offset:16
	v_fma_f64 v[88:89], -v[52:53], v[56:57], v[82:83]
	v_fmac_f64_e32 v[18:19], v[50:51], v[56:57]
	global_load_dwordx4 v[50:53], v[84:85], off
	v_add_u32_e32 v30, 10, v34
	global_load_dwordx4 v[54:57], v[54:55], off
	v_lshl_add_u64 v[34:35], v[30:31], 4, s[10:11]
	global_load_dwordx4 v[82:85], v[34:35], off
	v_add_u32_e32 v28, 0x160, v28
	s_waitcnt vmcnt(10)
	v_fmac_f64_e32 v[86:87], v[62:63], v[66:67]
	v_fmac_f64_e32 v[20:21], v[64:65], v[66:67]
	v_fmac_f64_e32 v[88:89], v[58:59], v[66:67]
	v_fmac_f64_e32 v[18:19], v[60:61], v[66:67]
	v_fma_f64 v[34:35], -v[64:65], v[68:69], v[86:87]
	v_fmac_f64_e32 v[20:21], v[62:63], v[68:69]
	v_fma_f64 v[60:61], -v[60:61], v[68:69], v[88:89]
	v_fmac_f64_e32 v[18:19], v[58:59], v[68:69]
	s_waitcnt vmcnt(7)
	v_fmac_f64_e32 v[34:35], v[74:75], v[78:79]
	v_fmac_f64_e32 v[20:21], v[76:77], v[78:79]
	v_fmac_f64_e32 v[60:61], v[70:71], v[78:79]
	v_fmac_f64_e32 v[18:19], v[72:73], v[78:79]
	v_fma_f64 v[34:35], -v[76:77], v[80:81], v[34:35]
	v_fmac_f64_e32 v[20:21], v[74:75], v[80:81]
	v_fma_f64 v[58:59], -v[72:73], v[80:81], v[60:61]
	v_fmac_f64_e32 v[18:19], v[70:71], v[80:81]
	;; [unrolled: 9-line block ×5, first 2 shown]
	s_andn2_b64 exec, exec, s[14:15]
	s_cbranch_execnz .LBB275_11
; %bb.12:
	s_or_b64 exec, exec, s[14:15]
.LBB275_13:
	s_or_b64 exec, exec, s[12:13]
	s_andn2_b64 vcc, exec, s[4:5]
	s_cbranch_vccz .LBB275_15
	s_branch .LBB275_20
.LBB275_14:
                                        ; implicit-def: $vgpr20_vgpr21
                                        ; implicit-def: $vgpr26_vgpr27
                                        ; implicit-def: $vgpr24_vgpr25
                                        ; implicit-def: $vgpr18_vgpr19
.LBB275_15:
	v_mov_b64_e32 v[20:21], 0
	v_mov_b64_e32 v[26:27], v[20:21]
	;; [unrolled: 1-line block ×4, first 2 shown]
	s_and_saveexec_b64 s[4:5], s[0:1]
	s_cbranch_execz .LBB275_19
; %bb.16:
	v_mad_u64_u32 v[4:5], s[0:1], v22, 22, 21
	v_mov_b64_e32 v[20:21], 0
	s_mov_b64 s[0:1], 0
	v_mov_b32_e32 v7, 0
	v_mov_b64_e32 v[26:27], v[20:21]
	v_mov_b64_e32 v[24:25], v[20:21]
	;; [unrolled: 1-line block ×3, first 2 shown]
.LBB275_17:                             ; =>This Inner Loop Header: Depth=1
	v_ashrrev_i32_e32 v23, 31, v22
	v_subrev_u32_e32 v6, 21, v4
	v_add_u32_e32 v0, -10, v4
	v_mov_b32_e32 v1, v7
	v_mov_b32_e32 v5, v7
	v_lshl_add_u64 v[34:35], v[22:23], 2, s[6:7]
	v_lshl_add_u64 v[46:47], v[6:7], 4, s[8:9]
	v_lshl_add_u64 v[48:49], v[0:1], 4, s[8:9]
	v_lshl_add_u64 v[50:51], v[4:5], 4, s[8:9]
	global_load_dword v5, v[34:35], off
	global_load_dwordx4 v[30:33], v[46:47], off offset:16
	global_load_dwordx4 v[38:41], v[46:47], off
	global_load_dwordx4 v[42:45], v[48:49], off
	;; [unrolled: 1-line block ×3, first 2 shown]
	v_mov_b32_e32 v29, v7
	v_add_u32_e32 v22, 16, v22
	v_cmp_ge_i32_e32 vcc, v22, v36
	s_or_b64 s[0:1], vcc, s[0:1]
	s_waitcnt vmcnt(4)
	v_subrev_u32_e32 v5, s16, v5
	v_mul_lo_u32 v28, v5, 11
	v_lshl_add_u64 v[34:35], v[28:29], 4, s[10:11]
	global_load_dwordx4 v[46:49], v[34:35], off
	v_add_u32_e32 v6, 1, v28
	v_lshl_add_u64 v[34:35], v[6:7], 4, s[10:11]
	global_load_dwordx4 v[50:53], v[34:35], off
	v_add_u32_e32 v6, -9, v4
	v_lshl_add_u64 v[34:35], v[6:7], 4, s[8:9]
	v_subrev_u32_e32 v6, 19, v4
	global_load_dwordx4 v[54:57], v[34:35], off
	v_lshl_add_u64 v[34:35], v[6:7], 4, s[8:9]
	v_add_u32_e32 v6, 2, v28
	global_load_dwordx4 v[58:61], v[34:35], off
	v_lshl_add_u64 v[34:35], v[6:7], 4, s[10:11]
	v_add_u32_e32 v6, -8, v4
	global_load_dwordx4 v[62:65], v[34:35], off
	v_lshl_add_u64 v[34:35], v[6:7], 4, s[8:9]
	global_load_dwordx4 v[66:69], v[34:35], off
	v_subrev_u32_e32 v6, 18, v4
	v_lshl_add_u64 v[34:35], v[6:7], 4, s[8:9]
	v_add_u32_e32 v6, 3, v28
	global_load_dwordx4 v[70:73], v[34:35], off
	v_lshl_add_u64 v[34:35], v[6:7], 4, s[10:11]
	v_add_u32_e32 v6, -7, v4
	global_load_dwordx4 v[74:77], v[34:35], off
	v_lshl_add_u64 v[34:35], v[6:7], 4, s[8:9]
	v_subrev_u32_e32 v6, 17, v4
	s_waitcnt vmcnt(7)
	v_fmac_f64_e32 v[26:27], v[38:39], v[46:47]
	v_fmac_f64_e32 v[20:21], v[40:41], v[46:47]
	v_fma_f64 v[78:79], -v[40:41], v[48:49], v[26:27]
	v_lshl_add_u64 v[26:27], v[6:7], 4, s[8:9]
	v_add_u32_e32 v6, 4, v28
	v_fmac_f64_e32 v[18:19], v[44:45], v[46:47]
	v_fmac_f64_e32 v[20:21], v[38:39], v[48:49]
	global_load_dwordx4 v[38:41], v[34:35], off
	v_fmac_f64_e32 v[24:25], v[42:43], v[46:47]
	v_fmac_f64_e32 v[18:19], v[42:43], v[48:49]
	v_lshl_add_u64 v[42:43], v[6:7], 4, s[10:11]
	v_add_u32_e32 v6, -6, v4
	v_lshl_add_u64 v[46:47], v[6:7], 4, s[8:9]
	s_waitcnt vmcnt(7)
	v_fmac_f64_e32 v[78:79], v[30:31], v[50:51]
	v_fmac_f64_e32 v[20:21], v[32:33], v[50:51]
	v_add_u32_e32 v6, -16, v4
	v_fma_f64 v[78:79], -v[32:33], v[52:53], v[78:79]
	v_fmac_f64_e32 v[20:21], v[30:31], v[52:53]
	global_load_dwordx4 v[30:33], v[46:47], off
	v_fma_f64 v[34:35], -v[44:45], v[48:49], v[24:25]
	global_load_dwordx4 v[24:27], v[26:27], off
	v_lshl_add_u64 v[46:47], v[6:7], 4, s[8:9]
	global_load_dwordx4 v[42:45], v[42:43], off
	v_add_u32_e32 v6, 5, v28
	s_waitcnt vmcnt(9)
	v_fmac_f64_e32 v[34:35], v[54:55], v[50:51]
	v_fmac_f64_e32 v[18:19], v[56:57], v[50:51]
	v_lshl_add_u64 v[50:51], v[6:7], 4, s[10:11]
	v_add_u32_e32 v6, -5, v4
	v_fmac_f64_e32 v[18:19], v[54:55], v[52:53]
	v_lshl_add_u64 v[54:55], v[6:7], 4, s[8:9]
	v_fma_f64 v[34:35], -v[56:57], v[52:53], v[34:35]
	global_load_dwordx4 v[46:49], v[46:47], off
	v_add_u32_e32 v6, -15, v4
	global_load_dwordx4 v[50:53], v[50:51], off
	s_waitcnt vmcnt(9)
	v_fmac_f64_e32 v[20:21], v[60:61], v[62:63]
	global_load_dwordx4 v[54:57], v[54:55], off
	v_fmac_f64_e32 v[78:79], v[58:59], v[62:63]
	v_fmac_f64_e32 v[20:21], v[58:59], v[64:65]
	v_lshl_add_u64 v[58:59], v[6:7], 4, s[8:9]
	v_add_u32_e32 v6, 6, v28
	s_waitcnt vmcnt(9)
	v_fmac_f64_e32 v[34:35], v[66:67], v[62:63]
	v_fmac_f64_e32 v[18:19], v[68:69], v[62:63]
	v_lshl_add_u64 v[62:63], v[6:7], 4, s[10:11]
	v_add_u32_e32 v6, -4, v4
	v_fma_f64 v[78:79], -v[60:61], v[64:65], v[78:79]
	global_load_dwordx4 v[58:61], v[58:59], off
	v_fma_f64 v[34:35], -v[68:69], v[64:65], v[34:35]
	v_fmac_f64_e32 v[18:19], v[66:67], v[64:65]
	global_load_dwordx4 v[62:65], v[62:63], off
	v_lshl_add_u64 v[66:67], v[6:7], 4, s[8:9]
	global_load_dwordx4 v[66:69], v[66:67], off
	v_add_u32_e32 v6, -14, v4
	s_waitcnt vmcnt(10)
	v_fmac_f64_e32 v[20:21], v[72:73], v[74:75]
	v_fmac_f64_e32 v[78:79], v[70:71], v[74:75]
	;; [unrolled: 1-line block ×3, first 2 shown]
	v_lshl_add_u64 v[70:71], v[6:7], 4, s[8:9]
	v_add_u32_e32 v6, 7, v28
	v_fma_f64 v[78:79], -v[72:73], v[76:77], v[78:79]
	s_waitcnt vmcnt(9)
	v_fmac_f64_e32 v[34:35], v[38:39], v[74:75]
	v_fmac_f64_e32 v[18:19], v[40:41], v[74:75]
	v_fma_f64 v[34:35], -v[40:41], v[76:77], v[34:35]
	v_fmac_f64_e32 v[18:19], v[38:39], v[76:77]
	global_load_dwordx4 v[38:41], v[70:71], off
	v_lshl_add_u64 v[70:71], v[6:7], 4, s[10:11]
	v_add_u32_e32 v6, -3, v4
	v_lshl_add_u64 v[74:75], v[6:7], 4, s[8:9]
	v_add_u32_e32 v6, -13, v4
	global_load_dwordx4 v[70:73], v[70:71], off
	s_waitcnt vmcnt(8)
	v_fmac_f64_e32 v[78:79], v[24:25], v[42:43]
	v_fma_f64 v[76:77], -v[26:27], v[44:45], v[78:79]
	v_lshl_add_u64 v[78:79], v[6:7], 4, s[8:9]
	v_add_u32_e32 v6, 8, v28
	v_fmac_f64_e32 v[20:21], v[26:27], v[42:43]
	v_fmac_f64_e32 v[34:35], v[30:31], v[42:43]
	;; [unrolled: 1-line block ×3, first 2 shown]
	v_lshl_add_u64 v[42:43], v[6:7], 4, s[10:11]
	v_add_u32_e32 v6, -2, v4
	v_fmac_f64_e32 v[20:21], v[24:25], v[44:45]
	global_load_dwordx4 v[24:27], v[74:75], off
	v_fma_f64 v[34:35], -v[32:33], v[44:45], v[34:35]
	v_fmac_f64_e32 v[18:19], v[30:31], v[44:45]
	global_load_dwordx4 v[30:33], v[78:79], off
	v_lshl_add_u64 v[74:75], v[6:7], 4, s[8:9]
	v_add_u32_e32 v6, -12, v4
	s_waitcnt vmcnt(8)
	v_fmac_f64_e32 v[76:77], v[46:47], v[50:51]
	v_fmac_f64_e32 v[20:21], v[48:49], v[50:51]
	v_lshl_add_u64 v[78:79], v[6:7], 4, s[8:9]
	v_add_u32_e32 v6, 9, v28
	s_waitcnt vmcnt(7)
	v_fmac_f64_e32 v[18:19], v[56:57], v[50:51]
	global_load_dwordx4 v[42:45], v[42:43], off
	v_fma_f64 v[76:77], -v[48:49], v[52:53], v[76:77]
	v_fmac_f64_e32 v[20:21], v[46:47], v[52:53]
	global_load_dwordx4 v[46:49], v[74:75], off
	v_fmac_f64_e32 v[34:35], v[54:55], v[50:51]
	v_fmac_f64_e32 v[18:19], v[54:55], v[52:53]
	v_lshl_add_u64 v[54:55], v[6:7], 4, s[10:11]
	v_add_u32_e32 v6, -1, v4
	v_fma_f64 v[34:35], -v[56:57], v[52:53], v[34:35]
	global_load_dwordx4 v[50:53], v[78:79], off
	v_lshl_add_u64 v[78:79], v[6:7], 4, s[8:9]
	v_add_u32_e32 v6, -11, v4
	v_lshl_add_u64 v[80:81], v[6:7], 4, s[8:9]
	v_add_u32_e32 v6, 10, v28
	global_load_dwordx4 v[54:57], v[54:55], off
	s_waitcnt vmcnt(9)
	v_fmac_f64_e32 v[76:77], v[58:59], v[62:63]
	v_fmac_f64_e32 v[20:21], v[60:61], v[62:63]
	v_fma_f64 v[28:29], -v[60:61], v[64:65], v[76:77]
	v_fmac_f64_e32 v[20:21], v[58:59], v[64:65]
	global_load_dwordx4 v[58:61], v[78:79], off
	global_load_dwordx4 v[74:77], v[80:81], off
	s_waitcnt vmcnt(10)
	v_fmac_f64_e32 v[34:35], v[66:67], v[62:63]
	v_fmac_f64_e32 v[18:19], v[68:69], v[62:63]
	v_lshl_add_u64 v[62:63], v[6:7], 4, s[10:11]
	v_fma_f64 v[34:35], -v[68:69], v[64:65], v[34:35]
	v_fmac_f64_e32 v[18:19], v[66:67], v[64:65]
	global_load_dwordx4 v[62:65], v[62:63], off
	v_add_u32_e32 v4, 0x160, v4
	s_waitcnt vmcnt(9)
	v_fmac_f64_e32 v[28:29], v[38:39], v[70:71]
	v_fmac_f64_e32 v[20:21], v[40:41], v[70:71]
	v_fma_f64 v[28:29], -v[40:41], v[72:73], v[28:29]
	v_fmac_f64_e32 v[20:21], v[38:39], v[72:73]
	s_waitcnt vmcnt(8)
	v_fmac_f64_e32 v[34:35], v[24:25], v[70:71]
	v_fmac_f64_e32 v[18:19], v[26:27], v[70:71]
	v_fma_f64 v[26:27], -v[26:27], v[72:73], v[34:35]
	v_fmac_f64_e32 v[18:19], v[24:25], v[72:73]
	s_waitcnt vmcnt(6)
	v_fmac_f64_e32 v[28:29], v[30:31], v[42:43]
	v_fmac_f64_e32 v[20:21], v[32:33], v[42:43]
	v_fma_f64 v[24:25], -v[32:33], v[44:45], v[28:29]
	s_waitcnt vmcnt(5)
	v_fmac_f64_e32 v[26:27], v[46:47], v[42:43]
	v_fmac_f64_e32 v[18:19], v[48:49], v[42:43]
	;; [unrolled: 1-line block ×3, first 2 shown]
	v_fma_f64 v[26:27], -v[48:49], v[44:45], v[26:27]
	v_fmac_f64_e32 v[18:19], v[46:47], v[44:45]
	s_waitcnt vmcnt(3)
	v_fmac_f64_e32 v[24:25], v[50:51], v[54:55]
	v_fmac_f64_e32 v[20:21], v[52:53], v[54:55]
	v_fma_f64 v[24:25], -v[52:53], v[56:57], v[24:25]
	v_fmac_f64_e32 v[20:21], v[50:51], v[56:57]
	s_waitcnt vmcnt(2)
	v_fmac_f64_e32 v[26:27], v[58:59], v[54:55]
	v_fmac_f64_e32 v[18:19], v[60:61], v[54:55]
	;; [unrolled: 5-line block ×3, first 2 shown]
	v_fmac_f64_e32 v[28:29], v[0:1], v[62:63]
	v_fmac_f64_e32 v[18:19], v[2:3], v[62:63]
	v_fma_f64 v[26:27], -v[76:77], v[64:65], v[24:25]
	v_fmac_f64_e32 v[20:21], v[74:75], v[64:65]
	v_fma_f64 v[24:25], -v[2:3], v[64:65], v[28:29]
	v_fmac_f64_e32 v[18:19], v[0:1], v[64:65]
	s_andn2_b64 exec, exec, s[0:1]
	s_cbranch_execnz .LBB275_17
; %bb.18:
	s_or_b64 exec, exec, s[0:1]
.LBB275_19:
	s_or_b64 exec, exec, s[4:5]
.LBB275_20:
	v_mov_b32_dpp v4, v20 row_shr:1 row_mask:0xf bank_mask:0xf
	v_mov_b32_dpp v5, v21 row_shr:1 row_mask:0xf bank_mask:0xf
	v_add_f64 v[4:5], v[20:21], v[4:5]
	v_mov_b32_dpp v0, v26 row_shr:1 row_mask:0xf bank_mask:0xf
	v_mov_b32_dpp v1, v27 row_shr:1 row_mask:0xf bank_mask:0xf
	v_mov_b32_dpp v6, v4 row_shr:2 row_mask:0xf bank_mask:0xf
	v_mov_b32_dpp v7, v5 row_shr:2 row_mask:0xf bank_mask:0xf
	v_add_f64 v[4:5], v[4:5], v[6:7]
	v_add_f64 v[0:1], v[26:27], v[0:1]
	v_cmp_eq_u32_e32 vcc, 15, v17
	v_mov_b32_dpp v6, v4 row_shr:4 row_mask:0xf bank_mask:0xe
	v_mov_b32_dpp v7, v5 row_shr:4 row_mask:0xf bank_mask:0xe
	v_add_f64 v[6:7], v[4:5], v[6:7]
	v_mov_b32_dpp v4, v24 row_shr:1 row_mask:0xf bank_mask:0xf
	v_mov_b32_dpp v5, v25 row_shr:1 row_mask:0xf bank_mask:0xf
	v_add_f64 v[4:5], v[24:25], v[4:5]
	v_mov_b32_dpp v2, v0 row_shr:2 row_mask:0xf bank_mask:0xf
	v_mov_b32_dpp v3, v1 row_shr:2 row_mask:0xf bank_mask:0xf
	;; [unrolled: 1-line block ×4, first 2 shown]
	v_add_f64 v[4:5], v[4:5], v[22:23]
	v_add_f64 v[0:1], v[0:1], v[2:3]
	v_mov_b32_dpp v20, v6 row_shr:8 row_mask:0xf bank_mask:0xc
	v_mov_b32_dpp v22, v4 row_shr:4 row_mask:0xf bank_mask:0xe
	v_mov_b32_dpp v23, v5 row_shr:4 row_mask:0xf bank_mask:0xe
	v_add_f64 v[22:23], v[4:5], v[22:23]
	v_mov_b32_dpp v4, v18 row_shr:1 row_mask:0xf bank_mask:0xf
	v_mov_b32_dpp v5, v19 row_shr:1 row_mask:0xf bank_mask:0xf
	v_add_f64 v[4:5], v[18:19], v[4:5]
	v_mov_b32_dpp v2, v0 row_shr:4 row_mask:0xf bank_mask:0xe
	v_mov_b32_dpp v3, v1 row_shr:4 row_mask:0xf bank_mask:0xe
	;; [unrolled: 1-line block ×4, first 2 shown]
	v_add_f64 v[4:5], v[4:5], v[18:19]
	v_add_f64 v[0:1], v[0:1], v[2:3]
	v_mov_b32_dpp v21, v7 row_shr:8 row_mask:0xf bank_mask:0xc
	v_mov_b32_dpp v18, v4 row_shr:4 row_mask:0xf bank_mask:0xe
	;; [unrolled: 1-line block ×3, first 2 shown]
	v_add_f64 v[18:19], v[4:5], v[18:19]
	v_mov_b32_dpp v2, v0 row_shr:8 row_mask:0xf bank_mask:0xc
	v_mov_b32_dpp v3, v1 row_shr:8 row_mask:0xf bank_mask:0xc
	;; [unrolled: 1-line block ×6, first 2 shown]
	s_and_b64 exec, exec, vcc
	s_cbranch_execz .LBB275_25
; %bb.21:
	s_load_dwordx2 s[2:3], s[2:3], 0x48
	v_cmp_eq_f64_e32 vcc, 0, v[12:13]
	v_cmp_eq_f64_e64 s[0:1], 0, v[14:15]
	v_add_f64 v[4:5], v[0:1], v[2:3]
	v_add_f64 v[6:7], v[6:7], v[20:21]
	;; [unrolled: 1-line block ×4, first 2 shown]
	s_and_b64 s[0:1], vcc, s[0:1]
	s_and_saveexec_b64 s[4:5], s[0:1]
	s_xor_b64 s[0:1], exec, s[4:5]
	s_cbranch_execz .LBB275_23
; %bb.22:
	v_mul_f64 v[12:13], v[6:7], -v[10:11]
	v_mul_f64 v[14:15], v[8:9], v[6:7]
	v_fmac_f64_e32 v[12:13], v[8:9], v[4:5]
	v_fmac_f64_e32 v[14:15], v[10:11], v[4:5]
	v_lshlrev_b32_e32 v4, 1, v16
	v_ashrrev_i32_e32 v5, 31, v4
	s_waitcnt lgkmcnt(0)
	v_lshl_add_u64 v[16:17], v[4:5], 4, s[2:3]
	v_mul_f64 v[4:5], v[2:3], -v[10:11]
	v_mul_f64 v[6:7], v[8:9], v[2:3]
	v_fmac_f64_e32 v[4:5], v[8:9], v[0:1]
	v_fmac_f64_e32 v[6:7], v[10:11], v[0:1]
	global_store_dwordx4 v[16:17], v[12:15], off
	global_store_dwordx4 v[16:17], v[4:7], off offset:16
                                        ; implicit-def: $vgpr8_vgpr9
                                        ; implicit-def: $vgpr10_vgpr11
                                        ; implicit-def: $vgpr12_vgpr13
                                        ; implicit-def: $vgpr14_vgpr15
                                        ; implicit-def: $vgpr16
                                        ; implicit-def: $vgpr4_vgpr5
                                        ; implicit-def: $vgpr6_vgpr7
                                        ; implicit-def: $vgpr0_vgpr1
                                        ; implicit-def: $vgpr2_vgpr3
.LBB275_23:
	s_andn2_saveexec_b64 s[0:1], s[0:1]
	s_cbranch_execz .LBB275_25
; %bb.24:
	v_lshlrev_b32_e32 v16, 1, v16
	v_ashrrev_i32_e32 v17, 31, v16
	s_waitcnt lgkmcnt(0)
	v_lshl_add_u64 v[24:25], v[16:17], 4, s[2:3]
	global_load_dwordx4 v[16:19], v[24:25], off
	global_load_dwordx4 v[20:23], v[24:25], off offset:16
	v_mul_f64 v[26:27], v[6:7], -v[10:11]
	v_mul_f64 v[6:7], v[8:9], v[6:7]
	v_mul_f64 v[28:29], v[2:3], -v[10:11]
	v_mul_f64 v[2:3], v[8:9], v[2:3]
	v_fmac_f64_e32 v[26:27], v[8:9], v[4:5]
	v_fmac_f64_e32 v[6:7], v[10:11], v[4:5]
	;; [unrolled: 1-line block ×4, first 2 shown]
	s_waitcnt vmcnt(1)
	v_fmac_f64_e32 v[26:27], v[12:13], v[16:17]
	v_fmac_f64_e32 v[6:7], v[14:15], v[16:17]
	s_waitcnt vmcnt(0)
	v_fmac_f64_e32 v[28:29], v[12:13], v[20:21]
	v_fmac_f64_e32 v[2:3], v[14:15], v[20:21]
	v_fma_f64 v[4:5], -v[14:15], v[18:19], v[26:27]
	v_fmac_f64_e32 v[6:7], v[12:13], v[18:19]
	v_fma_f64 v[0:1], -v[14:15], v[22:23], v[28:29]
	v_fmac_f64_e32 v[2:3], v[12:13], v[22:23]
	global_store_dwordx4 v[24:25], v[4:7], off
	global_store_dwordx4 v[24:25], v[0:3], off offset:16
.LBB275_25:
	s_endpgm
	.section	.rodata,"a",@progbits
	.p2align	6, 0x0
	.amdhsa_kernel _ZN9rocsparseL19gebsrmvn_2xn_kernelILj128ELj11ELj16E21rocsparse_complex_numIdEEEvi20rocsparse_direction_NS_24const_host_device_scalarIT2_EEPKiS8_PKS5_SA_S6_PS5_21rocsparse_index_base_b
		.amdhsa_group_segment_fixed_size 2048
		.amdhsa_private_segment_fixed_size 0
		.amdhsa_kernarg_size 88
		.amdhsa_user_sgpr_count 4
		.amdhsa_user_sgpr_dispatch_ptr 1
		.amdhsa_user_sgpr_queue_ptr 0
		.amdhsa_user_sgpr_kernarg_segment_ptr 1
		.amdhsa_user_sgpr_dispatch_id 0
		.amdhsa_user_sgpr_kernarg_preload_length 0
		.amdhsa_user_sgpr_kernarg_preload_offset 0
		.amdhsa_user_sgpr_private_segment_size 0
		.amdhsa_uses_dynamic_stack 0
		.amdhsa_enable_private_segment 0
		.amdhsa_system_sgpr_workgroup_id_x 1
		.amdhsa_system_sgpr_workgroup_id_y 0
		.amdhsa_system_sgpr_workgroup_id_z 0
		.amdhsa_system_sgpr_workgroup_info 0
		.amdhsa_system_vgpr_workitem_id 2
		.amdhsa_next_free_vgpr 92
		.amdhsa_next_free_sgpr 20
		.amdhsa_accum_offset 92
		.amdhsa_reserve_vcc 1
		.amdhsa_float_round_mode_32 0
		.amdhsa_float_round_mode_16_64 0
		.amdhsa_float_denorm_mode_32 3
		.amdhsa_float_denorm_mode_16_64 3
		.amdhsa_dx10_clamp 1
		.amdhsa_ieee_mode 1
		.amdhsa_fp16_overflow 0
		.amdhsa_tg_split 0
		.amdhsa_exception_fp_ieee_invalid_op 0
		.amdhsa_exception_fp_denorm_src 0
		.amdhsa_exception_fp_ieee_div_zero 0
		.amdhsa_exception_fp_ieee_overflow 0
		.amdhsa_exception_fp_ieee_underflow 0
		.amdhsa_exception_fp_ieee_inexact 0
		.amdhsa_exception_int_div_zero 0
	.end_amdhsa_kernel
	.section	.text._ZN9rocsparseL19gebsrmvn_2xn_kernelILj128ELj11ELj16E21rocsparse_complex_numIdEEEvi20rocsparse_direction_NS_24const_host_device_scalarIT2_EEPKiS8_PKS5_SA_S6_PS5_21rocsparse_index_base_b,"axG",@progbits,_ZN9rocsparseL19gebsrmvn_2xn_kernelILj128ELj11ELj16E21rocsparse_complex_numIdEEEvi20rocsparse_direction_NS_24const_host_device_scalarIT2_EEPKiS8_PKS5_SA_S6_PS5_21rocsparse_index_base_b,comdat
.Lfunc_end275:
	.size	_ZN9rocsparseL19gebsrmvn_2xn_kernelILj128ELj11ELj16E21rocsparse_complex_numIdEEEvi20rocsparse_direction_NS_24const_host_device_scalarIT2_EEPKiS8_PKS5_SA_S6_PS5_21rocsparse_index_base_b, .Lfunc_end275-_ZN9rocsparseL19gebsrmvn_2xn_kernelILj128ELj11ELj16E21rocsparse_complex_numIdEEEvi20rocsparse_direction_NS_24const_host_device_scalarIT2_EEPKiS8_PKS5_SA_S6_PS5_21rocsparse_index_base_b
                                        ; -- End function
	.section	.AMDGPU.csdata,"",@progbits
; Kernel info:
; codeLenInByte = 3532
; NumSgprs: 26
; NumVgprs: 92
; NumAgprs: 0
; TotalNumVgprs: 92
; ScratchSize: 0
; MemoryBound: 0
; FloatMode: 240
; IeeeMode: 1
; LDSByteSize: 2048 bytes/workgroup (compile time only)
; SGPRBlocks: 3
; VGPRBlocks: 11
; NumSGPRsForWavesPerEU: 26
; NumVGPRsForWavesPerEU: 92
; AccumOffset: 92
; Occupancy: 5
; WaveLimiterHint : 1
; COMPUTE_PGM_RSRC2:SCRATCH_EN: 0
; COMPUTE_PGM_RSRC2:USER_SGPR: 4
; COMPUTE_PGM_RSRC2:TRAP_HANDLER: 0
; COMPUTE_PGM_RSRC2:TGID_X_EN: 1
; COMPUTE_PGM_RSRC2:TGID_Y_EN: 0
; COMPUTE_PGM_RSRC2:TGID_Z_EN: 0
; COMPUTE_PGM_RSRC2:TIDIG_COMP_CNT: 2
; COMPUTE_PGM_RSRC3_GFX90A:ACCUM_OFFSET: 22
; COMPUTE_PGM_RSRC3_GFX90A:TG_SPLIT: 0
	.section	.text._ZN9rocsparseL19gebsrmvn_2xn_kernelILj128ELj11ELj32E21rocsparse_complex_numIdEEEvi20rocsparse_direction_NS_24const_host_device_scalarIT2_EEPKiS8_PKS5_SA_S6_PS5_21rocsparse_index_base_b,"axG",@progbits,_ZN9rocsparseL19gebsrmvn_2xn_kernelILj128ELj11ELj32E21rocsparse_complex_numIdEEEvi20rocsparse_direction_NS_24const_host_device_scalarIT2_EEPKiS8_PKS5_SA_S6_PS5_21rocsparse_index_base_b,comdat
	.globl	_ZN9rocsparseL19gebsrmvn_2xn_kernelILj128ELj11ELj32E21rocsparse_complex_numIdEEEvi20rocsparse_direction_NS_24const_host_device_scalarIT2_EEPKiS8_PKS5_SA_S6_PS5_21rocsparse_index_base_b ; -- Begin function _ZN9rocsparseL19gebsrmvn_2xn_kernelILj128ELj11ELj32E21rocsparse_complex_numIdEEEvi20rocsparse_direction_NS_24const_host_device_scalarIT2_EEPKiS8_PKS5_SA_S6_PS5_21rocsparse_index_base_b
	.p2align	8
	.type	_ZN9rocsparseL19gebsrmvn_2xn_kernelILj128ELj11ELj32E21rocsparse_complex_numIdEEEvi20rocsparse_direction_NS_24const_host_device_scalarIT2_EEPKiS8_PKS5_SA_S6_PS5_21rocsparse_index_base_b,@function
_ZN9rocsparseL19gebsrmvn_2xn_kernelILj128ELj11ELj32E21rocsparse_complex_numIdEEEvi20rocsparse_direction_NS_24const_host_device_scalarIT2_EEPKiS8_PKS5_SA_S6_PS5_21rocsparse_index_base_b: ; @_ZN9rocsparseL19gebsrmvn_2xn_kernelILj128ELj11ELj32E21rocsparse_complex_numIdEEEvi20rocsparse_direction_NS_24const_host_device_scalarIT2_EEPKiS8_PKS5_SA_S6_PS5_21rocsparse_index_base_b
; %bb.0:
	s_load_dwordx2 s[16:17], s[2:3], 0x50
	s_load_dwordx4 s[12:15], s[2:3], 0x8
	s_load_dwordx4 s[8:11], s[2:3], 0x38
	s_load_dwordx2 s[18:19], s[0:1], 0x4
	s_mov_b64 s[6:7], src_shared_base
	s_waitcnt lgkmcnt(0)
	s_bitcmp1_b32 s17, 0
	s_cselect_b64 s[0:1], -1, 0
	s_and_b64 vcc, s[0:1], exec
	s_cselect_b32 s5, s7, s13
	s_lshr_b32 s6, s18, 16
	v_bfe_u32 v2, v0, 10, 10
	v_and_b32_e32 v1, 0x3ff, v0
	s_mul_i32 s6, s6, s19
	v_mul_u32_u24_e32 v2, s19, v2
	v_mad_u32_u24 v2, s6, v1, v2
	v_bfe_u32 v0, v0, 20, 10
	v_add_lshl_u32 v0, v2, v0, 3
	v_mov_b32_e32 v6, s12
	v_add_u32_e32 v7, 0x400, v0
	v_mov_b64_e32 v[2:3], s[12:13]
	v_mov_b64_e32 v[4:5], s[8:9]
	ds_write2st64_b64 v0, v[4:5], v[2:3] offset1:2
	v_cndmask_b32_e64 v2, v6, v7, s[0:1]
	v_mov_b32_e32 v3, s5
	flat_load_dwordx2 v[8:9], v[2:3]
	s_xor_b64 s[18:19], s[0:1], -1
	v_mov_b64_e32 v[10:11], s[14:15]
	s_cbranch_vccnz .LBB276_2
; %bb.1:
	v_mov_b64_e32 v[2:3], s[12:13]
	flat_load_dwordx2 v[10:11], v[2:3] offset:8
.LBB276_2:
	s_and_b64 s[12:13], s[0:1], exec
	s_cselect_b32 s5, s7, s9
	v_mov_b32_e32 v2, s8
	v_cndmask_b32_e64 v2, v2, v0, s[0:1]
	v_mov_b32_e32 v3, s5
	flat_load_dwordx2 v[12:13], v[2:3]
	s_andn2_b64 vcc, exec, s[18:19]
	v_mov_b64_e32 v[14:15], s[10:11]
	s_cbranch_vccnz .LBB276_4
; %bb.3:
	v_mov_b64_e32 v[2:3], s[8:9]
	flat_load_dwordx2 v[14:15], v[2:3] offset:8
.LBB276_4:
	s_waitcnt vmcnt(0) lgkmcnt(0)
	v_cmp_eq_f64_e32 vcc, 0, v[8:9]
	v_cmp_eq_f64_e64 s[0:1], 0, v[10:11]
	s_and_b64 s[8:9], vcc, s[0:1]
	s_mov_b64 s[0:1], -1
	s_and_saveexec_b64 s[6:7], s[8:9]
; %bb.5:
	v_cmp_neq_f64_e32 vcc, 1.0, v[12:13]
	v_cmp_neq_f64_e64 s[0:1], 0, v[14:15]
	s_or_b64 s[0:1], vcc, s[0:1]
	s_orn2_b64 s[0:1], s[0:1], exec
; %bb.6:
	s_or_b64 exec, exec, s[6:7]
	s_and_saveexec_b64 s[6:7], s[0:1]
	s_cbranch_execz .LBB276_25
; %bb.7:
	s_load_dwordx2 s[0:1], s[2:3], 0x0
	v_lshrrev_b32_e32 v0, 5, v1
	v_lshl_or_b32 v16, s4, 2, v0
	s_waitcnt lgkmcnt(0)
	v_cmp_gt_i32_e32 vcc, s0, v16
	s_and_b64 exec, exec, vcc
	s_cbranch_execz .LBB276_25
; %bb.8:
	s_load_dwordx8 s[4:11], s[2:3], 0x18
	v_ashrrev_i32_e32 v17, 31, v16
	s_cmp_lg_u32 s1, 0
	s_waitcnt lgkmcnt(0)
	v_lshl_add_u64 v[2:3], v[16:17], 2, s[4:5]
	global_load_dwordx2 v[2:3], v[2:3], off
	v_and_b32_e32 v17, 31, v1
	s_waitcnt vmcnt(0)
	v_subrev_u32_e32 v0, s16, v2
	v_subrev_u32_e32 v36, s16, v3
	v_add_u32_e32 v22, v0, v17
	v_cmp_lt_i32_e64 s[0:1], v22, v36
	s_cbranch_scc0 .LBB276_14
; %bb.9:
	v_mov_b64_e32 v[20:21], 0
	s_mov_b64 s[4:5], 0
	v_mov_b64_e32 v[26:27], v[20:21]
	v_mov_b64_e32 v[24:25], v[20:21]
	v_mov_b64_e32 v[18:19], v[20:21]
	s_and_saveexec_b64 s[12:13], s[0:1]
	s_cbranch_execz .LBB276_13
; %bb.10:
	v_mad_u64_u32 v[28:29], s[14:15], v22, 22, 20
	v_mov_b64_e32 v[20:21], 0
	s_mov_b64 s[14:15], 0
	v_mov_b32_e32 v31, 0
	v_mov_b32_e32 v32, v22
	v_mov_b64_e32 v[26:27], v[20:21]
	v_mov_b64_e32 v[24:25], v[20:21]
	;; [unrolled: 1-line block ×3, first 2 shown]
.LBB276_11:                             ; =>This Inner Loop Header: Depth=1
	v_ashrrev_i32_e32 v33, 31, v32
	v_subrev_u32_e32 v30, 20, v28
	v_lshl_add_u64 v[0:1], v[32:33], 2, s[6:7]
	v_lshl_add_u64 v[2:3], v[30:31], 4, s[8:9]
	global_load_dword v23, v[0:1], off
	global_load_dwordx4 v[38:41], v[2:3], off offset:16
	global_load_dwordx4 v[42:45], v[2:3], off
	v_mov_b32_e32 v29, v31
	v_mov_b32_e32 v35, v31
	v_subrev_u32_e32 v30, 18, v28
	v_lshl_add_u64 v[54:55], v[28:29], 4, s[8:9]
	v_lshl_add_u64 v[56:57], v[30:31], 4, s[8:9]
	global_load_dwordx4 v[0:3], v[54:55], off offset:16
	global_load_dwordx4 v[4:7], v[54:55], off
	global_load_dwordx4 v[46:49], v[56:57], off offset:16
	global_load_dwordx4 v[50:53], v[56:57], off
	v_add_u32_e32 v32, 32, v32
	v_cmp_ge_i32_e32 vcc, v32, v36
	s_or_b64 s[14:15], vcc, s[14:15]
	s_waitcnt vmcnt(6)
	v_subrev_u32_e32 v23, s16, v23
	v_mul_lo_u32 v34, v23, 11
	v_lshl_add_u64 v[54:55], v[34:35], 4, s[10:11]
	global_load_dwordx4 v[54:57], v[54:55], off
	v_add_u32_e32 v30, 1, v34
	v_lshl_add_u64 v[58:59], v[30:31], 4, s[10:11]
	global_load_dwordx4 v[58:61], v[58:59], off
	v_add_u32_e32 v30, -16, v28
	v_lshl_add_u64 v[70:71], v[30:31], 4, s[8:9]
	v_add_u32_e32 v30, 2, v34
	global_load_dwordx4 v[62:65], v[70:71], off offset:16
	global_load_dwordx4 v[66:69], v[70:71], off
	v_lshl_add_u64 v[70:71], v[30:31], 4, s[10:11]
	v_add_u32_e32 v30, -14, v28
	global_load_dwordx4 v[70:73], v[70:71], off
	v_lshl_add_u64 v[82:83], v[30:31], 4, s[8:9]
	v_add_u32_e32 v30, 3, v34
	global_load_dwordx4 v[74:77], v[82:83], off offset:16
	global_load_dwordx4 v[78:81], v[82:83], off
	v_lshl_add_u64 v[82:83], v[30:31], 4, s[10:11]
	v_add_u32_e32 v30, -12, v28
	global_load_dwordx4 v[82:85], v[82:83], off
	v_lshl_add_u64 v[86:87], v[30:31], 4, s[8:9]
	v_add_u32_e32 v30, 4, v34
	s_waitcnt vmcnt(7)
	v_fmac_f64_e32 v[18:19], v[40:41], v[54:55]
	v_fmac_f64_e32 v[26:27], v[42:43], v[54:55]
	;; [unrolled: 1-line block ×5, first 2 shown]
	v_lshl_add_u64 v[38:39], v[30:31], 4, s[10:11]
	v_fma_f64 v[88:89], -v[44:45], v[56:57], v[26:27]
	v_fmac_f64_e32 v[20:21], v[42:43], v[56:57]
	global_load_dwordx4 v[42:45], v[86:87], off offset:16
	v_fma_f64 v[54:55], -v[40:41], v[56:57], v[24:25]
	global_load_dwordx4 v[24:27], v[86:87], off
	v_add_u32_e32 v30, -10, v28
	global_load_dwordx4 v[38:41], v[38:39], off
	v_lshl_add_u64 v[56:57], v[30:31], 4, s[8:9]
	v_add_u32_e32 v30, 5, v34
	s_waitcnt vmcnt(9)
	v_fmac_f64_e32 v[88:89], v[50:51], v[58:59]
	v_fmac_f64_e32 v[54:55], v[46:47], v[58:59]
	;; [unrolled: 1-line block ×3, first 2 shown]
	v_fma_f64 v[86:87], -v[52:53], v[60:61], v[88:89]
	v_fmac_f64_e32 v[18:19], v[48:49], v[58:59]
	v_fma_f64 v[88:89], -v[48:49], v[60:61], v[54:55]
	v_lshl_add_u64 v[54:55], v[30:31], 4, s[10:11]
	v_fmac_f64_e32 v[20:21], v[50:51], v[60:61]
	global_load_dwordx4 v[50:53], v[56:57], off offset:16
	v_fmac_f64_e32 v[18:19], v[46:47], v[60:61]
	global_load_dwordx4 v[46:49], v[56:57], off
	v_add_u32_e32 v30, -8, v28
	global_load_dwordx4 v[54:57], v[54:55], off
	v_lshl_add_u64 v[90:91], v[30:31], 4, s[8:9]
	v_add_u32_e32 v30, 6, v34
	s_waitcnt vmcnt(9)
	v_fmac_f64_e32 v[20:21], v[68:69], v[70:71]
	v_fmac_f64_e32 v[18:19], v[64:65], v[70:71]
	;; [unrolled: 1-line block ×6, first 2 shown]
	v_lshl_add_u64 v[66:67], v[30:31], 4, s[10:11]
	v_add_u32_e32 v30, -6, v28
	v_fma_f64 v[86:87], -v[68:69], v[72:73], v[86:87]
	global_load_dwordx4 v[58:61], v[90:91], off offset:16
	v_fma_f64 v[88:89], -v[64:65], v[72:73], v[88:89]
	global_load_dwordx4 v[62:65], v[90:91], off
	v_lshl_add_u64 v[90:91], v[30:31], 4, s[8:9]
	global_load_dwordx4 v[66:69], v[66:67], off
	v_add_u32_e32 v30, 7, v34
	s_waitcnt vmcnt(9)
	v_fmac_f64_e32 v[20:21], v[80:81], v[82:83]
	v_fmac_f64_e32 v[18:19], v[76:77], v[82:83]
	;; [unrolled: 1-line block ×6, first 2 shown]
	v_lshl_add_u64 v[78:79], v[30:31], 4, s[10:11]
	v_add_u32_e32 v30, -4, v28
	v_fma_f64 v[86:87], -v[80:81], v[84:85], v[86:87]
	global_load_dwordx4 v[70:73], v[90:91], off offset:16
	v_fma_f64 v[82:83], -v[76:77], v[84:85], v[88:89]
	global_load_dwordx4 v[74:77], v[90:91], off
	v_lshl_add_u64 v[84:85], v[30:31], 4, s[8:9]
	global_load_dwordx4 v[78:81], v[78:79], off
	v_add_u32_e32 v30, 8, v34
	s_waitcnt vmcnt(9)
	v_fmac_f64_e32 v[18:19], v[44:45], v[38:39]
	v_fmac_f64_e32 v[86:87], v[24:25], v[38:39]
	;; [unrolled: 1-line block ×5, first 2 shown]
	v_lshl_add_u64 v[42:43], v[30:31], 4, s[10:11]
	v_add_u32_e32 v30, -2, v28
	v_fma_f64 v[86:87], -v[26:27], v[40:41], v[86:87]
	v_fmac_f64_e32 v[20:21], v[24:25], v[40:41]
	global_load_dwordx4 v[24:27], v[84:85], off offset:16
	v_fma_f64 v[82:83], -v[44:45], v[40:41], v[82:83]
	global_load_dwordx4 v[38:41], v[84:85], off
	v_lshl_add_u64 v[84:85], v[30:31], 4, s[8:9]
	global_load_dwordx4 v[42:45], v[42:43], off
	v_add_u32_e32 v30, 9, v34
	s_waitcnt vmcnt(9)
	v_fmac_f64_e32 v[86:87], v[46:47], v[54:55]
	v_fmac_f64_e32 v[20:21], v[48:49], v[54:55]
	;; [unrolled: 1-line block ×4, first 2 shown]
	v_lshl_add_u64 v[54:55], v[30:31], 4, s[10:11]
	v_fma_f64 v[86:87], -v[48:49], v[56:57], v[86:87]
	v_fmac_f64_e32 v[20:21], v[46:47], v[56:57]
	global_load_dwordx4 v[46:49], v[84:85], off offset:16
	v_fma_f64 v[88:89], -v[52:53], v[56:57], v[82:83]
	v_fmac_f64_e32 v[18:19], v[50:51], v[56:57]
	global_load_dwordx4 v[50:53], v[84:85], off
	v_add_u32_e32 v30, 10, v34
	global_load_dwordx4 v[54:57], v[54:55], off
	v_lshl_add_u64 v[34:35], v[30:31], 4, s[10:11]
	global_load_dwordx4 v[82:85], v[34:35], off
	v_add_u32_e32 v28, 0x2c0, v28
	s_waitcnt vmcnt(10)
	v_fmac_f64_e32 v[86:87], v[62:63], v[66:67]
	v_fmac_f64_e32 v[20:21], v[64:65], v[66:67]
	v_fmac_f64_e32 v[88:89], v[58:59], v[66:67]
	v_fmac_f64_e32 v[18:19], v[60:61], v[66:67]
	v_fma_f64 v[34:35], -v[64:65], v[68:69], v[86:87]
	v_fmac_f64_e32 v[20:21], v[62:63], v[68:69]
	v_fma_f64 v[60:61], -v[60:61], v[68:69], v[88:89]
	v_fmac_f64_e32 v[18:19], v[58:59], v[68:69]
	s_waitcnt vmcnt(7)
	v_fmac_f64_e32 v[34:35], v[74:75], v[78:79]
	v_fmac_f64_e32 v[20:21], v[76:77], v[78:79]
	v_fmac_f64_e32 v[60:61], v[70:71], v[78:79]
	v_fmac_f64_e32 v[18:19], v[72:73], v[78:79]
	v_fma_f64 v[34:35], -v[76:77], v[80:81], v[34:35]
	v_fmac_f64_e32 v[20:21], v[74:75], v[80:81]
	v_fma_f64 v[58:59], -v[72:73], v[80:81], v[60:61]
	v_fmac_f64_e32 v[18:19], v[70:71], v[80:81]
	;; [unrolled: 9-line block ×5, first 2 shown]
	s_andn2_b64 exec, exec, s[14:15]
	s_cbranch_execnz .LBB276_11
; %bb.12:
	s_or_b64 exec, exec, s[14:15]
.LBB276_13:
	s_or_b64 exec, exec, s[12:13]
	s_andn2_b64 vcc, exec, s[4:5]
	s_cbranch_vccz .LBB276_15
	s_branch .LBB276_20
.LBB276_14:
                                        ; implicit-def: $vgpr20_vgpr21
                                        ; implicit-def: $vgpr26_vgpr27
                                        ; implicit-def: $vgpr24_vgpr25
                                        ; implicit-def: $vgpr18_vgpr19
.LBB276_15:
	v_mov_b64_e32 v[20:21], 0
	v_mov_b64_e32 v[26:27], v[20:21]
	;; [unrolled: 1-line block ×4, first 2 shown]
	s_and_saveexec_b64 s[4:5], s[0:1]
	s_cbranch_execz .LBB276_19
; %bb.16:
	v_mad_u64_u32 v[4:5], s[0:1], v22, 22, 21
	v_mov_b64_e32 v[20:21], 0
	s_mov_b64 s[0:1], 0
	v_mov_b32_e32 v7, 0
	v_mov_b64_e32 v[26:27], v[20:21]
	v_mov_b64_e32 v[24:25], v[20:21]
	;; [unrolled: 1-line block ×3, first 2 shown]
.LBB276_17:                             ; =>This Inner Loop Header: Depth=1
	v_ashrrev_i32_e32 v23, 31, v22
	v_subrev_u32_e32 v6, 21, v4
	v_add_u32_e32 v0, -10, v4
	v_mov_b32_e32 v1, v7
	v_mov_b32_e32 v5, v7
	v_lshl_add_u64 v[34:35], v[22:23], 2, s[6:7]
	v_lshl_add_u64 v[46:47], v[6:7], 4, s[8:9]
	;; [unrolled: 1-line block ×4, first 2 shown]
	global_load_dword v5, v[34:35], off
	global_load_dwordx4 v[30:33], v[46:47], off offset:16
	global_load_dwordx4 v[38:41], v[46:47], off
	global_load_dwordx4 v[42:45], v[48:49], off
	;; [unrolled: 1-line block ×3, first 2 shown]
	v_mov_b32_e32 v29, v7
	v_add_u32_e32 v22, 32, v22
	v_cmp_ge_i32_e32 vcc, v22, v36
	s_or_b64 s[0:1], vcc, s[0:1]
	s_waitcnt vmcnt(4)
	v_subrev_u32_e32 v5, s16, v5
	v_mul_lo_u32 v28, v5, 11
	v_lshl_add_u64 v[34:35], v[28:29], 4, s[10:11]
	global_load_dwordx4 v[46:49], v[34:35], off
	v_add_u32_e32 v6, 1, v28
	v_lshl_add_u64 v[34:35], v[6:7], 4, s[10:11]
	global_load_dwordx4 v[50:53], v[34:35], off
	v_add_u32_e32 v6, -9, v4
	v_lshl_add_u64 v[34:35], v[6:7], 4, s[8:9]
	v_subrev_u32_e32 v6, 19, v4
	global_load_dwordx4 v[54:57], v[34:35], off
	v_lshl_add_u64 v[34:35], v[6:7], 4, s[8:9]
	v_add_u32_e32 v6, 2, v28
	global_load_dwordx4 v[58:61], v[34:35], off
	v_lshl_add_u64 v[34:35], v[6:7], 4, s[10:11]
	v_add_u32_e32 v6, -8, v4
	global_load_dwordx4 v[62:65], v[34:35], off
	v_lshl_add_u64 v[34:35], v[6:7], 4, s[8:9]
	global_load_dwordx4 v[66:69], v[34:35], off
	v_subrev_u32_e32 v6, 18, v4
	v_lshl_add_u64 v[34:35], v[6:7], 4, s[8:9]
	v_add_u32_e32 v6, 3, v28
	global_load_dwordx4 v[70:73], v[34:35], off
	v_lshl_add_u64 v[34:35], v[6:7], 4, s[10:11]
	v_add_u32_e32 v6, -7, v4
	global_load_dwordx4 v[74:77], v[34:35], off
	v_lshl_add_u64 v[34:35], v[6:7], 4, s[8:9]
	v_subrev_u32_e32 v6, 17, v4
	s_waitcnt vmcnt(7)
	v_fmac_f64_e32 v[26:27], v[38:39], v[46:47]
	v_fmac_f64_e32 v[20:21], v[40:41], v[46:47]
	v_fma_f64 v[78:79], -v[40:41], v[48:49], v[26:27]
	v_lshl_add_u64 v[26:27], v[6:7], 4, s[8:9]
	v_add_u32_e32 v6, 4, v28
	v_fmac_f64_e32 v[18:19], v[44:45], v[46:47]
	v_fmac_f64_e32 v[20:21], v[38:39], v[48:49]
	global_load_dwordx4 v[38:41], v[34:35], off
	v_fmac_f64_e32 v[24:25], v[42:43], v[46:47]
	v_fmac_f64_e32 v[18:19], v[42:43], v[48:49]
	v_lshl_add_u64 v[42:43], v[6:7], 4, s[10:11]
	v_add_u32_e32 v6, -6, v4
	v_lshl_add_u64 v[46:47], v[6:7], 4, s[8:9]
	s_waitcnt vmcnt(7)
	v_fmac_f64_e32 v[78:79], v[30:31], v[50:51]
	v_fmac_f64_e32 v[20:21], v[32:33], v[50:51]
	v_add_u32_e32 v6, -16, v4
	v_fma_f64 v[78:79], -v[32:33], v[52:53], v[78:79]
	v_fmac_f64_e32 v[20:21], v[30:31], v[52:53]
	global_load_dwordx4 v[30:33], v[46:47], off
	v_fma_f64 v[34:35], -v[44:45], v[48:49], v[24:25]
	global_load_dwordx4 v[24:27], v[26:27], off
	v_lshl_add_u64 v[46:47], v[6:7], 4, s[8:9]
	global_load_dwordx4 v[42:45], v[42:43], off
	v_add_u32_e32 v6, 5, v28
	s_waitcnt vmcnt(9)
	v_fmac_f64_e32 v[34:35], v[54:55], v[50:51]
	v_fmac_f64_e32 v[18:19], v[56:57], v[50:51]
	v_lshl_add_u64 v[50:51], v[6:7], 4, s[10:11]
	v_add_u32_e32 v6, -5, v4
	v_fmac_f64_e32 v[18:19], v[54:55], v[52:53]
	v_lshl_add_u64 v[54:55], v[6:7], 4, s[8:9]
	v_fma_f64 v[34:35], -v[56:57], v[52:53], v[34:35]
	global_load_dwordx4 v[46:49], v[46:47], off
	v_add_u32_e32 v6, -15, v4
	global_load_dwordx4 v[50:53], v[50:51], off
	s_waitcnt vmcnt(9)
	v_fmac_f64_e32 v[20:21], v[60:61], v[62:63]
	global_load_dwordx4 v[54:57], v[54:55], off
	v_fmac_f64_e32 v[78:79], v[58:59], v[62:63]
	v_fmac_f64_e32 v[20:21], v[58:59], v[64:65]
	v_lshl_add_u64 v[58:59], v[6:7], 4, s[8:9]
	v_add_u32_e32 v6, 6, v28
	s_waitcnt vmcnt(9)
	v_fmac_f64_e32 v[34:35], v[66:67], v[62:63]
	v_fmac_f64_e32 v[18:19], v[68:69], v[62:63]
	v_lshl_add_u64 v[62:63], v[6:7], 4, s[10:11]
	v_add_u32_e32 v6, -4, v4
	v_fma_f64 v[78:79], -v[60:61], v[64:65], v[78:79]
	global_load_dwordx4 v[58:61], v[58:59], off
	v_fma_f64 v[34:35], -v[68:69], v[64:65], v[34:35]
	v_fmac_f64_e32 v[18:19], v[66:67], v[64:65]
	global_load_dwordx4 v[62:65], v[62:63], off
	v_lshl_add_u64 v[66:67], v[6:7], 4, s[8:9]
	global_load_dwordx4 v[66:69], v[66:67], off
	v_add_u32_e32 v6, -14, v4
	s_waitcnt vmcnt(10)
	v_fmac_f64_e32 v[20:21], v[72:73], v[74:75]
	v_fmac_f64_e32 v[78:79], v[70:71], v[74:75]
	;; [unrolled: 1-line block ×3, first 2 shown]
	v_lshl_add_u64 v[70:71], v[6:7], 4, s[8:9]
	v_add_u32_e32 v6, 7, v28
	v_fma_f64 v[78:79], -v[72:73], v[76:77], v[78:79]
	s_waitcnt vmcnt(9)
	v_fmac_f64_e32 v[34:35], v[38:39], v[74:75]
	v_fmac_f64_e32 v[18:19], v[40:41], v[74:75]
	v_fma_f64 v[34:35], -v[40:41], v[76:77], v[34:35]
	v_fmac_f64_e32 v[18:19], v[38:39], v[76:77]
	global_load_dwordx4 v[38:41], v[70:71], off
	v_lshl_add_u64 v[70:71], v[6:7], 4, s[10:11]
	v_add_u32_e32 v6, -3, v4
	v_lshl_add_u64 v[74:75], v[6:7], 4, s[8:9]
	v_add_u32_e32 v6, -13, v4
	global_load_dwordx4 v[70:73], v[70:71], off
	s_waitcnt vmcnt(8)
	v_fmac_f64_e32 v[78:79], v[24:25], v[42:43]
	v_fma_f64 v[76:77], -v[26:27], v[44:45], v[78:79]
	v_lshl_add_u64 v[78:79], v[6:7], 4, s[8:9]
	v_add_u32_e32 v6, 8, v28
	v_fmac_f64_e32 v[20:21], v[26:27], v[42:43]
	v_fmac_f64_e32 v[34:35], v[30:31], v[42:43]
	;; [unrolled: 1-line block ×3, first 2 shown]
	v_lshl_add_u64 v[42:43], v[6:7], 4, s[10:11]
	v_add_u32_e32 v6, -2, v4
	v_fmac_f64_e32 v[20:21], v[24:25], v[44:45]
	global_load_dwordx4 v[24:27], v[74:75], off
	v_fma_f64 v[34:35], -v[32:33], v[44:45], v[34:35]
	v_fmac_f64_e32 v[18:19], v[30:31], v[44:45]
	global_load_dwordx4 v[30:33], v[78:79], off
	v_lshl_add_u64 v[74:75], v[6:7], 4, s[8:9]
	v_add_u32_e32 v6, -12, v4
	s_waitcnt vmcnt(8)
	v_fmac_f64_e32 v[76:77], v[46:47], v[50:51]
	v_fmac_f64_e32 v[20:21], v[48:49], v[50:51]
	v_lshl_add_u64 v[78:79], v[6:7], 4, s[8:9]
	v_add_u32_e32 v6, 9, v28
	s_waitcnt vmcnt(7)
	v_fmac_f64_e32 v[18:19], v[56:57], v[50:51]
	global_load_dwordx4 v[42:45], v[42:43], off
	v_fma_f64 v[76:77], -v[48:49], v[52:53], v[76:77]
	v_fmac_f64_e32 v[20:21], v[46:47], v[52:53]
	global_load_dwordx4 v[46:49], v[74:75], off
	v_fmac_f64_e32 v[34:35], v[54:55], v[50:51]
	v_fmac_f64_e32 v[18:19], v[54:55], v[52:53]
	v_lshl_add_u64 v[54:55], v[6:7], 4, s[10:11]
	v_add_u32_e32 v6, -1, v4
	v_fma_f64 v[34:35], -v[56:57], v[52:53], v[34:35]
	global_load_dwordx4 v[50:53], v[78:79], off
	v_lshl_add_u64 v[78:79], v[6:7], 4, s[8:9]
	v_add_u32_e32 v6, -11, v4
	v_lshl_add_u64 v[80:81], v[6:7], 4, s[8:9]
	v_add_u32_e32 v6, 10, v28
	global_load_dwordx4 v[54:57], v[54:55], off
	s_waitcnt vmcnt(9)
	v_fmac_f64_e32 v[76:77], v[58:59], v[62:63]
	v_fmac_f64_e32 v[20:21], v[60:61], v[62:63]
	v_fma_f64 v[28:29], -v[60:61], v[64:65], v[76:77]
	v_fmac_f64_e32 v[20:21], v[58:59], v[64:65]
	global_load_dwordx4 v[58:61], v[78:79], off
	global_load_dwordx4 v[74:77], v[80:81], off
	s_waitcnt vmcnt(10)
	v_fmac_f64_e32 v[34:35], v[66:67], v[62:63]
	v_fmac_f64_e32 v[18:19], v[68:69], v[62:63]
	v_lshl_add_u64 v[62:63], v[6:7], 4, s[10:11]
	v_fma_f64 v[34:35], -v[68:69], v[64:65], v[34:35]
	v_fmac_f64_e32 v[18:19], v[66:67], v[64:65]
	global_load_dwordx4 v[62:65], v[62:63], off
	v_add_u32_e32 v4, 0x2c0, v4
	s_waitcnt vmcnt(9)
	v_fmac_f64_e32 v[28:29], v[38:39], v[70:71]
	v_fmac_f64_e32 v[20:21], v[40:41], v[70:71]
	v_fma_f64 v[28:29], -v[40:41], v[72:73], v[28:29]
	v_fmac_f64_e32 v[20:21], v[38:39], v[72:73]
	s_waitcnt vmcnt(8)
	v_fmac_f64_e32 v[34:35], v[24:25], v[70:71]
	v_fmac_f64_e32 v[18:19], v[26:27], v[70:71]
	v_fma_f64 v[26:27], -v[26:27], v[72:73], v[34:35]
	v_fmac_f64_e32 v[18:19], v[24:25], v[72:73]
	s_waitcnt vmcnt(6)
	v_fmac_f64_e32 v[28:29], v[30:31], v[42:43]
	v_fmac_f64_e32 v[20:21], v[32:33], v[42:43]
	v_fma_f64 v[24:25], -v[32:33], v[44:45], v[28:29]
	s_waitcnt vmcnt(5)
	v_fmac_f64_e32 v[26:27], v[46:47], v[42:43]
	v_fmac_f64_e32 v[18:19], v[48:49], v[42:43]
	;; [unrolled: 1-line block ×3, first 2 shown]
	v_fma_f64 v[26:27], -v[48:49], v[44:45], v[26:27]
	v_fmac_f64_e32 v[18:19], v[46:47], v[44:45]
	s_waitcnt vmcnt(3)
	v_fmac_f64_e32 v[24:25], v[50:51], v[54:55]
	v_fmac_f64_e32 v[20:21], v[52:53], v[54:55]
	v_fma_f64 v[24:25], -v[52:53], v[56:57], v[24:25]
	v_fmac_f64_e32 v[20:21], v[50:51], v[56:57]
	s_waitcnt vmcnt(2)
	v_fmac_f64_e32 v[26:27], v[58:59], v[54:55]
	v_fmac_f64_e32 v[18:19], v[60:61], v[54:55]
	;; [unrolled: 5-line block ×3, first 2 shown]
	v_fmac_f64_e32 v[28:29], v[0:1], v[62:63]
	v_fmac_f64_e32 v[18:19], v[2:3], v[62:63]
	v_fma_f64 v[26:27], -v[76:77], v[64:65], v[24:25]
	v_fmac_f64_e32 v[20:21], v[74:75], v[64:65]
	v_fma_f64 v[24:25], -v[2:3], v[64:65], v[28:29]
	v_fmac_f64_e32 v[18:19], v[0:1], v[64:65]
	s_andn2_b64 exec, exec, s[0:1]
	s_cbranch_execnz .LBB276_17
; %bb.18:
	s_or_b64 exec, exec, s[0:1]
.LBB276_19:
	s_or_b64 exec, exec, s[4:5]
.LBB276_20:
	v_mov_b32_dpp v4, v20 row_shr:1 row_mask:0xf bank_mask:0xf
	v_mov_b32_dpp v5, v21 row_shr:1 row_mask:0xf bank_mask:0xf
	v_add_f64 v[4:5], v[20:21], v[4:5]
	v_mov_b32_dpp v0, v26 row_shr:1 row_mask:0xf bank_mask:0xf
	v_mov_b32_dpp v1, v27 row_shr:1 row_mask:0xf bank_mask:0xf
	;; [unrolled: 1-line block ×4, first 2 shown]
	v_add_f64 v[4:5], v[4:5], v[6:7]
	v_add_f64 v[0:1], v[26:27], v[0:1]
	v_cmp_eq_u32_e32 vcc, 31, v17
	v_mov_b32_dpp v6, v4 row_shr:4 row_mask:0xf bank_mask:0xe
	v_mov_b32_dpp v7, v5 row_shr:4 row_mask:0xf bank_mask:0xe
	v_add_f64 v[4:5], v[4:5], v[6:7]
	v_mov_b32_dpp v2, v0 row_shr:2 row_mask:0xf bank_mask:0xf
	v_mov_b32_dpp v3, v1 row_shr:2 row_mask:0xf bank_mask:0xf
	v_mov_b32_dpp v6, v4 row_shr:8 row_mask:0xf bank_mask:0xc
	v_mov_b32_dpp v7, v5 row_shr:8 row_mask:0xf bank_mask:0xc
	v_add_f64 v[6:7], v[4:5], v[6:7]
	v_mov_b32_dpp v4, v24 row_shr:1 row_mask:0xf bank_mask:0xf
	v_mov_b32_dpp v5, v25 row_shr:1 row_mask:0xf bank_mask:0xf
	v_add_f64 v[4:5], v[24:25], v[4:5]
	v_add_f64 v[0:1], v[0:1], v[2:3]
	v_mov_b32_dpp v20, v6 row_bcast:15 row_mask:0xa bank_mask:0xf
	v_mov_b32_dpp v22, v4 row_shr:2 row_mask:0xf bank_mask:0xf
	v_mov_b32_dpp v23, v5 row_shr:2 row_mask:0xf bank_mask:0xf
	v_add_f64 v[4:5], v[4:5], v[22:23]
	v_mov_b32_dpp v2, v0 row_shr:4 row_mask:0xf bank_mask:0xe
	v_mov_b32_dpp v3, v1 row_shr:4 row_mask:0xf bank_mask:0xe
	;; [unrolled: 1-line block ×4, first 2 shown]
	v_add_f64 v[4:5], v[4:5], v[22:23]
	v_add_f64 v[0:1], v[0:1], v[2:3]
	v_mov_b32_dpp v21, v7 row_bcast:15 row_mask:0xa bank_mask:0xf
	v_mov_b32_dpp v22, v4 row_shr:8 row_mask:0xf bank_mask:0xc
	v_mov_b32_dpp v23, v5 row_shr:8 row_mask:0xf bank_mask:0xc
	v_add_f64 v[22:23], v[4:5], v[22:23]
	v_mov_b32_dpp v4, v18 row_shr:1 row_mask:0xf bank_mask:0xf
	v_mov_b32_dpp v5, v19 row_shr:1 row_mask:0xf bank_mask:0xf
	v_add_f64 v[4:5], v[18:19], v[4:5]
	v_mov_b32_dpp v2, v0 row_shr:8 row_mask:0xf bank_mask:0xc
	v_mov_b32_dpp v3, v1 row_shr:8 row_mask:0xf bank_mask:0xc
	;; [unrolled: 1-line block ×4, first 2 shown]
	v_add_f64 v[4:5], v[4:5], v[18:19]
	v_add_f64 v[0:1], v[0:1], v[2:3]
	v_mov_b32_dpp v24, v22 row_bcast:15 row_mask:0xa bank_mask:0xf
	v_mov_b32_dpp v18, v4 row_shr:4 row_mask:0xf bank_mask:0xe
	v_mov_b32_dpp v19, v5 row_shr:4 row_mask:0xf bank_mask:0xe
	v_add_f64 v[4:5], v[4:5], v[18:19]
	v_mov_b32_dpp v2, v0 row_bcast:15 row_mask:0xa bank_mask:0xf
	v_mov_b32_dpp v3, v1 row_bcast:15 row_mask:0xa bank_mask:0xf
	v_mov_b32_dpp v18, v4 row_shr:8 row_mask:0xf bank_mask:0xc
	v_mov_b32_dpp v19, v5 row_shr:8 row_mask:0xf bank_mask:0xc
	v_add_f64 v[18:19], v[4:5], v[18:19]
	v_mov_b32_dpp v25, v23 row_bcast:15 row_mask:0xa bank_mask:0xf
	s_nop 0
	v_mov_b32_dpp v26, v18 row_bcast:15 row_mask:0xa bank_mask:0xf
	v_mov_b32_dpp v27, v19 row_bcast:15 row_mask:0xa bank_mask:0xf
	s_and_b64 exec, exec, vcc
	s_cbranch_execz .LBB276_25
; %bb.21:
	s_load_dwordx2 s[2:3], s[2:3], 0x48
	v_cmp_eq_f64_e32 vcc, 0, v[12:13]
	v_cmp_eq_f64_e64 s[0:1], 0, v[14:15]
	v_add_f64 v[4:5], v[0:1], v[2:3]
	v_add_f64 v[6:7], v[6:7], v[20:21]
	v_add_f64 v[0:1], v[22:23], v[24:25]
	v_add_f64 v[2:3], v[18:19], v[26:27]
	s_and_b64 s[0:1], vcc, s[0:1]
	s_and_saveexec_b64 s[4:5], s[0:1]
	s_xor_b64 s[0:1], exec, s[4:5]
	s_cbranch_execz .LBB276_23
; %bb.22:
	v_mul_f64 v[12:13], v[6:7], -v[10:11]
	v_mul_f64 v[14:15], v[8:9], v[6:7]
	v_fmac_f64_e32 v[12:13], v[8:9], v[4:5]
	v_fmac_f64_e32 v[14:15], v[10:11], v[4:5]
	v_lshlrev_b32_e32 v4, 1, v16
	v_ashrrev_i32_e32 v5, 31, v4
	s_waitcnt lgkmcnt(0)
	v_lshl_add_u64 v[16:17], v[4:5], 4, s[2:3]
	v_mul_f64 v[4:5], v[2:3], -v[10:11]
	v_mul_f64 v[6:7], v[8:9], v[2:3]
	v_fmac_f64_e32 v[4:5], v[8:9], v[0:1]
	v_fmac_f64_e32 v[6:7], v[10:11], v[0:1]
	global_store_dwordx4 v[16:17], v[12:15], off
	global_store_dwordx4 v[16:17], v[4:7], off offset:16
                                        ; implicit-def: $vgpr8_vgpr9
                                        ; implicit-def: $vgpr10_vgpr11
                                        ; implicit-def: $vgpr12_vgpr13
                                        ; implicit-def: $vgpr14_vgpr15
                                        ; implicit-def: $vgpr16
                                        ; implicit-def: $vgpr4_vgpr5
                                        ; implicit-def: $vgpr6_vgpr7
                                        ; implicit-def: $vgpr0_vgpr1
                                        ; implicit-def: $vgpr2_vgpr3
.LBB276_23:
	s_andn2_saveexec_b64 s[0:1], s[0:1]
	s_cbranch_execz .LBB276_25
; %bb.24:
	v_lshlrev_b32_e32 v16, 1, v16
	v_ashrrev_i32_e32 v17, 31, v16
	s_waitcnt lgkmcnt(0)
	v_lshl_add_u64 v[24:25], v[16:17], 4, s[2:3]
	global_load_dwordx4 v[16:19], v[24:25], off
	global_load_dwordx4 v[20:23], v[24:25], off offset:16
	v_mul_f64 v[26:27], v[6:7], -v[10:11]
	v_mul_f64 v[6:7], v[8:9], v[6:7]
	v_mul_f64 v[28:29], v[2:3], -v[10:11]
	v_mul_f64 v[2:3], v[8:9], v[2:3]
	v_fmac_f64_e32 v[26:27], v[8:9], v[4:5]
	v_fmac_f64_e32 v[6:7], v[10:11], v[4:5]
	;; [unrolled: 1-line block ×4, first 2 shown]
	s_waitcnt vmcnt(1)
	v_fmac_f64_e32 v[26:27], v[12:13], v[16:17]
	v_fmac_f64_e32 v[6:7], v[14:15], v[16:17]
	s_waitcnt vmcnt(0)
	v_fmac_f64_e32 v[28:29], v[12:13], v[20:21]
	v_fmac_f64_e32 v[2:3], v[14:15], v[20:21]
	v_fma_f64 v[4:5], -v[14:15], v[18:19], v[26:27]
	v_fmac_f64_e32 v[6:7], v[12:13], v[18:19]
	v_fma_f64 v[0:1], -v[14:15], v[22:23], v[28:29]
	v_fmac_f64_e32 v[2:3], v[12:13], v[22:23]
	global_store_dwordx4 v[24:25], v[4:7], off
	global_store_dwordx4 v[24:25], v[0:3], off offset:16
.LBB276_25:
	s_endpgm
	.section	.rodata,"a",@progbits
	.p2align	6, 0x0
	.amdhsa_kernel _ZN9rocsparseL19gebsrmvn_2xn_kernelILj128ELj11ELj32E21rocsparse_complex_numIdEEEvi20rocsparse_direction_NS_24const_host_device_scalarIT2_EEPKiS8_PKS5_SA_S6_PS5_21rocsparse_index_base_b
		.amdhsa_group_segment_fixed_size 2048
		.amdhsa_private_segment_fixed_size 0
		.amdhsa_kernarg_size 88
		.amdhsa_user_sgpr_count 4
		.amdhsa_user_sgpr_dispatch_ptr 1
		.amdhsa_user_sgpr_queue_ptr 0
		.amdhsa_user_sgpr_kernarg_segment_ptr 1
		.amdhsa_user_sgpr_dispatch_id 0
		.amdhsa_user_sgpr_kernarg_preload_length 0
		.amdhsa_user_sgpr_kernarg_preload_offset 0
		.amdhsa_user_sgpr_private_segment_size 0
		.amdhsa_uses_dynamic_stack 0
		.amdhsa_enable_private_segment 0
		.amdhsa_system_sgpr_workgroup_id_x 1
		.amdhsa_system_sgpr_workgroup_id_y 0
		.amdhsa_system_sgpr_workgroup_id_z 0
		.amdhsa_system_sgpr_workgroup_info 0
		.amdhsa_system_vgpr_workitem_id 2
		.amdhsa_next_free_vgpr 92
		.amdhsa_next_free_sgpr 20
		.amdhsa_accum_offset 92
		.amdhsa_reserve_vcc 1
		.amdhsa_float_round_mode_32 0
		.amdhsa_float_round_mode_16_64 0
		.amdhsa_float_denorm_mode_32 3
		.amdhsa_float_denorm_mode_16_64 3
		.amdhsa_dx10_clamp 1
		.amdhsa_ieee_mode 1
		.amdhsa_fp16_overflow 0
		.amdhsa_tg_split 0
		.amdhsa_exception_fp_ieee_invalid_op 0
		.amdhsa_exception_fp_denorm_src 0
		.amdhsa_exception_fp_ieee_div_zero 0
		.amdhsa_exception_fp_ieee_overflow 0
		.amdhsa_exception_fp_ieee_underflow 0
		.amdhsa_exception_fp_ieee_inexact 0
		.amdhsa_exception_int_div_zero 0
	.end_amdhsa_kernel
	.section	.text._ZN9rocsparseL19gebsrmvn_2xn_kernelILj128ELj11ELj32E21rocsparse_complex_numIdEEEvi20rocsparse_direction_NS_24const_host_device_scalarIT2_EEPKiS8_PKS5_SA_S6_PS5_21rocsparse_index_base_b,"axG",@progbits,_ZN9rocsparseL19gebsrmvn_2xn_kernelILj128ELj11ELj32E21rocsparse_complex_numIdEEEvi20rocsparse_direction_NS_24const_host_device_scalarIT2_EEPKiS8_PKS5_SA_S6_PS5_21rocsparse_index_base_b,comdat
.Lfunc_end276:
	.size	_ZN9rocsparseL19gebsrmvn_2xn_kernelILj128ELj11ELj32E21rocsparse_complex_numIdEEEvi20rocsparse_direction_NS_24const_host_device_scalarIT2_EEPKiS8_PKS5_SA_S6_PS5_21rocsparse_index_base_b, .Lfunc_end276-_ZN9rocsparseL19gebsrmvn_2xn_kernelILj128ELj11ELj32E21rocsparse_complex_numIdEEEvi20rocsparse_direction_NS_24const_host_device_scalarIT2_EEPKiS8_PKS5_SA_S6_PS5_21rocsparse_index_base_b
                                        ; -- End function
	.section	.AMDGPU.csdata,"",@progbits
; Kernel info:
; codeLenInByte = 3632
; NumSgprs: 26
; NumVgprs: 92
; NumAgprs: 0
; TotalNumVgprs: 92
; ScratchSize: 0
; MemoryBound: 0
; FloatMode: 240
; IeeeMode: 1
; LDSByteSize: 2048 bytes/workgroup (compile time only)
; SGPRBlocks: 3
; VGPRBlocks: 11
; NumSGPRsForWavesPerEU: 26
; NumVGPRsForWavesPerEU: 92
; AccumOffset: 92
; Occupancy: 5
; WaveLimiterHint : 1
; COMPUTE_PGM_RSRC2:SCRATCH_EN: 0
; COMPUTE_PGM_RSRC2:USER_SGPR: 4
; COMPUTE_PGM_RSRC2:TRAP_HANDLER: 0
; COMPUTE_PGM_RSRC2:TGID_X_EN: 1
; COMPUTE_PGM_RSRC2:TGID_Y_EN: 0
; COMPUTE_PGM_RSRC2:TGID_Z_EN: 0
; COMPUTE_PGM_RSRC2:TIDIG_COMP_CNT: 2
; COMPUTE_PGM_RSRC3_GFX90A:ACCUM_OFFSET: 22
; COMPUTE_PGM_RSRC3_GFX90A:TG_SPLIT: 0
	.section	.text._ZN9rocsparseL19gebsrmvn_2xn_kernelILj128ELj11ELj64E21rocsparse_complex_numIdEEEvi20rocsparse_direction_NS_24const_host_device_scalarIT2_EEPKiS8_PKS5_SA_S6_PS5_21rocsparse_index_base_b,"axG",@progbits,_ZN9rocsparseL19gebsrmvn_2xn_kernelILj128ELj11ELj64E21rocsparse_complex_numIdEEEvi20rocsparse_direction_NS_24const_host_device_scalarIT2_EEPKiS8_PKS5_SA_S6_PS5_21rocsparse_index_base_b,comdat
	.globl	_ZN9rocsparseL19gebsrmvn_2xn_kernelILj128ELj11ELj64E21rocsparse_complex_numIdEEEvi20rocsparse_direction_NS_24const_host_device_scalarIT2_EEPKiS8_PKS5_SA_S6_PS5_21rocsparse_index_base_b ; -- Begin function _ZN9rocsparseL19gebsrmvn_2xn_kernelILj128ELj11ELj64E21rocsparse_complex_numIdEEEvi20rocsparse_direction_NS_24const_host_device_scalarIT2_EEPKiS8_PKS5_SA_S6_PS5_21rocsparse_index_base_b
	.p2align	8
	.type	_ZN9rocsparseL19gebsrmvn_2xn_kernelILj128ELj11ELj64E21rocsparse_complex_numIdEEEvi20rocsparse_direction_NS_24const_host_device_scalarIT2_EEPKiS8_PKS5_SA_S6_PS5_21rocsparse_index_base_b,@function
_ZN9rocsparseL19gebsrmvn_2xn_kernelILj128ELj11ELj64E21rocsparse_complex_numIdEEEvi20rocsparse_direction_NS_24const_host_device_scalarIT2_EEPKiS8_PKS5_SA_S6_PS5_21rocsparse_index_base_b: ; @_ZN9rocsparseL19gebsrmvn_2xn_kernelILj128ELj11ELj64E21rocsparse_complex_numIdEEEvi20rocsparse_direction_NS_24const_host_device_scalarIT2_EEPKiS8_PKS5_SA_S6_PS5_21rocsparse_index_base_b
; %bb.0:
	s_load_dwordx2 s[16:17], s[2:3], 0x50
	s_load_dwordx4 s[12:15], s[2:3], 0x8
	s_load_dwordx4 s[8:11], s[2:3], 0x38
	s_load_dwordx2 s[18:19], s[0:1], 0x4
	s_mov_b64 s[6:7], src_shared_base
	s_waitcnt lgkmcnt(0)
	s_bitcmp1_b32 s17, 0
	s_cselect_b64 s[0:1], -1, 0
	s_and_b64 vcc, s[0:1], exec
	s_cselect_b32 s5, s7, s13
	s_lshr_b32 s6, s18, 16
	v_bfe_u32 v2, v0, 10, 10
	v_and_b32_e32 v1, 0x3ff, v0
	s_mul_i32 s6, s6, s19
	v_mul_u32_u24_e32 v2, s19, v2
	v_mad_u32_u24 v2, s6, v1, v2
	v_bfe_u32 v0, v0, 20, 10
	v_add_lshl_u32 v0, v2, v0, 3
	v_mov_b32_e32 v6, s12
	v_add_u32_e32 v7, 0x400, v0
	v_mov_b64_e32 v[2:3], s[12:13]
	v_mov_b64_e32 v[4:5], s[8:9]
	ds_write2st64_b64 v0, v[4:5], v[2:3] offset1:2
	v_cndmask_b32_e64 v2, v6, v7, s[0:1]
	v_mov_b32_e32 v3, s5
	flat_load_dwordx2 v[8:9], v[2:3]
	s_xor_b64 s[18:19], s[0:1], -1
	v_mov_b64_e32 v[10:11], s[14:15]
	s_cbranch_vccnz .LBB277_2
; %bb.1:
	v_mov_b64_e32 v[2:3], s[12:13]
	flat_load_dwordx2 v[10:11], v[2:3] offset:8
.LBB277_2:
	s_and_b64 s[12:13], s[0:1], exec
	s_cselect_b32 s5, s7, s9
	v_mov_b32_e32 v2, s8
	v_cndmask_b32_e64 v2, v2, v0, s[0:1]
	v_mov_b32_e32 v3, s5
	flat_load_dwordx2 v[12:13], v[2:3]
	s_andn2_b64 vcc, exec, s[18:19]
	v_mov_b64_e32 v[14:15], s[10:11]
	s_cbranch_vccnz .LBB277_4
; %bb.3:
	v_mov_b64_e32 v[2:3], s[8:9]
	flat_load_dwordx2 v[14:15], v[2:3] offset:8
.LBB277_4:
	s_waitcnt vmcnt(0) lgkmcnt(0)
	v_cmp_eq_f64_e32 vcc, 0, v[8:9]
	v_cmp_eq_f64_e64 s[0:1], 0, v[10:11]
	s_and_b64 s[8:9], vcc, s[0:1]
	s_mov_b64 s[0:1], -1
	s_and_saveexec_b64 s[6:7], s[8:9]
; %bb.5:
	v_cmp_neq_f64_e32 vcc, 1.0, v[12:13]
	v_cmp_neq_f64_e64 s[0:1], 0, v[14:15]
	s_or_b64 s[0:1], vcc, s[0:1]
	s_orn2_b64 s[0:1], s[0:1], exec
; %bb.6:
	s_or_b64 exec, exec, s[6:7]
	s_and_saveexec_b64 s[6:7], s[0:1]
	s_cbranch_execz .LBB277_25
; %bb.7:
	s_load_dwordx2 s[0:1], s[2:3], 0x0
	v_lshrrev_b32_e32 v0, 6, v1
	v_lshl_or_b32 v16, s4, 1, v0
	s_waitcnt lgkmcnt(0)
	v_cmp_gt_i32_e32 vcc, s0, v16
	s_and_b64 exec, exec, vcc
	s_cbranch_execz .LBB277_25
; %bb.8:
	s_load_dwordx8 s[4:11], s[2:3], 0x18
	v_ashrrev_i32_e32 v17, 31, v16
	s_cmp_lg_u32 s1, 0
	s_waitcnt lgkmcnt(0)
	v_lshl_add_u64 v[2:3], v[16:17], 2, s[4:5]
	global_load_dwordx2 v[2:3], v[2:3], off
	v_and_b32_e32 v17, 63, v1
	s_waitcnt vmcnt(0)
	v_subrev_u32_e32 v0, s16, v2
	v_subrev_u32_e32 v36, s16, v3
	v_add_u32_e32 v22, v0, v17
	v_cmp_lt_i32_e64 s[0:1], v22, v36
	s_cbranch_scc0 .LBB277_14
; %bb.9:
	v_mov_b64_e32 v[20:21], 0
	s_mov_b64 s[4:5], 0
	v_mov_b64_e32 v[26:27], v[20:21]
	v_mov_b64_e32 v[24:25], v[20:21]
	;; [unrolled: 1-line block ×3, first 2 shown]
	s_and_saveexec_b64 s[12:13], s[0:1]
	s_cbranch_execz .LBB277_13
; %bb.10:
	v_mad_u64_u32 v[28:29], s[14:15], v22, 22, 20
	v_mov_b64_e32 v[20:21], 0
	s_mov_b64 s[14:15], 0
	v_mov_b32_e32 v31, 0
	v_mov_b32_e32 v32, v22
	v_mov_b64_e32 v[26:27], v[20:21]
	v_mov_b64_e32 v[24:25], v[20:21]
	;; [unrolled: 1-line block ×3, first 2 shown]
.LBB277_11:                             ; =>This Inner Loop Header: Depth=1
	v_ashrrev_i32_e32 v33, 31, v32
	v_subrev_u32_e32 v30, 20, v28
	v_lshl_add_u64 v[0:1], v[32:33], 2, s[6:7]
	v_lshl_add_u64 v[2:3], v[30:31], 4, s[8:9]
	global_load_dword v23, v[0:1], off
	global_load_dwordx4 v[38:41], v[2:3], off offset:16
	global_load_dwordx4 v[42:45], v[2:3], off
	v_mov_b32_e32 v29, v31
	v_mov_b32_e32 v35, v31
	v_subrev_u32_e32 v30, 18, v28
	v_lshl_add_u64 v[54:55], v[28:29], 4, s[8:9]
	v_lshl_add_u64 v[56:57], v[30:31], 4, s[8:9]
	global_load_dwordx4 v[0:3], v[54:55], off offset:16
	global_load_dwordx4 v[4:7], v[54:55], off
	global_load_dwordx4 v[46:49], v[56:57], off offset:16
	global_load_dwordx4 v[50:53], v[56:57], off
	v_add_u32_e32 v32, 64, v32
	v_cmp_ge_i32_e32 vcc, v32, v36
	s_or_b64 s[14:15], vcc, s[14:15]
	s_waitcnt vmcnt(6)
	v_subrev_u32_e32 v23, s16, v23
	v_mul_lo_u32 v34, v23, 11
	v_lshl_add_u64 v[54:55], v[34:35], 4, s[10:11]
	global_load_dwordx4 v[54:57], v[54:55], off
	v_add_u32_e32 v30, 1, v34
	v_lshl_add_u64 v[58:59], v[30:31], 4, s[10:11]
	global_load_dwordx4 v[58:61], v[58:59], off
	v_add_u32_e32 v30, -16, v28
	v_lshl_add_u64 v[70:71], v[30:31], 4, s[8:9]
	v_add_u32_e32 v30, 2, v34
	global_load_dwordx4 v[62:65], v[70:71], off offset:16
	global_load_dwordx4 v[66:69], v[70:71], off
	v_lshl_add_u64 v[70:71], v[30:31], 4, s[10:11]
	v_add_u32_e32 v30, -14, v28
	global_load_dwordx4 v[70:73], v[70:71], off
	v_lshl_add_u64 v[82:83], v[30:31], 4, s[8:9]
	v_add_u32_e32 v30, 3, v34
	global_load_dwordx4 v[74:77], v[82:83], off offset:16
	global_load_dwordx4 v[78:81], v[82:83], off
	v_lshl_add_u64 v[82:83], v[30:31], 4, s[10:11]
	v_add_u32_e32 v30, -12, v28
	global_load_dwordx4 v[82:85], v[82:83], off
	v_lshl_add_u64 v[86:87], v[30:31], 4, s[8:9]
	v_add_u32_e32 v30, 4, v34
	s_waitcnt vmcnt(7)
	v_fmac_f64_e32 v[18:19], v[40:41], v[54:55]
	v_fmac_f64_e32 v[26:27], v[42:43], v[54:55]
	;; [unrolled: 1-line block ×5, first 2 shown]
	v_lshl_add_u64 v[38:39], v[30:31], 4, s[10:11]
	v_fma_f64 v[88:89], -v[44:45], v[56:57], v[26:27]
	v_fmac_f64_e32 v[20:21], v[42:43], v[56:57]
	global_load_dwordx4 v[42:45], v[86:87], off offset:16
	v_fma_f64 v[54:55], -v[40:41], v[56:57], v[24:25]
	global_load_dwordx4 v[24:27], v[86:87], off
	v_add_u32_e32 v30, -10, v28
	global_load_dwordx4 v[38:41], v[38:39], off
	v_lshl_add_u64 v[56:57], v[30:31], 4, s[8:9]
	v_add_u32_e32 v30, 5, v34
	s_waitcnt vmcnt(9)
	v_fmac_f64_e32 v[88:89], v[50:51], v[58:59]
	v_fmac_f64_e32 v[54:55], v[46:47], v[58:59]
	;; [unrolled: 1-line block ×3, first 2 shown]
	v_fma_f64 v[86:87], -v[52:53], v[60:61], v[88:89]
	v_fmac_f64_e32 v[18:19], v[48:49], v[58:59]
	v_fma_f64 v[88:89], -v[48:49], v[60:61], v[54:55]
	v_lshl_add_u64 v[54:55], v[30:31], 4, s[10:11]
	v_fmac_f64_e32 v[20:21], v[50:51], v[60:61]
	global_load_dwordx4 v[50:53], v[56:57], off offset:16
	v_fmac_f64_e32 v[18:19], v[46:47], v[60:61]
	global_load_dwordx4 v[46:49], v[56:57], off
	v_add_u32_e32 v30, -8, v28
	global_load_dwordx4 v[54:57], v[54:55], off
	v_lshl_add_u64 v[90:91], v[30:31], 4, s[8:9]
	v_add_u32_e32 v30, 6, v34
	s_waitcnt vmcnt(9)
	v_fmac_f64_e32 v[20:21], v[68:69], v[70:71]
	v_fmac_f64_e32 v[18:19], v[64:65], v[70:71]
	;; [unrolled: 1-line block ×6, first 2 shown]
	v_lshl_add_u64 v[66:67], v[30:31], 4, s[10:11]
	v_add_u32_e32 v30, -6, v28
	v_fma_f64 v[86:87], -v[68:69], v[72:73], v[86:87]
	global_load_dwordx4 v[58:61], v[90:91], off offset:16
	v_fma_f64 v[88:89], -v[64:65], v[72:73], v[88:89]
	global_load_dwordx4 v[62:65], v[90:91], off
	v_lshl_add_u64 v[90:91], v[30:31], 4, s[8:9]
	global_load_dwordx4 v[66:69], v[66:67], off
	v_add_u32_e32 v30, 7, v34
	s_waitcnt vmcnt(9)
	v_fmac_f64_e32 v[20:21], v[80:81], v[82:83]
	v_fmac_f64_e32 v[18:19], v[76:77], v[82:83]
	v_fmac_f64_e32 v[86:87], v[78:79], v[82:83]
	v_fmac_f64_e32 v[20:21], v[78:79], v[84:85]
	v_fmac_f64_e32 v[88:89], v[74:75], v[82:83]
	v_fmac_f64_e32 v[18:19], v[74:75], v[84:85]
	v_lshl_add_u64 v[78:79], v[30:31], 4, s[10:11]
	v_add_u32_e32 v30, -4, v28
	v_fma_f64 v[86:87], -v[80:81], v[84:85], v[86:87]
	global_load_dwordx4 v[70:73], v[90:91], off offset:16
	v_fma_f64 v[82:83], -v[76:77], v[84:85], v[88:89]
	global_load_dwordx4 v[74:77], v[90:91], off
	v_lshl_add_u64 v[84:85], v[30:31], 4, s[8:9]
	global_load_dwordx4 v[78:81], v[78:79], off
	v_add_u32_e32 v30, 8, v34
	s_waitcnt vmcnt(9)
	v_fmac_f64_e32 v[18:19], v[44:45], v[38:39]
	v_fmac_f64_e32 v[86:87], v[24:25], v[38:39]
	;; [unrolled: 1-line block ×5, first 2 shown]
	v_lshl_add_u64 v[42:43], v[30:31], 4, s[10:11]
	v_add_u32_e32 v30, -2, v28
	v_fma_f64 v[86:87], -v[26:27], v[40:41], v[86:87]
	v_fmac_f64_e32 v[20:21], v[24:25], v[40:41]
	global_load_dwordx4 v[24:27], v[84:85], off offset:16
	v_fma_f64 v[82:83], -v[44:45], v[40:41], v[82:83]
	global_load_dwordx4 v[38:41], v[84:85], off
	v_lshl_add_u64 v[84:85], v[30:31], 4, s[8:9]
	global_load_dwordx4 v[42:45], v[42:43], off
	v_add_u32_e32 v30, 9, v34
	s_waitcnt vmcnt(9)
	v_fmac_f64_e32 v[86:87], v[46:47], v[54:55]
	v_fmac_f64_e32 v[20:21], v[48:49], v[54:55]
	;; [unrolled: 1-line block ×4, first 2 shown]
	v_lshl_add_u64 v[54:55], v[30:31], 4, s[10:11]
	v_fma_f64 v[86:87], -v[48:49], v[56:57], v[86:87]
	v_fmac_f64_e32 v[20:21], v[46:47], v[56:57]
	global_load_dwordx4 v[46:49], v[84:85], off offset:16
	v_fma_f64 v[88:89], -v[52:53], v[56:57], v[82:83]
	v_fmac_f64_e32 v[18:19], v[50:51], v[56:57]
	global_load_dwordx4 v[50:53], v[84:85], off
	v_add_u32_e32 v30, 10, v34
	global_load_dwordx4 v[54:57], v[54:55], off
	v_lshl_add_u64 v[34:35], v[30:31], 4, s[10:11]
	global_load_dwordx4 v[82:85], v[34:35], off
	v_add_u32_e32 v28, 0x580, v28
	s_waitcnt vmcnt(10)
	v_fmac_f64_e32 v[86:87], v[62:63], v[66:67]
	v_fmac_f64_e32 v[20:21], v[64:65], v[66:67]
	v_fmac_f64_e32 v[88:89], v[58:59], v[66:67]
	v_fmac_f64_e32 v[18:19], v[60:61], v[66:67]
	v_fma_f64 v[34:35], -v[64:65], v[68:69], v[86:87]
	v_fmac_f64_e32 v[20:21], v[62:63], v[68:69]
	v_fma_f64 v[60:61], -v[60:61], v[68:69], v[88:89]
	v_fmac_f64_e32 v[18:19], v[58:59], v[68:69]
	s_waitcnt vmcnt(7)
	v_fmac_f64_e32 v[34:35], v[74:75], v[78:79]
	v_fmac_f64_e32 v[20:21], v[76:77], v[78:79]
	v_fmac_f64_e32 v[60:61], v[70:71], v[78:79]
	v_fmac_f64_e32 v[18:19], v[72:73], v[78:79]
	v_fma_f64 v[34:35], -v[76:77], v[80:81], v[34:35]
	v_fmac_f64_e32 v[20:21], v[74:75], v[80:81]
	v_fma_f64 v[58:59], -v[72:73], v[80:81], v[60:61]
	v_fmac_f64_e32 v[18:19], v[70:71], v[80:81]
	;; [unrolled: 9-line block ×5, first 2 shown]
	s_andn2_b64 exec, exec, s[14:15]
	s_cbranch_execnz .LBB277_11
; %bb.12:
	s_or_b64 exec, exec, s[14:15]
.LBB277_13:
	s_or_b64 exec, exec, s[12:13]
	s_andn2_b64 vcc, exec, s[4:5]
	s_cbranch_vccz .LBB277_15
	s_branch .LBB277_20
.LBB277_14:
                                        ; implicit-def: $vgpr20_vgpr21
                                        ; implicit-def: $vgpr26_vgpr27
                                        ; implicit-def: $vgpr24_vgpr25
                                        ; implicit-def: $vgpr18_vgpr19
.LBB277_15:
	v_mov_b64_e32 v[20:21], 0
	v_mov_b64_e32 v[26:27], v[20:21]
	;; [unrolled: 1-line block ×4, first 2 shown]
	s_and_saveexec_b64 s[4:5], s[0:1]
	s_cbranch_execz .LBB277_19
; %bb.16:
	v_mad_u64_u32 v[4:5], s[0:1], v22, 22, 21
	v_mov_b64_e32 v[20:21], 0
	s_mov_b64 s[0:1], 0
	v_mov_b32_e32 v7, 0
	v_mov_b64_e32 v[26:27], v[20:21]
	v_mov_b64_e32 v[24:25], v[20:21]
	;; [unrolled: 1-line block ×3, first 2 shown]
.LBB277_17:                             ; =>This Inner Loop Header: Depth=1
	v_ashrrev_i32_e32 v23, 31, v22
	v_subrev_u32_e32 v6, 21, v4
	v_add_u32_e32 v0, -10, v4
	v_mov_b32_e32 v1, v7
	v_mov_b32_e32 v5, v7
	v_lshl_add_u64 v[34:35], v[22:23], 2, s[6:7]
	v_lshl_add_u64 v[46:47], v[6:7], 4, s[8:9]
	;; [unrolled: 1-line block ×4, first 2 shown]
	global_load_dword v5, v[34:35], off
	global_load_dwordx4 v[30:33], v[46:47], off offset:16
	global_load_dwordx4 v[38:41], v[46:47], off
	global_load_dwordx4 v[42:45], v[48:49], off
	;; [unrolled: 1-line block ×3, first 2 shown]
	v_mov_b32_e32 v29, v7
	v_add_u32_e32 v22, 64, v22
	v_cmp_ge_i32_e32 vcc, v22, v36
	s_or_b64 s[0:1], vcc, s[0:1]
	s_waitcnt vmcnt(4)
	v_subrev_u32_e32 v5, s16, v5
	v_mul_lo_u32 v28, v5, 11
	v_lshl_add_u64 v[34:35], v[28:29], 4, s[10:11]
	global_load_dwordx4 v[46:49], v[34:35], off
	v_add_u32_e32 v6, 1, v28
	v_lshl_add_u64 v[34:35], v[6:7], 4, s[10:11]
	global_load_dwordx4 v[50:53], v[34:35], off
	v_add_u32_e32 v6, -9, v4
	v_lshl_add_u64 v[34:35], v[6:7], 4, s[8:9]
	v_subrev_u32_e32 v6, 19, v4
	global_load_dwordx4 v[54:57], v[34:35], off
	v_lshl_add_u64 v[34:35], v[6:7], 4, s[8:9]
	v_add_u32_e32 v6, 2, v28
	global_load_dwordx4 v[58:61], v[34:35], off
	v_lshl_add_u64 v[34:35], v[6:7], 4, s[10:11]
	v_add_u32_e32 v6, -8, v4
	global_load_dwordx4 v[62:65], v[34:35], off
	v_lshl_add_u64 v[34:35], v[6:7], 4, s[8:9]
	global_load_dwordx4 v[66:69], v[34:35], off
	v_subrev_u32_e32 v6, 18, v4
	v_lshl_add_u64 v[34:35], v[6:7], 4, s[8:9]
	v_add_u32_e32 v6, 3, v28
	global_load_dwordx4 v[70:73], v[34:35], off
	v_lshl_add_u64 v[34:35], v[6:7], 4, s[10:11]
	v_add_u32_e32 v6, -7, v4
	global_load_dwordx4 v[74:77], v[34:35], off
	v_lshl_add_u64 v[34:35], v[6:7], 4, s[8:9]
	v_subrev_u32_e32 v6, 17, v4
	s_waitcnt vmcnt(7)
	v_fmac_f64_e32 v[26:27], v[38:39], v[46:47]
	v_fmac_f64_e32 v[20:21], v[40:41], v[46:47]
	v_fma_f64 v[78:79], -v[40:41], v[48:49], v[26:27]
	v_lshl_add_u64 v[26:27], v[6:7], 4, s[8:9]
	v_add_u32_e32 v6, 4, v28
	v_fmac_f64_e32 v[18:19], v[44:45], v[46:47]
	v_fmac_f64_e32 v[20:21], v[38:39], v[48:49]
	global_load_dwordx4 v[38:41], v[34:35], off
	v_fmac_f64_e32 v[24:25], v[42:43], v[46:47]
	v_fmac_f64_e32 v[18:19], v[42:43], v[48:49]
	v_lshl_add_u64 v[42:43], v[6:7], 4, s[10:11]
	v_add_u32_e32 v6, -6, v4
	v_lshl_add_u64 v[46:47], v[6:7], 4, s[8:9]
	s_waitcnt vmcnt(7)
	v_fmac_f64_e32 v[78:79], v[30:31], v[50:51]
	v_fmac_f64_e32 v[20:21], v[32:33], v[50:51]
	v_add_u32_e32 v6, -16, v4
	v_fma_f64 v[78:79], -v[32:33], v[52:53], v[78:79]
	v_fmac_f64_e32 v[20:21], v[30:31], v[52:53]
	global_load_dwordx4 v[30:33], v[46:47], off
	v_fma_f64 v[34:35], -v[44:45], v[48:49], v[24:25]
	global_load_dwordx4 v[24:27], v[26:27], off
	v_lshl_add_u64 v[46:47], v[6:7], 4, s[8:9]
	global_load_dwordx4 v[42:45], v[42:43], off
	v_add_u32_e32 v6, 5, v28
	s_waitcnt vmcnt(9)
	v_fmac_f64_e32 v[34:35], v[54:55], v[50:51]
	v_fmac_f64_e32 v[18:19], v[56:57], v[50:51]
	v_lshl_add_u64 v[50:51], v[6:7], 4, s[10:11]
	v_add_u32_e32 v6, -5, v4
	v_fmac_f64_e32 v[18:19], v[54:55], v[52:53]
	v_lshl_add_u64 v[54:55], v[6:7], 4, s[8:9]
	v_fma_f64 v[34:35], -v[56:57], v[52:53], v[34:35]
	global_load_dwordx4 v[46:49], v[46:47], off
	v_add_u32_e32 v6, -15, v4
	global_load_dwordx4 v[50:53], v[50:51], off
	s_waitcnt vmcnt(9)
	v_fmac_f64_e32 v[20:21], v[60:61], v[62:63]
	global_load_dwordx4 v[54:57], v[54:55], off
	v_fmac_f64_e32 v[78:79], v[58:59], v[62:63]
	v_fmac_f64_e32 v[20:21], v[58:59], v[64:65]
	v_lshl_add_u64 v[58:59], v[6:7], 4, s[8:9]
	v_add_u32_e32 v6, 6, v28
	s_waitcnt vmcnt(9)
	v_fmac_f64_e32 v[34:35], v[66:67], v[62:63]
	v_fmac_f64_e32 v[18:19], v[68:69], v[62:63]
	v_lshl_add_u64 v[62:63], v[6:7], 4, s[10:11]
	v_add_u32_e32 v6, -4, v4
	v_fma_f64 v[78:79], -v[60:61], v[64:65], v[78:79]
	global_load_dwordx4 v[58:61], v[58:59], off
	v_fma_f64 v[34:35], -v[68:69], v[64:65], v[34:35]
	v_fmac_f64_e32 v[18:19], v[66:67], v[64:65]
	global_load_dwordx4 v[62:65], v[62:63], off
	v_lshl_add_u64 v[66:67], v[6:7], 4, s[8:9]
	global_load_dwordx4 v[66:69], v[66:67], off
	v_add_u32_e32 v6, -14, v4
	s_waitcnt vmcnt(10)
	v_fmac_f64_e32 v[20:21], v[72:73], v[74:75]
	v_fmac_f64_e32 v[78:79], v[70:71], v[74:75]
	;; [unrolled: 1-line block ×3, first 2 shown]
	v_lshl_add_u64 v[70:71], v[6:7], 4, s[8:9]
	v_add_u32_e32 v6, 7, v28
	v_fma_f64 v[78:79], -v[72:73], v[76:77], v[78:79]
	s_waitcnt vmcnt(9)
	v_fmac_f64_e32 v[34:35], v[38:39], v[74:75]
	v_fmac_f64_e32 v[18:19], v[40:41], v[74:75]
	v_fma_f64 v[34:35], -v[40:41], v[76:77], v[34:35]
	v_fmac_f64_e32 v[18:19], v[38:39], v[76:77]
	global_load_dwordx4 v[38:41], v[70:71], off
	v_lshl_add_u64 v[70:71], v[6:7], 4, s[10:11]
	v_add_u32_e32 v6, -3, v4
	v_lshl_add_u64 v[74:75], v[6:7], 4, s[8:9]
	v_add_u32_e32 v6, -13, v4
	global_load_dwordx4 v[70:73], v[70:71], off
	s_waitcnt vmcnt(8)
	v_fmac_f64_e32 v[78:79], v[24:25], v[42:43]
	v_fma_f64 v[76:77], -v[26:27], v[44:45], v[78:79]
	v_lshl_add_u64 v[78:79], v[6:7], 4, s[8:9]
	v_add_u32_e32 v6, 8, v28
	v_fmac_f64_e32 v[20:21], v[26:27], v[42:43]
	v_fmac_f64_e32 v[34:35], v[30:31], v[42:43]
	;; [unrolled: 1-line block ×3, first 2 shown]
	v_lshl_add_u64 v[42:43], v[6:7], 4, s[10:11]
	v_add_u32_e32 v6, -2, v4
	v_fmac_f64_e32 v[20:21], v[24:25], v[44:45]
	global_load_dwordx4 v[24:27], v[74:75], off
	v_fma_f64 v[34:35], -v[32:33], v[44:45], v[34:35]
	v_fmac_f64_e32 v[18:19], v[30:31], v[44:45]
	global_load_dwordx4 v[30:33], v[78:79], off
	v_lshl_add_u64 v[74:75], v[6:7], 4, s[8:9]
	v_add_u32_e32 v6, -12, v4
	s_waitcnt vmcnt(8)
	v_fmac_f64_e32 v[76:77], v[46:47], v[50:51]
	v_fmac_f64_e32 v[20:21], v[48:49], v[50:51]
	v_lshl_add_u64 v[78:79], v[6:7], 4, s[8:9]
	v_add_u32_e32 v6, 9, v28
	s_waitcnt vmcnt(7)
	v_fmac_f64_e32 v[18:19], v[56:57], v[50:51]
	global_load_dwordx4 v[42:45], v[42:43], off
	v_fma_f64 v[76:77], -v[48:49], v[52:53], v[76:77]
	v_fmac_f64_e32 v[20:21], v[46:47], v[52:53]
	global_load_dwordx4 v[46:49], v[74:75], off
	v_fmac_f64_e32 v[34:35], v[54:55], v[50:51]
	v_fmac_f64_e32 v[18:19], v[54:55], v[52:53]
	v_lshl_add_u64 v[54:55], v[6:7], 4, s[10:11]
	v_add_u32_e32 v6, -1, v4
	v_fma_f64 v[34:35], -v[56:57], v[52:53], v[34:35]
	global_load_dwordx4 v[50:53], v[78:79], off
	v_lshl_add_u64 v[78:79], v[6:7], 4, s[8:9]
	v_add_u32_e32 v6, -11, v4
	v_lshl_add_u64 v[80:81], v[6:7], 4, s[8:9]
	v_add_u32_e32 v6, 10, v28
	global_load_dwordx4 v[54:57], v[54:55], off
	s_waitcnt vmcnt(9)
	v_fmac_f64_e32 v[76:77], v[58:59], v[62:63]
	v_fmac_f64_e32 v[20:21], v[60:61], v[62:63]
	v_fma_f64 v[28:29], -v[60:61], v[64:65], v[76:77]
	v_fmac_f64_e32 v[20:21], v[58:59], v[64:65]
	global_load_dwordx4 v[58:61], v[78:79], off
	global_load_dwordx4 v[74:77], v[80:81], off
	s_waitcnt vmcnt(10)
	v_fmac_f64_e32 v[34:35], v[66:67], v[62:63]
	v_fmac_f64_e32 v[18:19], v[68:69], v[62:63]
	v_lshl_add_u64 v[62:63], v[6:7], 4, s[10:11]
	v_fma_f64 v[34:35], -v[68:69], v[64:65], v[34:35]
	v_fmac_f64_e32 v[18:19], v[66:67], v[64:65]
	global_load_dwordx4 v[62:65], v[62:63], off
	v_add_u32_e32 v4, 0x580, v4
	s_waitcnt vmcnt(9)
	v_fmac_f64_e32 v[28:29], v[38:39], v[70:71]
	v_fmac_f64_e32 v[20:21], v[40:41], v[70:71]
	v_fma_f64 v[28:29], -v[40:41], v[72:73], v[28:29]
	v_fmac_f64_e32 v[20:21], v[38:39], v[72:73]
	s_waitcnt vmcnt(8)
	v_fmac_f64_e32 v[34:35], v[24:25], v[70:71]
	v_fmac_f64_e32 v[18:19], v[26:27], v[70:71]
	v_fma_f64 v[26:27], -v[26:27], v[72:73], v[34:35]
	v_fmac_f64_e32 v[18:19], v[24:25], v[72:73]
	s_waitcnt vmcnt(6)
	v_fmac_f64_e32 v[28:29], v[30:31], v[42:43]
	v_fmac_f64_e32 v[20:21], v[32:33], v[42:43]
	v_fma_f64 v[24:25], -v[32:33], v[44:45], v[28:29]
	s_waitcnt vmcnt(5)
	v_fmac_f64_e32 v[26:27], v[46:47], v[42:43]
	v_fmac_f64_e32 v[18:19], v[48:49], v[42:43]
	;; [unrolled: 1-line block ×3, first 2 shown]
	v_fma_f64 v[26:27], -v[48:49], v[44:45], v[26:27]
	v_fmac_f64_e32 v[18:19], v[46:47], v[44:45]
	s_waitcnt vmcnt(3)
	v_fmac_f64_e32 v[24:25], v[50:51], v[54:55]
	v_fmac_f64_e32 v[20:21], v[52:53], v[54:55]
	v_fma_f64 v[24:25], -v[52:53], v[56:57], v[24:25]
	v_fmac_f64_e32 v[20:21], v[50:51], v[56:57]
	s_waitcnt vmcnt(2)
	v_fmac_f64_e32 v[26:27], v[58:59], v[54:55]
	v_fmac_f64_e32 v[18:19], v[60:61], v[54:55]
	;; [unrolled: 5-line block ×3, first 2 shown]
	v_fmac_f64_e32 v[28:29], v[0:1], v[62:63]
	v_fmac_f64_e32 v[18:19], v[2:3], v[62:63]
	v_fma_f64 v[26:27], -v[76:77], v[64:65], v[24:25]
	v_fmac_f64_e32 v[20:21], v[74:75], v[64:65]
	v_fma_f64 v[24:25], -v[2:3], v[64:65], v[28:29]
	v_fmac_f64_e32 v[18:19], v[0:1], v[64:65]
	s_andn2_b64 exec, exec, s[0:1]
	s_cbranch_execnz .LBB277_17
; %bb.18:
	s_or_b64 exec, exec, s[0:1]
.LBB277_19:
	s_or_b64 exec, exec, s[4:5]
.LBB277_20:
	v_mov_b32_dpp v4, v20 row_shr:1 row_mask:0xf bank_mask:0xf
	v_mov_b32_dpp v5, v21 row_shr:1 row_mask:0xf bank_mask:0xf
	v_add_f64 v[4:5], v[20:21], v[4:5]
	v_mov_b32_dpp v0, v26 row_shr:1 row_mask:0xf bank_mask:0xf
	v_mov_b32_dpp v1, v27 row_shr:1 row_mask:0xf bank_mask:0xf
	;; [unrolled: 1-line block ×4, first 2 shown]
	v_add_f64 v[4:5], v[4:5], v[6:7]
	v_add_f64 v[0:1], v[26:27], v[0:1]
	v_cmp_eq_u32_e32 vcc, 63, v17
	v_mov_b32_dpp v6, v4 row_shr:4 row_mask:0xf bank_mask:0xe
	v_mov_b32_dpp v7, v5 row_shr:4 row_mask:0xf bank_mask:0xe
	v_add_f64 v[4:5], v[4:5], v[6:7]
	v_mov_b32_dpp v2, v0 row_shr:2 row_mask:0xf bank_mask:0xf
	v_mov_b32_dpp v3, v1 row_shr:2 row_mask:0xf bank_mask:0xf
	;; [unrolled: 1-line block ×4, first 2 shown]
	v_add_f64 v[4:5], v[4:5], v[6:7]
	v_add_f64 v[0:1], v[0:1], v[2:3]
	s_nop 0
	v_mov_b32_dpp v6, v4 row_bcast:15 row_mask:0xa bank_mask:0xf
	v_mov_b32_dpp v7, v5 row_bcast:15 row_mask:0xa bank_mask:0xf
	v_add_f64 v[6:7], v[4:5], v[6:7]
	v_mov_b32_dpp v4, v24 row_shr:1 row_mask:0xf bank_mask:0xf
	v_mov_b32_dpp v5, v25 row_shr:1 row_mask:0xf bank_mask:0xf
	v_add_f64 v[4:5], v[24:25], v[4:5]
	v_mov_b32_dpp v2, v0 row_shr:4 row_mask:0xf bank_mask:0xe
	v_mov_b32_dpp v3, v1 row_shr:4 row_mask:0xf bank_mask:0xe
	;; [unrolled: 1-line block ×4, first 2 shown]
	v_add_f64 v[4:5], v[4:5], v[22:23]
	v_add_f64 v[0:1], v[0:1], v[2:3]
	v_mov_b32_dpp v20, v6 row_bcast:31 row_mask:0xc bank_mask:0xf
	v_mov_b32_dpp v22, v4 row_shr:4 row_mask:0xf bank_mask:0xe
	v_mov_b32_dpp v23, v5 row_shr:4 row_mask:0xf bank_mask:0xe
	v_add_f64 v[4:5], v[4:5], v[22:23]
	v_mov_b32_dpp v2, v0 row_shr:8 row_mask:0xf bank_mask:0xc
	v_mov_b32_dpp v3, v1 row_shr:8 row_mask:0xf bank_mask:0xc
	;; [unrolled: 1-line block ×4, first 2 shown]
	v_add_f64 v[4:5], v[4:5], v[22:23]
	v_add_f64 v[0:1], v[0:1], v[2:3]
	v_mov_b32_dpp v21, v7 row_bcast:31 row_mask:0xc bank_mask:0xf
	v_mov_b32_dpp v22, v4 row_bcast:15 row_mask:0xa bank_mask:0xf
	;; [unrolled: 1-line block ×3, first 2 shown]
	v_add_f64 v[22:23], v[4:5], v[22:23]
	v_mov_b32_dpp v4, v18 row_shr:1 row_mask:0xf bank_mask:0xf
	v_mov_b32_dpp v5, v19 row_shr:1 row_mask:0xf bank_mask:0xf
	v_add_f64 v[4:5], v[18:19], v[4:5]
	v_mov_b32_dpp v2, v0 row_bcast:15 row_mask:0xa bank_mask:0xf
	v_mov_b32_dpp v3, v1 row_bcast:15 row_mask:0xa bank_mask:0xf
	v_mov_b32_dpp v18, v4 row_shr:2 row_mask:0xf bank_mask:0xf
	v_mov_b32_dpp v19, v5 row_shr:2 row_mask:0xf bank_mask:0xf
	v_add_f64 v[4:5], v[4:5], v[18:19]
	v_add_f64 v[0:1], v[0:1], v[2:3]
	v_mov_b32_dpp v24, v22 row_bcast:31 row_mask:0xc bank_mask:0xf
	v_mov_b32_dpp v18, v4 row_shr:4 row_mask:0xf bank_mask:0xe
	v_mov_b32_dpp v19, v5 row_shr:4 row_mask:0xf bank_mask:0xe
	v_add_f64 v[4:5], v[4:5], v[18:19]
	v_mov_b32_dpp v2, v0 row_bcast:31 row_mask:0xc bank_mask:0xf
	v_mov_b32_dpp v3, v1 row_bcast:31 row_mask:0xc bank_mask:0xf
	v_mov_b32_dpp v18, v4 row_shr:8 row_mask:0xf bank_mask:0xc
	v_mov_b32_dpp v19, v5 row_shr:8 row_mask:0xf bank_mask:0xc
	v_add_f64 v[4:5], v[4:5], v[18:19]
	v_mov_b32_dpp v25, v23 row_bcast:31 row_mask:0xc bank_mask:0xf
	s_nop 0
	v_mov_b32_dpp v18, v4 row_bcast:15 row_mask:0xa bank_mask:0xf
	v_mov_b32_dpp v19, v5 row_bcast:15 row_mask:0xa bank_mask:0xf
	v_add_f64 v[18:19], v[4:5], v[18:19]
	s_nop 1
	v_mov_b32_dpp v26, v18 row_bcast:31 row_mask:0xc bank_mask:0xf
	v_mov_b32_dpp v27, v19 row_bcast:31 row_mask:0xc bank_mask:0xf
	s_and_b64 exec, exec, vcc
	s_cbranch_execz .LBB277_25
; %bb.21:
	s_load_dwordx2 s[2:3], s[2:3], 0x48
	v_cmp_eq_f64_e32 vcc, 0, v[12:13]
	v_cmp_eq_f64_e64 s[0:1], 0, v[14:15]
	v_add_f64 v[4:5], v[0:1], v[2:3]
	v_add_f64 v[6:7], v[6:7], v[20:21]
	;; [unrolled: 1-line block ×4, first 2 shown]
	s_and_b64 s[0:1], vcc, s[0:1]
	s_and_saveexec_b64 s[4:5], s[0:1]
	s_xor_b64 s[0:1], exec, s[4:5]
	s_cbranch_execz .LBB277_23
; %bb.22:
	v_mul_f64 v[12:13], v[6:7], -v[10:11]
	v_mul_f64 v[14:15], v[8:9], v[6:7]
	v_fmac_f64_e32 v[12:13], v[8:9], v[4:5]
	v_fmac_f64_e32 v[14:15], v[10:11], v[4:5]
	v_lshlrev_b32_e32 v4, 1, v16
	v_ashrrev_i32_e32 v5, 31, v4
	s_waitcnt lgkmcnt(0)
	v_lshl_add_u64 v[16:17], v[4:5], 4, s[2:3]
	v_mul_f64 v[4:5], v[2:3], -v[10:11]
	v_mul_f64 v[6:7], v[8:9], v[2:3]
	v_fmac_f64_e32 v[4:5], v[8:9], v[0:1]
	v_fmac_f64_e32 v[6:7], v[10:11], v[0:1]
	global_store_dwordx4 v[16:17], v[12:15], off
	global_store_dwordx4 v[16:17], v[4:7], off offset:16
                                        ; implicit-def: $vgpr8_vgpr9
                                        ; implicit-def: $vgpr10_vgpr11
                                        ; implicit-def: $vgpr12_vgpr13
                                        ; implicit-def: $vgpr14_vgpr15
                                        ; implicit-def: $vgpr16
                                        ; implicit-def: $vgpr4_vgpr5
                                        ; implicit-def: $vgpr6_vgpr7
                                        ; implicit-def: $vgpr0_vgpr1
                                        ; implicit-def: $vgpr2_vgpr3
.LBB277_23:
	s_andn2_saveexec_b64 s[0:1], s[0:1]
	s_cbranch_execz .LBB277_25
; %bb.24:
	v_lshlrev_b32_e32 v16, 1, v16
	v_ashrrev_i32_e32 v17, 31, v16
	s_waitcnt lgkmcnt(0)
	v_lshl_add_u64 v[24:25], v[16:17], 4, s[2:3]
	global_load_dwordx4 v[16:19], v[24:25], off
	global_load_dwordx4 v[20:23], v[24:25], off offset:16
	v_mul_f64 v[26:27], v[6:7], -v[10:11]
	v_mul_f64 v[6:7], v[8:9], v[6:7]
	v_mul_f64 v[28:29], v[2:3], -v[10:11]
	v_mul_f64 v[2:3], v[8:9], v[2:3]
	v_fmac_f64_e32 v[26:27], v[8:9], v[4:5]
	v_fmac_f64_e32 v[6:7], v[10:11], v[4:5]
	;; [unrolled: 1-line block ×4, first 2 shown]
	s_waitcnt vmcnt(1)
	v_fmac_f64_e32 v[26:27], v[12:13], v[16:17]
	v_fmac_f64_e32 v[6:7], v[14:15], v[16:17]
	s_waitcnt vmcnt(0)
	v_fmac_f64_e32 v[28:29], v[12:13], v[20:21]
	v_fmac_f64_e32 v[2:3], v[14:15], v[20:21]
	v_fma_f64 v[4:5], -v[14:15], v[18:19], v[26:27]
	v_fmac_f64_e32 v[6:7], v[12:13], v[18:19]
	v_fma_f64 v[0:1], -v[14:15], v[22:23], v[28:29]
	v_fmac_f64_e32 v[2:3], v[12:13], v[22:23]
	global_store_dwordx4 v[24:25], v[4:7], off
	global_store_dwordx4 v[24:25], v[0:3], off offset:16
.LBB277_25:
	s_endpgm
	.section	.rodata,"a",@progbits
	.p2align	6, 0x0
	.amdhsa_kernel _ZN9rocsparseL19gebsrmvn_2xn_kernelILj128ELj11ELj64E21rocsparse_complex_numIdEEEvi20rocsparse_direction_NS_24const_host_device_scalarIT2_EEPKiS8_PKS5_SA_S6_PS5_21rocsparse_index_base_b
		.amdhsa_group_segment_fixed_size 2048
		.amdhsa_private_segment_fixed_size 0
		.amdhsa_kernarg_size 88
		.amdhsa_user_sgpr_count 4
		.amdhsa_user_sgpr_dispatch_ptr 1
		.amdhsa_user_sgpr_queue_ptr 0
		.amdhsa_user_sgpr_kernarg_segment_ptr 1
		.amdhsa_user_sgpr_dispatch_id 0
		.amdhsa_user_sgpr_kernarg_preload_length 0
		.amdhsa_user_sgpr_kernarg_preload_offset 0
		.amdhsa_user_sgpr_private_segment_size 0
		.amdhsa_uses_dynamic_stack 0
		.amdhsa_enable_private_segment 0
		.amdhsa_system_sgpr_workgroup_id_x 1
		.amdhsa_system_sgpr_workgroup_id_y 0
		.amdhsa_system_sgpr_workgroup_id_z 0
		.amdhsa_system_sgpr_workgroup_info 0
		.amdhsa_system_vgpr_workitem_id 2
		.amdhsa_next_free_vgpr 92
		.amdhsa_next_free_sgpr 20
		.amdhsa_accum_offset 92
		.amdhsa_reserve_vcc 1
		.amdhsa_float_round_mode_32 0
		.amdhsa_float_round_mode_16_64 0
		.amdhsa_float_denorm_mode_32 3
		.amdhsa_float_denorm_mode_16_64 3
		.amdhsa_dx10_clamp 1
		.amdhsa_ieee_mode 1
		.amdhsa_fp16_overflow 0
		.amdhsa_tg_split 0
		.amdhsa_exception_fp_ieee_invalid_op 0
		.amdhsa_exception_fp_denorm_src 0
		.amdhsa_exception_fp_ieee_div_zero 0
		.amdhsa_exception_fp_ieee_overflow 0
		.amdhsa_exception_fp_ieee_underflow 0
		.amdhsa_exception_fp_ieee_inexact 0
		.amdhsa_exception_int_div_zero 0
	.end_amdhsa_kernel
	.section	.text._ZN9rocsparseL19gebsrmvn_2xn_kernelILj128ELj11ELj64E21rocsparse_complex_numIdEEEvi20rocsparse_direction_NS_24const_host_device_scalarIT2_EEPKiS8_PKS5_SA_S6_PS5_21rocsparse_index_base_b,"axG",@progbits,_ZN9rocsparseL19gebsrmvn_2xn_kernelILj128ELj11ELj64E21rocsparse_complex_numIdEEEvi20rocsparse_direction_NS_24const_host_device_scalarIT2_EEPKiS8_PKS5_SA_S6_PS5_21rocsparse_index_base_b,comdat
.Lfunc_end277:
	.size	_ZN9rocsparseL19gebsrmvn_2xn_kernelILj128ELj11ELj64E21rocsparse_complex_numIdEEEvi20rocsparse_direction_NS_24const_host_device_scalarIT2_EEPKiS8_PKS5_SA_S6_PS5_21rocsparse_index_base_b, .Lfunc_end277-_ZN9rocsparseL19gebsrmvn_2xn_kernelILj128ELj11ELj64E21rocsparse_complex_numIdEEEvi20rocsparse_direction_NS_24const_host_device_scalarIT2_EEPKiS8_PKS5_SA_S6_PS5_21rocsparse_index_base_b
                                        ; -- End function
	.section	.AMDGPU.csdata,"",@progbits
; Kernel info:
; codeLenInByte = 3736
; NumSgprs: 26
; NumVgprs: 92
; NumAgprs: 0
; TotalNumVgprs: 92
; ScratchSize: 0
; MemoryBound: 0
; FloatMode: 240
; IeeeMode: 1
; LDSByteSize: 2048 bytes/workgroup (compile time only)
; SGPRBlocks: 3
; VGPRBlocks: 11
; NumSGPRsForWavesPerEU: 26
; NumVGPRsForWavesPerEU: 92
; AccumOffset: 92
; Occupancy: 5
; WaveLimiterHint : 1
; COMPUTE_PGM_RSRC2:SCRATCH_EN: 0
; COMPUTE_PGM_RSRC2:USER_SGPR: 4
; COMPUTE_PGM_RSRC2:TRAP_HANDLER: 0
; COMPUTE_PGM_RSRC2:TGID_X_EN: 1
; COMPUTE_PGM_RSRC2:TGID_Y_EN: 0
; COMPUTE_PGM_RSRC2:TGID_Z_EN: 0
; COMPUTE_PGM_RSRC2:TIDIG_COMP_CNT: 2
; COMPUTE_PGM_RSRC3_GFX90A:ACCUM_OFFSET: 22
; COMPUTE_PGM_RSRC3_GFX90A:TG_SPLIT: 0
	.section	.text._ZN9rocsparseL19gebsrmvn_2xn_kernelILj128ELj12ELj4E21rocsparse_complex_numIdEEEvi20rocsparse_direction_NS_24const_host_device_scalarIT2_EEPKiS8_PKS5_SA_S6_PS5_21rocsparse_index_base_b,"axG",@progbits,_ZN9rocsparseL19gebsrmvn_2xn_kernelILj128ELj12ELj4E21rocsparse_complex_numIdEEEvi20rocsparse_direction_NS_24const_host_device_scalarIT2_EEPKiS8_PKS5_SA_S6_PS5_21rocsparse_index_base_b,comdat
	.globl	_ZN9rocsparseL19gebsrmvn_2xn_kernelILj128ELj12ELj4E21rocsparse_complex_numIdEEEvi20rocsparse_direction_NS_24const_host_device_scalarIT2_EEPKiS8_PKS5_SA_S6_PS5_21rocsparse_index_base_b ; -- Begin function _ZN9rocsparseL19gebsrmvn_2xn_kernelILj128ELj12ELj4E21rocsparse_complex_numIdEEEvi20rocsparse_direction_NS_24const_host_device_scalarIT2_EEPKiS8_PKS5_SA_S6_PS5_21rocsparse_index_base_b
	.p2align	8
	.type	_ZN9rocsparseL19gebsrmvn_2xn_kernelILj128ELj12ELj4E21rocsparse_complex_numIdEEEvi20rocsparse_direction_NS_24const_host_device_scalarIT2_EEPKiS8_PKS5_SA_S6_PS5_21rocsparse_index_base_b,@function
_ZN9rocsparseL19gebsrmvn_2xn_kernelILj128ELj12ELj4E21rocsparse_complex_numIdEEEvi20rocsparse_direction_NS_24const_host_device_scalarIT2_EEPKiS8_PKS5_SA_S6_PS5_21rocsparse_index_base_b: ; @_ZN9rocsparseL19gebsrmvn_2xn_kernelILj128ELj12ELj4E21rocsparse_complex_numIdEEEvi20rocsparse_direction_NS_24const_host_device_scalarIT2_EEPKiS8_PKS5_SA_S6_PS5_21rocsparse_index_base_b
; %bb.0:
	s_load_dwordx2 s[16:17], s[2:3], 0x50
	s_load_dwordx4 s[12:15], s[2:3], 0x8
	s_load_dwordx4 s[8:11], s[2:3], 0x38
	s_load_dwordx2 s[18:19], s[0:1], 0x4
	s_mov_b64 s[6:7], src_shared_base
	s_waitcnt lgkmcnt(0)
	s_bitcmp1_b32 s17, 0
	s_cselect_b64 s[0:1], -1, 0
	s_and_b64 vcc, s[0:1], exec
	s_cselect_b32 s5, s7, s13
	s_lshr_b32 s6, s18, 16
	v_bfe_u32 v2, v0, 10, 10
	v_and_b32_e32 v1, 0x3ff, v0
	s_mul_i32 s6, s6, s19
	v_mul_u32_u24_e32 v2, s19, v2
	v_mad_u32_u24 v2, s6, v1, v2
	v_bfe_u32 v0, v0, 20, 10
	v_add_lshl_u32 v0, v2, v0, 3
	v_mov_b32_e32 v6, s12
	v_add_u32_e32 v7, 0x400, v0
	v_mov_b64_e32 v[2:3], s[12:13]
	v_mov_b64_e32 v[4:5], s[8:9]
	ds_write2st64_b64 v0, v[4:5], v[2:3] offset1:2
	v_cndmask_b32_e64 v2, v6, v7, s[0:1]
	v_mov_b32_e32 v3, s5
	flat_load_dwordx2 v[4:5], v[2:3]
	s_xor_b64 s[18:19], s[0:1], -1
	v_mov_b64_e32 v[6:7], s[14:15]
	s_cbranch_vccnz .LBB278_2
; %bb.1:
	v_mov_b64_e32 v[2:3], s[12:13]
	flat_load_dwordx2 v[6:7], v[2:3] offset:8
.LBB278_2:
	s_and_b64 s[12:13], s[0:1], exec
	s_cselect_b32 s5, s7, s9
	v_mov_b32_e32 v2, s8
	v_cndmask_b32_e64 v2, v2, v0, s[0:1]
	v_mov_b32_e32 v3, s5
	flat_load_dwordx2 v[8:9], v[2:3]
	s_andn2_b64 vcc, exec, s[18:19]
	v_mov_b64_e32 v[10:11], s[10:11]
	s_cbranch_vccnz .LBB278_4
; %bb.3:
	v_mov_b64_e32 v[2:3], s[8:9]
	flat_load_dwordx2 v[10:11], v[2:3] offset:8
.LBB278_4:
	s_waitcnt vmcnt(0) lgkmcnt(0)
	v_cmp_eq_f64_e32 vcc, 0, v[4:5]
	v_cmp_eq_f64_e64 s[0:1], 0, v[6:7]
	s_and_b64 s[8:9], vcc, s[0:1]
	s_mov_b64 s[0:1], -1
	s_and_saveexec_b64 s[6:7], s[8:9]
; %bb.5:
	v_cmp_neq_f64_e32 vcc, 1.0, v[8:9]
	v_cmp_neq_f64_e64 s[0:1], 0, v[10:11]
	s_or_b64 s[0:1], vcc, s[0:1]
	s_orn2_b64 s[0:1], s[0:1], exec
; %bb.6:
	s_or_b64 exec, exec, s[6:7]
	s_and_saveexec_b64 s[6:7], s[0:1]
	s_cbranch_execz .LBB278_25
; %bb.7:
	s_load_dwordx2 s[0:1], s[2:3], 0x0
	v_lshrrev_b32_e32 v0, 2, v1
	v_lshl_or_b32 v12, s4, 5, v0
	s_waitcnt lgkmcnt(0)
	v_cmp_gt_i32_e32 vcc, s0, v12
	s_and_b64 exec, exec, vcc
	s_cbranch_execz .LBB278_25
; %bb.8:
	s_load_dwordx8 s[4:11], s[2:3], 0x18
	v_ashrrev_i32_e32 v13, 31, v12
	s_cmp_lg_u32 s1, 0
	s_waitcnt lgkmcnt(0)
	v_lshl_add_u64 v[2:3], v[12:13], 2, s[4:5]
	global_load_dwordx2 v[2:3], v[2:3], off
	v_and_b32_e32 v13, 3, v1
	s_waitcnt vmcnt(0)
	v_subrev_u32_e32 v0, s16, v2
	v_subrev_u32_e32 v32, s16, v3
	v_add_u32_e32 v18, v0, v13
	v_cmp_lt_i32_e64 s[0:1], v18, v32
	s_cbranch_scc0 .LBB278_14
; %bb.9:
	v_mov_b64_e32 v[14:15], 0
	s_mov_b64 s[4:5], 0
	v_mov_b64_e32 v[22:23], v[14:15]
	v_mov_b64_e32 v[20:21], v[14:15]
	;; [unrolled: 1-line block ×3, first 2 shown]
	s_and_saveexec_b64 s[12:13], s[0:1]
	s_cbranch_execz .LBB278_13
; %bb.10:
	v_mad_u64_u32 v[24:25], s[14:15], v18, 24, 22
	v_mov_b64_e32 v[14:15], 0
	s_mov_b64 s[14:15], 0
	v_mov_b32_e32 v27, 0
	v_mov_b32_e32 v28, v18
	v_mov_b64_e32 v[22:23], v[14:15]
	v_mov_b64_e32 v[20:21], v[14:15]
	;; [unrolled: 1-line block ×3, first 2 shown]
.LBB278_11:                             ; =>This Inner Loop Header: Depth=1
	v_ashrrev_i32_e32 v29, 31, v28
	v_subrev_u32_e32 v26, 22, v24
	v_lshl_add_u64 v[0:1], v[28:29], 2, s[6:7]
	v_lshl_add_u64 v[2:3], v[26:27], 4, s[8:9]
	global_load_dword v19, v[0:1], off
	global_load_dwordx4 v[34:37], v[2:3], off offset:48
	global_load_dwordx4 v[38:41], v[2:3], off offset:32
	;; [unrolled: 1-line block ×3, first 2 shown]
	global_load_dwordx4 v[46:49], v[2:3], off
	global_load_dwordx4 v[50:53], v[2:3], off offset:112
	global_load_dwordx4 v[54:57], v[2:3], off offset:96
	;; [unrolled: 1-line block ×4, first 2 shown]
	v_mov_b32_e32 v31, v27
	v_mov_b32_e32 v25, v27
	v_add_u32_e32 v26, -14, v24
	v_lshl_add_u64 v[78:79], v[24:25], 4, s[8:9]
	v_lshl_add_u64 v[80:81], v[26:27], 4, s[8:9]
	global_load_dwordx4 v[0:3], v[78:79], off
	global_load_dwordx4 v[66:69], v[78:79], off offset:16
	global_load_dwordx4 v[70:73], v[80:81], off offset:16
	global_load_dwordx4 v[74:77], v[80:81], off
	v_add_u32_e32 v28, 4, v28
	v_cmp_ge_i32_e32 vcc, v28, v32
	s_or_b64 s[14:15], vcc, s[14:15]
	s_waitcnt vmcnt(12)
	v_subrev_u32_e32 v19, s16, v19
	v_mul_lo_u32 v30, v19, 12
	v_lshl_add_u64 v[86:87], v[30:31], 4, s[10:11]
	global_load_dwordx4 v[78:81], v[86:87], off
	global_load_dwordx4 v[82:85], v[86:87], off offset:16
	v_add_u32_e32 v26, 4, v30
	s_waitcnt vmcnt(1)
	v_fmac_f64_e32 v[22:23], v[46:47], v[78:79]
	v_fmac_f64_e32 v[14:15], v[48:49], v[78:79]
	v_fma_f64 v[88:89], -v[48:49], v[80:81], v[22:23]
	v_fmac_f64_e32 v[14:15], v[46:47], v[80:81]
	global_load_dwordx4 v[46:49], v[86:87], off offset:32
	v_fmac_f64_e32 v[20:21], v[42:43], v[78:79]
	v_fmac_f64_e32 v[16:17], v[44:45], v[78:79]
	v_fma_f64 v[78:79], -v[44:45], v[80:81], v[20:21]
	global_load_dwordx4 v[20:23], v[86:87], off offset:48
	v_fmac_f64_e32 v[16:17], v[42:43], v[80:81]
	v_lshl_add_u64 v[86:87], v[26:27], 4, s[10:11]
	s_waitcnt vmcnt(2)
	v_fmac_f64_e32 v[88:89], v[38:39], v[82:83]
	v_fmac_f64_e32 v[14:15], v[40:41], v[82:83]
	v_add_u32_e32 v26, -12, v24
	global_load_dwordx4 v[42:45], v[86:87], off
	v_fma_f64 v[88:89], -v[40:41], v[84:85], v[88:89]
	v_fmac_f64_e32 v[14:15], v[38:39], v[84:85]
	global_load_dwordx4 v[38:41], v[86:87], off offset:16
	v_fmac_f64_e32 v[78:79], v[34:35], v[82:83]
	v_fmac_f64_e32 v[16:17], v[36:37], v[82:83]
	v_fma_f64 v[82:83], -v[36:37], v[84:85], v[78:79]
	v_fmac_f64_e32 v[16:17], v[34:35], v[84:85]
	v_lshl_add_u64 v[84:85], v[26:27], 4, s[8:9]
	global_load_dwordx4 v[34:37], v[86:87], off offset:48
	global_load_dwordx4 v[78:81], v[86:87], off offset:32
	v_add_u32_e32 v26, -10, v24
	s_waitcnt vmcnt(5)
	v_fmac_f64_e32 v[88:89], v[62:63], v[46:47]
	v_fmac_f64_e32 v[14:15], v[64:65], v[46:47]
	v_fma_f64 v[86:87], -v[64:65], v[48:49], v[88:89]
	v_fmac_f64_e32 v[14:15], v[62:63], v[48:49]
	global_load_dwordx4 v[62:65], v[84:85], off
	v_fmac_f64_e32 v[82:83], v[58:59], v[46:47]
	v_fmac_f64_e32 v[16:17], v[60:61], v[46:47]
	v_fma_f64 v[82:83], -v[60:61], v[48:49], v[82:83]
	v_fmac_f64_e32 v[16:17], v[58:59], v[48:49]
	global_load_dwordx4 v[46:49], v[84:85], off offset:16
	v_lshl_add_u64 v[84:85], v[26:27], 4, s[8:9]
	global_load_dwordx4 v[58:61], v[84:85], off
	s_waitcnt vmcnt(7)
	v_fmac_f64_e32 v[86:87], v[54:55], v[20:21]
	v_fmac_f64_e32 v[14:15], v[56:57], v[20:21]
	v_fma_f64 v[86:87], -v[56:57], v[22:23], v[86:87]
	v_fmac_f64_e32 v[14:15], v[54:55], v[22:23]
	global_load_dwordx4 v[54:57], v[84:85], off offset:16
	v_add_u32_e32 v26, -8, v24
	v_lshl_add_u64 v[88:89], v[26:27], 4, s[8:9]
	v_add_u32_e32 v26, -6, v24
	v_fmac_f64_e32 v[82:83], v[50:51], v[20:21]
	v_fmac_f64_e32 v[16:17], v[52:53], v[20:21]
	s_waitcnt vmcnt(7)
	v_fmac_f64_e32 v[86:87], v[74:75], v[42:43]
	v_fmac_f64_e32 v[14:15], v[76:77], v[42:43]
	v_lshl_add_u64 v[90:91], v[26:27], 4, s[8:9]
	v_add_u32_e32 v26, 8, v30
	v_fma_f64 v[30:31], -v[52:53], v[22:23], v[82:83]
	v_fmac_f64_e32 v[16:17], v[50:51], v[22:23]
	global_load_dwordx4 v[20:23], v[88:89], off
	global_load_dwordx4 v[50:53], v[88:89], off offset:16
	v_fma_f64 v[86:87], -v[76:77], v[44:45], v[86:87]
	v_fmac_f64_e32 v[14:15], v[74:75], v[44:45]
	v_fmac_f64_e32 v[30:31], v[70:71], v[42:43]
	;; [unrolled: 1-line block ×3, first 2 shown]
	v_lshl_add_u64 v[88:89], v[26:27], 4, s[10:11]
	global_load_dwordx4 v[74:77], v[90:91], off offset:16
	global_load_dwordx4 v[82:85], v[90:91], off
	v_fma_f64 v[30:31], -v[72:73], v[44:45], v[30:31]
	v_fmac_f64_e32 v[16:17], v[70:71], v[44:45]
	v_add_u32_e32 v26, -4, v24
	v_lshl_add_u64 v[72:73], v[26:27], 4, s[8:9]
	v_add_u32_e32 v26, -2, v24
	global_load_dwordx4 v[42:45], v[88:89], off offset:32
	v_lshl_add_u64 v[90:91], v[26:27], 4, s[8:9]
	v_add_u32_e32 v24, 0x60, v24
	s_waitcnt vmcnt(8)
	v_fmac_f64_e32 v[86:87], v[62:63], v[38:39]
	v_fmac_f64_e32 v[14:15], v[64:65], v[38:39]
	v_fma_f64 v[70:71], -v[64:65], v[40:41], v[86:87]
	v_fmac_f64_e32 v[14:15], v[62:63], v[40:41]
	global_load_dwordx4 v[62:65], v[88:89], off
	s_waitcnt vmcnt(8)
	v_fmac_f64_e32 v[30:31], v[46:47], v[38:39]
	v_fmac_f64_e32 v[16:17], v[48:49], v[38:39]
	s_waitcnt vmcnt(7)
	v_fmac_f64_e32 v[70:71], v[58:59], v[78:79]
	v_fmac_f64_e32 v[14:15], v[60:61], v[78:79]
	v_fma_f64 v[30:31], -v[48:49], v[40:41], v[30:31]
	v_fmac_f64_e32 v[16:17], v[46:47], v[40:41]
	global_load_dwordx4 v[38:41], v[88:89], off offset:16
	global_load_dwordx4 v[46:49], v[72:73], off
	v_fma_f64 v[86:87], -v[60:61], v[80:81], v[70:71]
	v_fmac_f64_e32 v[14:15], v[58:59], v[80:81]
	global_load_dwordx4 v[58:61], v[72:73], off offset:16
	s_waitcnt vmcnt(9)
	v_fmac_f64_e32 v[30:31], v[54:55], v[78:79]
	v_fmac_f64_e32 v[16:17], v[56:57], v[78:79]
	v_fma_f64 v[30:31], -v[56:57], v[80:81], v[30:31]
	v_fmac_f64_e32 v[16:17], v[54:55], v[80:81]
	global_load_dwordx4 v[54:57], v[90:91], off
	global_load_dwordx4 v[70:73], v[90:91], off offset:16
	global_load_dwordx4 v[78:81], v[88:89], off offset:48
	s_waitcnt vmcnt(11)
	v_fmac_f64_e32 v[86:87], v[20:21], v[34:35]
	v_fmac_f64_e32 v[14:15], v[22:23], v[34:35]
	s_waitcnt vmcnt(10)
	v_fmac_f64_e32 v[30:31], v[50:51], v[34:35]
	v_fmac_f64_e32 v[16:17], v[52:53], v[34:35]
	v_fma_f64 v[22:23], -v[22:23], v[36:37], v[86:87]
	v_fmac_f64_e32 v[14:15], v[20:21], v[36:37]
	v_fma_f64 v[20:21], -v[52:53], v[36:37], v[30:31]
	v_fmac_f64_e32 v[16:17], v[50:51], v[36:37]
	s_waitcnt vmcnt(6)
	v_fmac_f64_e32 v[22:23], v[82:83], v[62:63]
	v_fmac_f64_e32 v[14:15], v[84:85], v[62:63]
	v_fmac_f64_e32 v[20:21], v[74:75], v[62:63]
	v_fmac_f64_e32 v[16:17], v[76:77], v[62:63]
	v_fma_f64 v[22:23], -v[84:85], v[64:65], v[22:23]
	v_fmac_f64_e32 v[14:15], v[82:83], v[64:65]
	v_fma_f64 v[20:21], -v[76:77], v[64:65], v[20:21]
	v_fmac_f64_e32 v[16:17], v[74:75], v[64:65]
	s_waitcnt vmcnt(4)
	v_fmac_f64_e32 v[22:23], v[46:47], v[38:39]
	v_fmac_f64_e32 v[14:15], v[48:49], v[38:39]
	v_fma_f64 v[22:23], -v[48:49], v[40:41], v[22:23]
	s_waitcnt vmcnt(3)
	v_fmac_f64_e32 v[20:21], v[58:59], v[38:39]
	v_fmac_f64_e32 v[16:17], v[60:61], v[38:39]
	;; [unrolled: 1-line block ×3, first 2 shown]
	v_fma_f64 v[20:21], -v[60:61], v[40:41], v[20:21]
	v_fmac_f64_e32 v[16:17], v[58:59], v[40:41]
	s_waitcnt vmcnt(2)
	v_fmac_f64_e32 v[22:23], v[54:55], v[42:43]
	v_fmac_f64_e32 v[14:15], v[56:57], v[42:43]
	s_waitcnt vmcnt(1)
	v_fmac_f64_e32 v[20:21], v[70:71], v[42:43]
	v_fmac_f64_e32 v[16:17], v[72:73], v[42:43]
	v_fma_f64 v[22:23], -v[56:57], v[44:45], v[22:23]
	v_fmac_f64_e32 v[14:15], v[54:55], v[44:45]
	v_fma_f64 v[20:21], -v[72:73], v[44:45], v[20:21]
	v_fmac_f64_e32 v[16:17], v[70:71], v[44:45]
	s_waitcnt vmcnt(0)
	v_fmac_f64_e32 v[22:23], v[0:1], v[78:79]
	v_fmac_f64_e32 v[14:15], v[2:3], v[78:79]
	;; [unrolled: 1-line block ×4, first 2 shown]
	v_fma_f64 v[22:23], -v[2:3], v[80:81], v[22:23]
	v_fmac_f64_e32 v[14:15], v[0:1], v[80:81]
	v_fma_f64 v[20:21], -v[68:69], v[80:81], v[20:21]
	v_fmac_f64_e32 v[16:17], v[66:67], v[80:81]
	s_andn2_b64 exec, exec, s[14:15]
	s_cbranch_execnz .LBB278_11
; %bb.12:
	s_or_b64 exec, exec, s[14:15]
.LBB278_13:
	s_or_b64 exec, exec, s[12:13]
	s_andn2_b64 vcc, exec, s[4:5]
	s_cbranch_vccz .LBB278_15
	s_branch .LBB278_20
.LBB278_14:
                                        ; implicit-def: $vgpr14_vgpr15
                                        ; implicit-def: $vgpr22_vgpr23
                                        ; implicit-def: $vgpr20_vgpr21
                                        ; implicit-def: $vgpr16_vgpr17
.LBB278_15:
	v_mov_b64_e32 v[14:15], 0
	v_mov_b64_e32 v[22:23], v[14:15]
	;; [unrolled: 1-line block ×4, first 2 shown]
	s_and_saveexec_b64 s[4:5], s[0:1]
	s_cbranch_execz .LBB278_19
; %bb.16:
	v_mad_u64_u32 v[0:1], s[0:1], v18, 24, 23
	v_mov_b64_e32 v[14:15], 0
	s_mov_b64 s[0:1], 0
	v_mov_b32_e32 v3, 0
	v_mov_b64_e32 v[22:23], v[14:15]
	v_mov_b64_e32 v[20:21], v[14:15]
	;; [unrolled: 1-line block ×3, first 2 shown]
.LBB278_17:                             ; =>This Inner Loop Header: Depth=1
	v_ashrrev_i32_e32 v19, 31, v18
	v_subrev_u32_e32 v2, 23, v0
	v_add_u32_e32 v26, -11, v0
	v_mov_b32_e32 v27, v3
	v_mov_b32_e32 v1, v3
	v_lshl_add_u64 v[30:31], v[18:19], 2, s[6:7]
	v_lshl_add_u64 v[66:67], v[2:3], 4, s[8:9]
	;; [unrolled: 1-line block ×4, first 2 shown]
	global_load_dword v1, v[30:31], off
	global_load_dwordx4 v[26:29], v[66:67], off offset:48
	global_load_dwordx4 v[34:37], v[66:67], off offset:32
	;; [unrolled: 1-line block ×3, first 2 shown]
	global_load_dwordx4 v[42:45], v[66:67], off
	global_load_dwordx4 v[46:49], v[50:51], off
	v_mov_b32_e32 v25, v3
	global_load_dwordx4 v[50:53], v[66:67], off offset:112
	global_load_dwordx4 v[54:57], v[66:67], off offset:96
	;; [unrolled: 1-line block ×4, first 2 shown]
	v_add_u32_e32 v2, -10, v0
	v_lshl_add_u64 v[30:31], v[2:3], 4, s[8:9]
	v_add_u32_e32 v2, -9, v0
	v_add_u32_e32 v18, 4, v18
	v_cmp_ge_i32_e32 vcc, v18, v32
	s_or_b64 s[0:1], vcc, s[0:1]
	s_waitcnt vmcnt(9)
	v_subrev_u32_e32 v1, s16, v1
	v_mul_lo_u32 v24, v1, 12
	v_lshl_add_u64 v[80:81], v[24:25], 4, s[10:11]
	global_load_dwordx4 v[66:69], v[80:81], off
	global_load_dwordx4 v[70:73], v[80:81], off offset:16
	s_waitcnt vmcnt(1)
	v_fmac_f64_e32 v[22:23], v[42:43], v[66:67]
	v_fmac_f64_e32 v[14:15], v[44:45], v[66:67]
	v_fma_f64 v[82:83], -v[44:45], v[68:69], v[22:23]
	v_fmac_f64_e32 v[14:15], v[42:43], v[68:69]
	global_load_dwordx4 v[42:45], v[78:79], off
	global_load_dwordx4 v[74:77], v[30:31], off
	v_fmac_f64_e32 v[20:21], v[46:47], v[66:67]
	v_fmac_f64_e32 v[16:17], v[48:49], v[66:67]
	v_lshl_add_u64 v[66:67], v[2:3], 4, s[8:9]
	v_add_u32_e32 v2, -8, v0
	s_waitcnt vmcnt(2)
	v_fmac_f64_e32 v[82:83], v[38:39], v[70:71]
	v_fmac_f64_e32 v[14:15], v[40:41], v[70:71]
	v_fma_f64 v[30:31], -v[48:49], v[68:69], v[20:21]
	v_fmac_f64_e32 v[16:17], v[46:47], v[68:69]
	v_lshl_add_u64 v[68:69], v[2:3], 4, s[8:9]
	global_load_dwordx4 v[20:23], v[66:67], off
	global_load_dwordx4 v[46:49], v[68:69], off
	v_fma_f64 v[78:79], -v[40:41], v[72:73], v[82:83]
	v_fmac_f64_e32 v[14:15], v[38:39], v[72:73]
	global_load_dwordx4 v[38:41], v[80:81], off offset:32
	global_load_dwordx4 v[66:69], v[80:81], off offset:48
	v_add_u32_e32 v2, 4, v24
	s_waitcnt vmcnt(4)
	v_fmac_f64_e32 v[16:17], v[76:77], v[70:71]
	v_fmac_f64_e32 v[30:31], v[74:75], v[70:71]
	;; [unrolled: 1-line block ×3, first 2 shown]
	v_lshl_add_u64 v[74:75], v[2:3], 4, s[10:11]
	v_fma_f64 v[30:31], -v[76:77], v[72:73], v[30:31]
	global_load_dwordx4 v[70:73], v[74:75], off
	v_add_u32_e32 v2, -7, v0
	s_waitcnt vmcnt(2)
	v_fmac_f64_e32 v[78:79], v[34:35], v[38:39]
	v_fmac_f64_e32 v[14:15], v[36:37], v[38:39]
	v_fma_f64 v[76:77], -v[36:37], v[40:41], v[78:79]
	v_fmac_f64_e32 v[14:15], v[34:35], v[40:41]
	global_load_dwordx4 v[34:37], v[74:75], off offset:16
	v_fmac_f64_e32 v[30:31], v[20:21], v[38:39]
	v_fmac_f64_e32 v[16:17], v[22:23], v[38:39]
	v_fma_f64 v[30:31], -v[22:23], v[40:41], v[30:31]
	v_fmac_f64_e32 v[16:17], v[20:21], v[40:41]
	global_load_dwordx4 v[20:23], v[74:75], off offset:48
	global_load_dwordx4 v[38:41], v[74:75], off offset:32
	v_lshl_add_u64 v[74:75], v[2:3], 4, s[8:9]
	s_waitcnt vmcnt(4)
	v_fmac_f64_e32 v[76:77], v[26:27], v[66:67]
	v_fmac_f64_e32 v[14:15], v[28:29], v[66:67]
	v_add_u32_e32 v2, -6, v0
	v_fma_f64 v[76:77], -v[28:29], v[68:69], v[76:77]
	v_fmac_f64_e32 v[14:15], v[26:27], v[68:69]
	global_load_dwordx4 v[26:29], v[74:75], off
	v_lshl_add_u64 v[74:75], v[2:3], 4, s[8:9]
	v_fmac_f64_e32 v[30:31], v[46:47], v[66:67]
	v_fmac_f64_e32 v[16:17], v[48:49], v[66:67]
	v_fma_f64 v[30:31], -v[48:49], v[68:69], v[30:31]
	v_fmac_f64_e32 v[16:17], v[46:47], v[68:69]
	global_load_dwordx4 v[46:49], v[74:75], off
	v_add_u32_e32 v2, -5, v0
	v_lshl_add_u64 v[66:67], v[2:3], 4, s[8:9]
	global_load_dwordx4 v[66:69], v[66:67], off
	v_add_u32_e32 v2, -4, v0
	v_lshl_add_u64 v[74:75], v[2:3], 4, s[8:9]
	v_add_u32_e32 v2, -15, v0
	s_waitcnt vmcnt(6)
	v_fmac_f64_e32 v[76:77], v[62:63], v[70:71]
	v_fmac_f64_e32 v[14:15], v[64:65], v[70:71]
	v_fma_f64 v[78:79], -v[64:65], v[72:73], v[76:77]
	v_fmac_f64_e32 v[14:15], v[62:63], v[72:73]
	global_load_dwordx4 v[62:65], v[74:75], off
	v_lshl_add_u64 v[74:75], v[2:3], 4, s[8:9]
	v_add_u32_e32 v2, 8, v24
	global_load_dwordx4 v[74:77], v[74:75], off
	s_waitcnt vmcnt(7)
	v_fmac_f64_e32 v[78:79], v[58:59], v[34:35]
	v_fmac_f64_e32 v[14:15], v[60:61], v[34:35]
	v_fma_f64 v[60:61], -v[60:61], v[36:37], v[78:79]
	v_fmac_f64_e32 v[14:15], v[58:59], v[36:37]
	s_waitcnt vmcnt(5)
	v_fmac_f64_e32 v[60:61], v[54:55], v[38:39]
	v_fmac_f64_e32 v[14:15], v[56:57], v[38:39]
	v_fma_f64 v[80:81], -v[56:57], v[40:41], v[60:61]
	v_fmac_f64_e32 v[14:15], v[54:55], v[40:41]
	v_fmac_f64_e32 v[14:15], v[52:53], v[20:21]
	;; [unrolled: 1-line block ×4, first 2 shown]
	s_waitcnt vmcnt(4)
	v_fmac_f64_e32 v[30:31], v[26:27], v[70:71]
	v_fmac_f64_e32 v[16:17], v[28:29], v[70:71]
	v_fma_f64 v[70:71], -v[28:29], v[72:73], v[30:31]
	v_fmac_f64_e32 v[16:17], v[26:27], v[72:73]
	v_lshl_add_u64 v[72:73], v[2:3], 4, s[10:11]
	v_add_u32_e32 v2, -3, v0
	s_waitcnt vmcnt(3)
	v_fmac_f64_e32 v[70:71], v[46:47], v[34:35]
	v_fmac_f64_e32 v[16:17], v[48:49], v[34:35]
	global_load_dwordx4 v[24:27], v[72:73], off
	global_load_dwordx4 v[28:31], v[72:73], off offset:16
	v_fma_f64 v[70:71], -v[48:49], v[36:37], v[70:71]
	v_fmac_f64_e32 v[16:17], v[46:47], v[36:37]
	global_load_dwordx4 v[34:37], v[72:73], off offset:48
	global_load_dwordx4 v[46:49], v[72:73], off offset:32
	v_lshl_add_u64 v[72:73], v[2:3], 4, s[8:9]
	v_add_u32_e32 v2, -14, v0
	v_lshl_add_u64 v[78:79], v[2:3], 4, s[8:9]
	v_add_u32_e32 v2, -2, v0
	global_load_dwordx4 v[54:57], v[72:73], off
	global_load_dwordx4 v[58:61], v[78:79], off
	v_lshl_add_u64 v[72:73], v[2:3], 4, s[8:9]
	v_add_u32_e32 v2, -13, v0
	s_waitcnt vmcnt(8)
	v_fmac_f64_e32 v[70:71], v[66:67], v[38:39]
	v_fmac_f64_e32 v[16:17], v[68:69], v[38:39]
	v_lshl_add_u64 v[78:79], v[2:3], 4, s[8:9]
	v_add_u32_e32 v2, -1, v0
	v_fma_f64 v[70:71], -v[68:69], v[40:41], v[70:71]
	v_fmac_f64_e32 v[16:17], v[66:67], v[40:41]
	global_load_dwordx4 v[38:41], v[72:73], off
	global_load_dwordx4 v[66:69], v[78:79], off
	v_lshl_add_u64 v[50:51], v[2:3], 4, s[8:9]
	v_fma_f64 v[72:73], -v[52:53], v[22:23], v[80:81]
	v_add_u32_e32 v2, -12, v0
	global_load_dwordx4 v[50:53], v[50:51], off
	v_add_u32_e32 v0, 0x60, v0
	s_waitcnt vmcnt(10)
	v_fmac_f64_e32 v[70:71], v[62:63], v[20:21]
	v_fmac_f64_e32 v[16:17], v[64:65], v[20:21]
	v_lshl_add_u64 v[20:21], v[2:3], 4, s[8:9]
	v_fma_f64 v[64:65], -v[64:65], v[22:23], v[70:71]
	v_fmac_f64_e32 v[16:17], v[62:63], v[22:23]
	global_load_dwordx4 v[20:23], v[20:21], off
	s_waitcnt vmcnt(9)
	v_fmac_f64_e32 v[72:73], v[74:75], v[24:25]
	v_fmac_f64_e32 v[14:15], v[76:77], v[24:25]
	;; [unrolled: 1-line block ×3, first 2 shown]
	s_waitcnt vmcnt(5)
	v_fmac_f64_e32 v[64:65], v[54:55], v[24:25]
	v_fmac_f64_e32 v[16:17], v[56:57], v[24:25]
	v_fma_f64 v[24:25], -v[76:77], v[26:27], v[72:73]
	v_fma_f64 v[56:57], -v[56:57], v[26:27], v[64:65]
	v_fmac_f64_e32 v[16:17], v[54:55], v[26:27]
	s_waitcnt vmcnt(4)
	v_fmac_f64_e32 v[24:25], v[58:59], v[28:29]
	v_fmac_f64_e32 v[14:15], v[60:61], v[28:29]
	v_fma_f64 v[24:25], -v[60:61], v[30:31], v[24:25]
	v_fmac_f64_e32 v[14:15], v[58:59], v[30:31]
	s_waitcnt vmcnt(3)
	v_fmac_f64_e32 v[56:57], v[38:39], v[28:29]
	v_fmac_f64_e32 v[16:17], v[40:41], v[28:29]
	;; [unrolled: 5-line block ×3, first 2 shown]
	s_waitcnt vmcnt(1)
	v_fmac_f64_e32 v[26:27], v[50:51], v[46:47]
	v_fmac_f64_e32 v[16:17], v[52:53], v[46:47]
	v_fma_f64 v[24:25], -v[68:69], v[48:49], v[24:25]
	v_fmac_f64_e32 v[14:15], v[66:67], v[48:49]
	v_fma_f64 v[26:27], -v[52:53], v[48:49], v[26:27]
	v_fmac_f64_e32 v[16:17], v[50:51], v[48:49]
	v_fmac_f64_e32 v[26:27], v[42:43], v[34:35]
	;; [unrolled: 1-line block ×4, first 2 shown]
	s_waitcnt vmcnt(0)
	v_fmac_f64_e32 v[24:25], v[20:21], v[34:35]
	v_fmac_f64_e32 v[14:15], v[22:23], v[34:35]
	v_fma_f64 v[22:23], -v[22:23], v[36:37], v[24:25]
	v_fmac_f64_e32 v[14:15], v[20:21], v[36:37]
	v_fma_f64 v[20:21], -v[44:45], v[36:37], v[26:27]
	s_andn2_b64 exec, exec, s[0:1]
	s_cbranch_execnz .LBB278_17
; %bb.18:
	s_or_b64 exec, exec, s[0:1]
.LBB278_19:
	s_or_b64 exec, exec, s[4:5]
.LBB278_20:
	v_mov_b32_dpp v18, v14 row_shr:1 row_mask:0xf bank_mask:0xf
	v_mov_b32_dpp v19, v15 row_shr:1 row_mask:0xf bank_mask:0xf
	v_add_f64 v[18:19], v[14:15], v[18:19]
	v_mov_b32_dpp v14, v20 row_shr:1 row_mask:0xf bank_mask:0xf
	v_mov_b32_dpp v15, v21 row_shr:1 row_mask:0xf bank_mask:0xf
	;; [unrolled: 1-line block ×4, first 2 shown]
	v_add_f64 v[20:21], v[20:21], v[14:15]
	v_mov_b32_dpp v14, v16 row_shr:1 row_mask:0xf bank_mask:0xf
	v_mov_b32_dpp v15, v17 row_shr:1 row_mask:0xf bank_mask:0xf
	v_add_f64 v[0:1], v[22:23], v[0:1]
	v_add_f64 v[26:27], v[16:17], v[14:15]
	v_mov_b32_dpp v22, v18 row_shr:2 row_mask:0xf bank_mask:0xf
	v_mov_b32_dpp v2, v0 row_shr:2 row_mask:0xf bank_mask:0xf
	;; [unrolled: 1-line block ×8, first 2 shown]
	v_cmp_eq_u32_e32 vcc, 3, v13
	s_and_b64 exec, exec, vcc
	s_cbranch_execz .LBB278_25
; %bb.21:
	s_load_dwordx2 s[2:3], s[2:3], 0x48
	v_cmp_eq_f64_e32 vcc, 0, v[8:9]
	v_cmp_eq_f64_e64 s[0:1], 0, v[10:11]
	v_add_f64 v[14:15], v[0:1], v[2:3]
	v_add_f64 v[16:17], v[18:19], v[22:23]
	;; [unrolled: 1-line block ×4, first 2 shown]
	s_and_b64 s[0:1], vcc, s[0:1]
	s_and_saveexec_b64 s[4:5], s[0:1]
	s_xor_b64 s[0:1], exec, s[4:5]
	s_cbranch_execz .LBB278_23
; %bb.22:
	v_lshlrev_b32_e32 v12, 1, v12
	v_mul_f64 v[8:9], v[16:17], -v[6:7]
	v_mul_f64 v[10:11], v[4:5], v[16:17]
	v_ashrrev_i32_e32 v13, 31, v12
	v_fmac_f64_e32 v[8:9], v[4:5], v[14:15]
	v_fmac_f64_e32 v[10:11], v[6:7], v[14:15]
	s_waitcnt lgkmcnt(0)
	v_lshl_add_u64 v[12:13], v[12:13], 4, s[2:3]
	global_store_dwordx4 v[12:13], v[8:11], off
                                        ; implicit-def: $vgpr14_vgpr15
                                        ; implicit-def: $vgpr16_vgpr17
	s_nop 1
	v_mul_f64 v[8:9], v[2:3], -v[6:7]
	v_mul_f64 v[10:11], v[4:5], v[2:3]
	v_fmac_f64_e32 v[8:9], v[4:5], v[0:1]
	v_fmac_f64_e32 v[10:11], v[6:7], v[0:1]
	global_store_dwordx4 v[12:13], v[8:11], off offset:16
                                        ; implicit-def: $vgpr4_vgpr5
                                        ; implicit-def: $vgpr6_vgpr7
                                        ; implicit-def: $vgpr8_vgpr9
                                        ; implicit-def: $vgpr10_vgpr11
                                        ; implicit-def: $vgpr12
                                        ; implicit-def: $vgpr0_vgpr1
                                        ; implicit-def: $vgpr2_vgpr3
.LBB278_23:
	s_andn2_saveexec_b64 s[0:1], s[0:1]
	s_cbranch_execz .LBB278_25
; %bb.24:
	v_lshlrev_b32_e32 v12, 1, v12
	v_ashrrev_i32_e32 v13, 31, v12
	s_waitcnt lgkmcnt(0)
	v_lshl_add_u64 v[12:13], v[12:13], 4, s[2:3]
	global_load_dwordx4 v[18:21], v[12:13], off
	global_load_dwordx4 v[22:25], v[12:13], off offset:16
	v_mul_f64 v[26:27], v[16:17], -v[6:7]
	v_mul_f64 v[16:17], v[4:5], v[16:17]
	v_mul_f64 v[28:29], v[2:3], -v[6:7]
	v_mul_f64 v[2:3], v[4:5], v[2:3]
	v_fmac_f64_e32 v[26:27], v[4:5], v[14:15]
	v_fmac_f64_e32 v[16:17], v[6:7], v[14:15]
	;; [unrolled: 1-line block ×4, first 2 shown]
	s_waitcnt vmcnt(1)
	v_fmac_f64_e32 v[26:27], v[8:9], v[18:19]
	v_fmac_f64_e32 v[16:17], v[10:11], v[18:19]
	s_waitcnt vmcnt(0)
	v_fmac_f64_e32 v[28:29], v[8:9], v[22:23]
	v_fmac_f64_e32 v[2:3], v[10:11], v[22:23]
	v_fma_f64 v[14:15], -v[10:11], v[20:21], v[26:27]
	v_fmac_f64_e32 v[16:17], v[8:9], v[20:21]
	v_fma_f64 v[0:1], -v[10:11], v[24:25], v[28:29]
	v_fmac_f64_e32 v[2:3], v[8:9], v[24:25]
	global_store_dwordx4 v[12:13], v[14:17], off
	global_store_dwordx4 v[12:13], v[0:3], off offset:16
.LBB278_25:
	s_endpgm
	.section	.rodata,"a",@progbits
	.p2align	6, 0x0
	.amdhsa_kernel _ZN9rocsparseL19gebsrmvn_2xn_kernelILj128ELj12ELj4E21rocsparse_complex_numIdEEEvi20rocsparse_direction_NS_24const_host_device_scalarIT2_EEPKiS8_PKS5_SA_S6_PS5_21rocsparse_index_base_b
		.amdhsa_group_segment_fixed_size 2048
		.amdhsa_private_segment_fixed_size 0
		.amdhsa_kernarg_size 88
		.amdhsa_user_sgpr_count 4
		.amdhsa_user_sgpr_dispatch_ptr 1
		.amdhsa_user_sgpr_queue_ptr 0
		.amdhsa_user_sgpr_kernarg_segment_ptr 1
		.amdhsa_user_sgpr_dispatch_id 0
		.amdhsa_user_sgpr_kernarg_preload_length 0
		.amdhsa_user_sgpr_kernarg_preload_offset 0
		.amdhsa_user_sgpr_private_segment_size 0
		.amdhsa_uses_dynamic_stack 0
		.amdhsa_enable_private_segment 0
		.amdhsa_system_sgpr_workgroup_id_x 1
		.amdhsa_system_sgpr_workgroup_id_y 0
		.amdhsa_system_sgpr_workgroup_id_z 0
		.amdhsa_system_sgpr_workgroup_info 0
		.amdhsa_system_vgpr_workitem_id 2
		.amdhsa_next_free_vgpr 92
		.amdhsa_next_free_sgpr 20
		.amdhsa_accum_offset 92
		.amdhsa_reserve_vcc 1
		.amdhsa_float_round_mode_32 0
		.amdhsa_float_round_mode_16_64 0
		.amdhsa_float_denorm_mode_32 3
		.amdhsa_float_denorm_mode_16_64 3
		.amdhsa_dx10_clamp 1
		.amdhsa_ieee_mode 1
		.amdhsa_fp16_overflow 0
		.amdhsa_tg_split 0
		.amdhsa_exception_fp_ieee_invalid_op 0
		.amdhsa_exception_fp_denorm_src 0
		.amdhsa_exception_fp_ieee_div_zero 0
		.amdhsa_exception_fp_ieee_overflow 0
		.amdhsa_exception_fp_ieee_underflow 0
		.amdhsa_exception_fp_ieee_inexact 0
		.amdhsa_exception_int_div_zero 0
	.end_amdhsa_kernel
	.section	.text._ZN9rocsparseL19gebsrmvn_2xn_kernelILj128ELj12ELj4E21rocsparse_complex_numIdEEEvi20rocsparse_direction_NS_24const_host_device_scalarIT2_EEPKiS8_PKS5_SA_S6_PS5_21rocsparse_index_base_b,"axG",@progbits,_ZN9rocsparseL19gebsrmvn_2xn_kernelILj128ELj12ELj4E21rocsparse_complex_numIdEEEvi20rocsparse_direction_NS_24const_host_device_scalarIT2_EEPKiS8_PKS5_SA_S6_PS5_21rocsparse_index_base_b,comdat
.Lfunc_end278:
	.size	_ZN9rocsparseL19gebsrmvn_2xn_kernelILj128ELj12ELj4E21rocsparse_complex_numIdEEEvi20rocsparse_direction_NS_24const_host_device_scalarIT2_EEPKiS8_PKS5_SA_S6_PS5_21rocsparse_index_base_b, .Lfunc_end278-_ZN9rocsparseL19gebsrmvn_2xn_kernelILj128ELj12ELj4E21rocsparse_complex_numIdEEEvi20rocsparse_direction_NS_24const_host_device_scalarIT2_EEPKiS8_PKS5_SA_S6_PS5_21rocsparse_index_base_b
                                        ; -- End function
	.section	.AMDGPU.csdata,"",@progbits
; Kernel info:
; codeLenInByte = 3232
; NumSgprs: 26
; NumVgprs: 92
; NumAgprs: 0
; TotalNumVgprs: 92
; ScratchSize: 0
; MemoryBound: 1
; FloatMode: 240
; IeeeMode: 1
; LDSByteSize: 2048 bytes/workgroup (compile time only)
; SGPRBlocks: 3
; VGPRBlocks: 11
; NumSGPRsForWavesPerEU: 26
; NumVGPRsForWavesPerEU: 92
; AccumOffset: 92
; Occupancy: 5
; WaveLimiterHint : 1
; COMPUTE_PGM_RSRC2:SCRATCH_EN: 0
; COMPUTE_PGM_RSRC2:USER_SGPR: 4
; COMPUTE_PGM_RSRC2:TRAP_HANDLER: 0
; COMPUTE_PGM_RSRC2:TGID_X_EN: 1
; COMPUTE_PGM_RSRC2:TGID_Y_EN: 0
; COMPUTE_PGM_RSRC2:TGID_Z_EN: 0
; COMPUTE_PGM_RSRC2:TIDIG_COMP_CNT: 2
; COMPUTE_PGM_RSRC3_GFX90A:ACCUM_OFFSET: 22
; COMPUTE_PGM_RSRC3_GFX90A:TG_SPLIT: 0
	.section	.text._ZN9rocsparseL19gebsrmvn_2xn_kernelILj128ELj12ELj8E21rocsparse_complex_numIdEEEvi20rocsparse_direction_NS_24const_host_device_scalarIT2_EEPKiS8_PKS5_SA_S6_PS5_21rocsparse_index_base_b,"axG",@progbits,_ZN9rocsparseL19gebsrmvn_2xn_kernelILj128ELj12ELj8E21rocsparse_complex_numIdEEEvi20rocsparse_direction_NS_24const_host_device_scalarIT2_EEPKiS8_PKS5_SA_S6_PS5_21rocsparse_index_base_b,comdat
	.globl	_ZN9rocsparseL19gebsrmvn_2xn_kernelILj128ELj12ELj8E21rocsparse_complex_numIdEEEvi20rocsparse_direction_NS_24const_host_device_scalarIT2_EEPKiS8_PKS5_SA_S6_PS5_21rocsparse_index_base_b ; -- Begin function _ZN9rocsparseL19gebsrmvn_2xn_kernelILj128ELj12ELj8E21rocsparse_complex_numIdEEEvi20rocsparse_direction_NS_24const_host_device_scalarIT2_EEPKiS8_PKS5_SA_S6_PS5_21rocsparse_index_base_b
	.p2align	8
	.type	_ZN9rocsparseL19gebsrmvn_2xn_kernelILj128ELj12ELj8E21rocsparse_complex_numIdEEEvi20rocsparse_direction_NS_24const_host_device_scalarIT2_EEPKiS8_PKS5_SA_S6_PS5_21rocsparse_index_base_b,@function
_ZN9rocsparseL19gebsrmvn_2xn_kernelILj128ELj12ELj8E21rocsparse_complex_numIdEEEvi20rocsparse_direction_NS_24const_host_device_scalarIT2_EEPKiS8_PKS5_SA_S6_PS5_21rocsparse_index_base_b: ; @_ZN9rocsparseL19gebsrmvn_2xn_kernelILj128ELj12ELj8E21rocsparse_complex_numIdEEEvi20rocsparse_direction_NS_24const_host_device_scalarIT2_EEPKiS8_PKS5_SA_S6_PS5_21rocsparse_index_base_b
; %bb.0:
	s_load_dwordx2 s[16:17], s[2:3], 0x50
	s_load_dwordx4 s[12:15], s[2:3], 0x8
	s_load_dwordx4 s[8:11], s[2:3], 0x38
	s_load_dwordx2 s[18:19], s[0:1], 0x4
	s_mov_b64 s[6:7], src_shared_base
	s_waitcnt lgkmcnt(0)
	s_bitcmp1_b32 s17, 0
	s_cselect_b64 s[0:1], -1, 0
	s_and_b64 vcc, s[0:1], exec
	s_cselect_b32 s5, s7, s13
	s_lshr_b32 s6, s18, 16
	v_bfe_u32 v2, v0, 10, 10
	v_and_b32_e32 v1, 0x3ff, v0
	s_mul_i32 s6, s6, s19
	v_mul_u32_u24_e32 v2, s19, v2
	v_mad_u32_u24 v2, s6, v1, v2
	v_bfe_u32 v0, v0, 20, 10
	v_add_lshl_u32 v0, v2, v0, 3
	v_mov_b32_e32 v6, s12
	v_add_u32_e32 v7, 0x400, v0
	v_mov_b64_e32 v[2:3], s[12:13]
	v_mov_b64_e32 v[4:5], s[8:9]
	ds_write2st64_b64 v0, v[4:5], v[2:3] offset1:2
	v_cndmask_b32_e64 v2, v6, v7, s[0:1]
	v_mov_b32_e32 v3, s5
	flat_load_dwordx2 v[4:5], v[2:3]
	s_xor_b64 s[18:19], s[0:1], -1
	v_mov_b64_e32 v[6:7], s[14:15]
	s_cbranch_vccnz .LBB279_2
; %bb.1:
	v_mov_b64_e32 v[2:3], s[12:13]
	flat_load_dwordx2 v[6:7], v[2:3] offset:8
.LBB279_2:
	s_and_b64 s[12:13], s[0:1], exec
	s_cselect_b32 s5, s7, s9
	v_mov_b32_e32 v2, s8
	v_cndmask_b32_e64 v2, v2, v0, s[0:1]
	v_mov_b32_e32 v3, s5
	flat_load_dwordx2 v[8:9], v[2:3]
	s_andn2_b64 vcc, exec, s[18:19]
	v_mov_b64_e32 v[10:11], s[10:11]
	s_cbranch_vccnz .LBB279_4
; %bb.3:
	v_mov_b64_e32 v[2:3], s[8:9]
	flat_load_dwordx2 v[10:11], v[2:3] offset:8
.LBB279_4:
	s_waitcnt vmcnt(0) lgkmcnt(0)
	v_cmp_eq_f64_e32 vcc, 0, v[4:5]
	v_cmp_eq_f64_e64 s[0:1], 0, v[6:7]
	s_and_b64 s[8:9], vcc, s[0:1]
	s_mov_b64 s[0:1], -1
	s_and_saveexec_b64 s[6:7], s[8:9]
; %bb.5:
	v_cmp_neq_f64_e32 vcc, 1.0, v[8:9]
	v_cmp_neq_f64_e64 s[0:1], 0, v[10:11]
	s_or_b64 s[0:1], vcc, s[0:1]
	s_orn2_b64 s[0:1], s[0:1], exec
; %bb.6:
	s_or_b64 exec, exec, s[6:7]
	s_and_saveexec_b64 s[6:7], s[0:1]
	s_cbranch_execz .LBB279_25
; %bb.7:
	s_load_dwordx2 s[0:1], s[2:3], 0x0
	v_lshrrev_b32_e32 v0, 3, v1
	v_lshl_or_b32 v12, s4, 4, v0
	s_waitcnt lgkmcnt(0)
	v_cmp_gt_i32_e32 vcc, s0, v12
	s_and_b64 exec, exec, vcc
	s_cbranch_execz .LBB279_25
; %bb.8:
	s_load_dwordx8 s[4:11], s[2:3], 0x18
	v_ashrrev_i32_e32 v13, 31, v12
	s_cmp_lg_u32 s1, 0
	s_waitcnt lgkmcnt(0)
	v_lshl_add_u64 v[2:3], v[12:13], 2, s[4:5]
	global_load_dwordx2 v[2:3], v[2:3], off
	v_and_b32_e32 v13, 7, v1
	s_waitcnt vmcnt(0)
	v_subrev_u32_e32 v0, s16, v2
	v_subrev_u32_e32 v32, s16, v3
	v_add_u32_e32 v18, v0, v13
	v_cmp_lt_i32_e64 s[0:1], v18, v32
	s_cbranch_scc0 .LBB279_14
; %bb.9:
	v_mov_b64_e32 v[14:15], 0
	s_mov_b64 s[4:5], 0
	v_mov_b64_e32 v[22:23], v[14:15]
	v_mov_b64_e32 v[20:21], v[14:15]
	;; [unrolled: 1-line block ×3, first 2 shown]
	s_and_saveexec_b64 s[12:13], s[0:1]
	s_cbranch_execz .LBB279_13
; %bb.10:
	v_mad_u64_u32 v[24:25], s[14:15], v18, 24, 22
	v_mov_b64_e32 v[14:15], 0
	s_mov_b64 s[14:15], 0
	v_mov_b32_e32 v27, 0
	v_mov_b32_e32 v28, v18
	v_mov_b64_e32 v[22:23], v[14:15]
	v_mov_b64_e32 v[20:21], v[14:15]
	;; [unrolled: 1-line block ×3, first 2 shown]
.LBB279_11:                             ; =>This Inner Loop Header: Depth=1
	v_ashrrev_i32_e32 v29, 31, v28
	v_subrev_u32_e32 v26, 22, v24
	v_lshl_add_u64 v[0:1], v[28:29], 2, s[6:7]
	v_lshl_add_u64 v[2:3], v[26:27], 4, s[8:9]
	global_load_dword v19, v[0:1], off
	global_load_dwordx4 v[34:37], v[2:3], off offset:48
	global_load_dwordx4 v[38:41], v[2:3], off offset:32
	global_load_dwordx4 v[42:45], v[2:3], off offset:16
	global_load_dwordx4 v[46:49], v[2:3], off
	global_load_dwordx4 v[50:53], v[2:3], off offset:112
	global_load_dwordx4 v[54:57], v[2:3], off offset:96
	;; [unrolled: 1-line block ×4, first 2 shown]
	v_mov_b32_e32 v31, v27
	v_mov_b32_e32 v25, v27
	v_add_u32_e32 v26, -14, v24
	v_lshl_add_u64 v[78:79], v[24:25], 4, s[8:9]
	v_lshl_add_u64 v[80:81], v[26:27], 4, s[8:9]
	global_load_dwordx4 v[0:3], v[78:79], off
	global_load_dwordx4 v[66:69], v[78:79], off offset:16
	global_load_dwordx4 v[70:73], v[80:81], off offset:16
	global_load_dwordx4 v[74:77], v[80:81], off
	v_add_u32_e32 v28, 8, v28
	v_cmp_ge_i32_e32 vcc, v28, v32
	s_or_b64 s[14:15], vcc, s[14:15]
	s_waitcnt vmcnt(12)
	v_subrev_u32_e32 v19, s16, v19
	v_mul_lo_u32 v30, v19, 12
	v_lshl_add_u64 v[86:87], v[30:31], 4, s[10:11]
	global_load_dwordx4 v[78:81], v[86:87], off
	global_load_dwordx4 v[82:85], v[86:87], off offset:16
	v_add_u32_e32 v26, 4, v30
	s_waitcnt vmcnt(1)
	v_fmac_f64_e32 v[22:23], v[46:47], v[78:79]
	v_fmac_f64_e32 v[14:15], v[48:49], v[78:79]
	v_fma_f64 v[88:89], -v[48:49], v[80:81], v[22:23]
	v_fmac_f64_e32 v[14:15], v[46:47], v[80:81]
	global_load_dwordx4 v[46:49], v[86:87], off offset:32
	v_fmac_f64_e32 v[20:21], v[42:43], v[78:79]
	v_fmac_f64_e32 v[16:17], v[44:45], v[78:79]
	v_fma_f64 v[78:79], -v[44:45], v[80:81], v[20:21]
	global_load_dwordx4 v[20:23], v[86:87], off offset:48
	v_fmac_f64_e32 v[16:17], v[42:43], v[80:81]
	v_lshl_add_u64 v[86:87], v[26:27], 4, s[10:11]
	s_waitcnt vmcnt(2)
	v_fmac_f64_e32 v[88:89], v[38:39], v[82:83]
	v_fmac_f64_e32 v[14:15], v[40:41], v[82:83]
	v_add_u32_e32 v26, -12, v24
	global_load_dwordx4 v[42:45], v[86:87], off
	v_fma_f64 v[88:89], -v[40:41], v[84:85], v[88:89]
	v_fmac_f64_e32 v[14:15], v[38:39], v[84:85]
	global_load_dwordx4 v[38:41], v[86:87], off offset:16
	v_fmac_f64_e32 v[78:79], v[34:35], v[82:83]
	v_fmac_f64_e32 v[16:17], v[36:37], v[82:83]
	v_fma_f64 v[82:83], -v[36:37], v[84:85], v[78:79]
	v_fmac_f64_e32 v[16:17], v[34:35], v[84:85]
	v_lshl_add_u64 v[84:85], v[26:27], 4, s[8:9]
	global_load_dwordx4 v[34:37], v[86:87], off offset:48
	global_load_dwordx4 v[78:81], v[86:87], off offset:32
	v_add_u32_e32 v26, -10, v24
	s_waitcnt vmcnt(5)
	v_fmac_f64_e32 v[88:89], v[62:63], v[46:47]
	v_fmac_f64_e32 v[14:15], v[64:65], v[46:47]
	v_fma_f64 v[86:87], -v[64:65], v[48:49], v[88:89]
	v_fmac_f64_e32 v[14:15], v[62:63], v[48:49]
	global_load_dwordx4 v[62:65], v[84:85], off
	v_fmac_f64_e32 v[82:83], v[58:59], v[46:47]
	v_fmac_f64_e32 v[16:17], v[60:61], v[46:47]
	v_fma_f64 v[82:83], -v[60:61], v[48:49], v[82:83]
	v_fmac_f64_e32 v[16:17], v[58:59], v[48:49]
	global_load_dwordx4 v[46:49], v[84:85], off offset:16
	v_lshl_add_u64 v[84:85], v[26:27], 4, s[8:9]
	global_load_dwordx4 v[58:61], v[84:85], off
	s_waitcnt vmcnt(7)
	v_fmac_f64_e32 v[86:87], v[54:55], v[20:21]
	v_fmac_f64_e32 v[14:15], v[56:57], v[20:21]
	v_fma_f64 v[86:87], -v[56:57], v[22:23], v[86:87]
	v_fmac_f64_e32 v[14:15], v[54:55], v[22:23]
	global_load_dwordx4 v[54:57], v[84:85], off offset:16
	v_add_u32_e32 v26, -8, v24
	v_lshl_add_u64 v[88:89], v[26:27], 4, s[8:9]
	v_add_u32_e32 v26, -6, v24
	v_fmac_f64_e32 v[82:83], v[50:51], v[20:21]
	v_fmac_f64_e32 v[16:17], v[52:53], v[20:21]
	s_waitcnt vmcnt(7)
	v_fmac_f64_e32 v[86:87], v[74:75], v[42:43]
	v_fmac_f64_e32 v[14:15], v[76:77], v[42:43]
	v_lshl_add_u64 v[90:91], v[26:27], 4, s[8:9]
	v_add_u32_e32 v26, 8, v30
	v_fma_f64 v[30:31], -v[52:53], v[22:23], v[82:83]
	v_fmac_f64_e32 v[16:17], v[50:51], v[22:23]
	global_load_dwordx4 v[20:23], v[88:89], off
	global_load_dwordx4 v[50:53], v[88:89], off offset:16
	v_fma_f64 v[86:87], -v[76:77], v[44:45], v[86:87]
	v_fmac_f64_e32 v[14:15], v[74:75], v[44:45]
	v_fmac_f64_e32 v[30:31], v[70:71], v[42:43]
	;; [unrolled: 1-line block ×3, first 2 shown]
	v_lshl_add_u64 v[88:89], v[26:27], 4, s[10:11]
	global_load_dwordx4 v[74:77], v[90:91], off offset:16
	global_load_dwordx4 v[82:85], v[90:91], off
	v_fma_f64 v[30:31], -v[72:73], v[44:45], v[30:31]
	v_fmac_f64_e32 v[16:17], v[70:71], v[44:45]
	v_add_u32_e32 v26, -4, v24
	v_lshl_add_u64 v[72:73], v[26:27], 4, s[8:9]
	v_add_u32_e32 v26, -2, v24
	global_load_dwordx4 v[42:45], v[88:89], off offset:32
	v_lshl_add_u64 v[90:91], v[26:27], 4, s[8:9]
	v_add_u32_e32 v24, 0xc0, v24
	s_waitcnt vmcnt(8)
	v_fmac_f64_e32 v[86:87], v[62:63], v[38:39]
	v_fmac_f64_e32 v[14:15], v[64:65], v[38:39]
	v_fma_f64 v[70:71], -v[64:65], v[40:41], v[86:87]
	v_fmac_f64_e32 v[14:15], v[62:63], v[40:41]
	global_load_dwordx4 v[62:65], v[88:89], off
	s_waitcnt vmcnt(8)
	v_fmac_f64_e32 v[30:31], v[46:47], v[38:39]
	v_fmac_f64_e32 v[16:17], v[48:49], v[38:39]
	s_waitcnt vmcnt(7)
	v_fmac_f64_e32 v[70:71], v[58:59], v[78:79]
	v_fmac_f64_e32 v[14:15], v[60:61], v[78:79]
	v_fma_f64 v[30:31], -v[48:49], v[40:41], v[30:31]
	v_fmac_f64_e32 v[16:17], v[46:47], v[40:41]
	global_load_dwordx4 v[38:41], v[88:89], off offset:16
	global_load_dwordx4 v[46:49], v[72:73], off
	v_fma_f64 v[86:87], -v[60:61], v[80:81], v[70:71]
	v_fmac_f64_e32 v[14:15], v[58:59], v[80:81]
	global_load_dwordx4 v[58:61], v[72:73], off offset:16
	s_waitcnt vmcnt(9)
	v_fmac_f64_e32 v[30:31], v[54:55], v[78:79]
	v_fmac_f64_e32 v[16:17], v[56:57], v[78:79]
	v_fma_f64 v[30:31], -v[56:57], v[80:81], v[30:31]
	v_fmac_f64_e32 v[16:17], v[54:55], v[80:81]
	global_load_dwordx4 v[54:57], v[90:91], off
	global_load_dwordx4 v[70:73], v[90:91], off offset:16
	global_load_dwordx4 v[78:81], v[88:89], off offset:48
	s_waitcnt vmcnt(11)
	v_fmac_f64_e32 v[86:87], v[20:21], v[34:35]
	v_fmac_f64_e32 v[14:15], v[22:23], v[34:35]
	s_waitcnt vmcnt(10)
	v_fmac_f64_e32 v[30:31], v[50:51], v[34:35]
	v_fmac_f64_e32 v[16:17], v[52:53], v[34:35]
	v_fma_f64 v[22:23], -v[22:23], v[36:37], v[86:87]
	v_fmac_f64_e32 v[14:15], v[20:21], v[36:37]
	v_fma_f64 v[20:21], -v[52:53], v[36:37], v[30:31]
	v_fmac_f64_e32 v[16:17], v[50:51], v[36:37]
	s_waitcnt vmcnt(6)
	v_fmac_f64_e32 v[22:23], v[82:83], v[62:63]
	v_fmac_f64_e32 v[14:15], v[84:85], v[62:63]
	v_fmac_f64_e32 v[20:21], v[74:75], v[62:63]
	v_fmac_f64_e32 v[16:17], v[76:77], v[62:63]
	v_fma_f64 v[22:23], -v[84:85], v[64:65], v[22:23]
	v_fmac_f64_e32 v[14:15], v[82:83], v[64:65]
	v_fma_f64 v[20:21], -v[76:77], v[64:65], v[20:21]
	v_fmac_f64_e32 v[16:17], v[74:75], v[64:65]
	s_waitcnt vmcnt(4)
	v_fmac_f64_e32 v[22:23], v[46:47], v[38:39]
	v_fmac_f64_e32 v[14:15], v[48:49], v[38:39]
	v_fma_f64 v[22:23], -v[48:49], v[40:41], v[22:23]
	s_waitcnt vmcnt(3)
	v_fmac_f64_e32 v[20:21], v[58:59], v[38:39]
	v_fmac_f64_e32 v[16:17], v[60:61], v[38:39]
	;; [unrolled: 1-line block ×3, first 2 shown]
	v_fma_f64 v[20:21], -v[60:61], v[40:41], v[20:21]
	v_fmac_f64_e32 v[16:17], v[58:59], v[40:41]
	s_waitcnt vmcnt(2)
	v_fmac_f64_e32 v[22:23], v[54:55], v[42:43]
	v_fmac_f64_e32 v[14:15], v[56:57], v[42:43]
	s_waitcnt vmcnt(1)
	v_fmac_f64_e32 v[20:21], v[70:71], v[42:43]
	v_fmac_f64_e32 v[16:17], v[72:73], v[42:43]
	v_fma_f64 v[22:23], -v[56:57], v[44:45], v[22:23]
	v_fmac_f64_e32 v[14:15], v[54:55], v[44:45]
	v_fma_f64 v[20:21], -v[72:73], v[44:45], v[20:21]
	v_fmac_f64_e32 v[16:17], v[70:71], v[44:45]
	s_waitcnt vmcnt(0)
	v_fmac_f64_e32 v[22:23], v[0:1], v[78:79]
	v_fmac_f64_e32 v[14:15], v[2:3], v[78:79]
	;; [unrolled: 1-line block ×4, first 2 shown]
	v_fma_f64 v[22:23], -v[2:3], v[80:81], v[22:23]
	v_fmac_f64_e32 v[14:15], v[0:1], v[80:81]
	v_fma_f64 v[20:21], -v[68:69], v[80:81], v[20:21]
	v_fmac_f64_e32 v[16:17], v[66:67], v[80:81]
	s_andn2_b64 exec, exec, s[14:15]
	s_cbranch_execnz .LBB279_11
; %bb.12:
	s_or_b64 exec, exec, s[14:15]
.LBB279_13:
	s_or_b64 exec, exec, s[12:13]
	s_andn2_b64 vcc, exec, s[4:5]
	s_cbranch_vccz .LBB279_15
	s_branch .LBB279_20
.LBB279_14:
                                        ; implicit-def: $vgpr14_vgpr15
                                        ; implicit-def: $vgpr22_vgpr23
                                        ; implicit-def: $vgpr20_vgpr21
                                        ; implicit-def: $vgpr16_vgpr17
.LBB279_15:
	v_mov_b64_e32 v[14:15], 0
	v_mov_b64_e32 v[22:23], v[14:15]
	;; [unrolled: 1-line block ×4, first 2 shown]
	s_and_saveexec_b64 s[4:5], s[0:1]
	s_cbranch_execz .LBB279_19
; %bb.16:
	v_mad_u64_u32 v[0:1], s[0:1], v18, 24, 23
	v_mov_b64_e32 v[14:15], 0
	s_mov_b64 s[0:1], 0
	v_mov_b32_e32 v3, 0
	v_mov_b64_e32 v[22:23], v[14:15]
	v_mov_b64_e32 v[20:21], v[14:15]
	;; [unrolled: 1-line block ×3, first 2 shown]
.LBB279_17:                             ; =>This Inner Loop Header: Depth=1
	v_ashrrev_i32_e32 v19, 31, v18
	v_subrev_u32_e32 v2, 23, v0
	v_add_u32_e32 v26, -11, v0
	v_mov_b32_e32 v27, v3
	v_mov_b32_e32 v1, v3
	v_lshl_add_u64 v[30:31], v[18:19], 2, s[6:7]
	v_lshl_add_u64 v[66:67], v[2:3], 4, s[8:9]
	;; [unrolled: 1-line block ×4, first 2 shown]
	global_load_dword v1, v[30:31], off
	global_load_dwordx4 v[26:29], v[66:67], off offset:48
	global_load_dwordx4 v[34:37], v[66:67], off offset:32
	;; [unrolled: 1-line block ×3, first 2 shown]
	global_load_dwordx4 v[42:45], v[66:67], off
	global_load_dwordx4 v[46:49], v[50:51], off
	v_mov_b32_e32 v25, v3
	global_load_dwordx4 v[50:53], v[66:67], off offset:112
	global_load_dwordx4 v[54:57], v[66:67], off offset:96
	;; [unrolled: 1-line block ×4, first 2 shown]
	v_add_u32_e32 v2, -10, v0
	v_lshl_add_u64 v[30:31], v[2:3], 4, s[8:9]
	v_add_u32_e32 v2, -9, v0
	v_add_u32_e32 v18, 8, v18
	v_cmp_ge_i32_e32 vcc, v18, v32
	s_or_b64 s[0:1], vcc, s[0:1]
	s_waitcnt vmcnt(9)
	v_subrev_u32_e32 v1, s16, v1
	v_mul_lo_u32 v24, v1, 12
	v_lshl_add_u64 v[80:81], v[24:25], 4, s[10:11]
	global_load_dwordx4 v[66:69], v[80:81], off
	global_load_dwordx4 v[70:73], v[80:81], off offset:16
	s_waitcnt vmcnt(1)
	v_fmac_f64_e32 v[22:23], v[42:43], v[66:67]
	v_fmac_f64_e32 v[14:15], v[44:45], v[66:67]
	v_fma_f64 v[82:83], -v[44:45], v[68:69], v[22:23]
	v_fmac_f64_e32 v[14:15], v[42:43], v[68:69]
	global_load_dwordx4 v[42:45], v[78:79], off
	global_load_dwordx4 v[74:77], v[30:31], off
	v_fmac_f64_e32 v[20:21], v[46:47], v[66:67]
	v_fmac_f64_e32 v[16:17], v[48:49], v[66:67]
	v_lshl_add_u64 v[66:67], v[2:3], 4, s[8:9]
	v_add_u32_e32 v2, -8, v0
	s_waitcnt vmcnt(2)
	v_fmac_f64_e32 v[82:83], v[38:39], v[70:71]
	v_fmac_f64_e32 v[14:15], v[40:41], v[70:71]
	v_fma_f64 v[30:31], -v[48:49], v[68:69], v[20:21]
	v_fmac_f64_e32 v[16:17], v[46:47], v[68:69]
	v_lshl_add_u64 v[68:69], v[2:3], 4, s[8:9]
	global_load_dwordx4 v[20:23], v[66:67], off
	global_load_dwordx4 v[46:49], v[68:69], off
	v_fma_f64 v[78:79], -v[40:41], v[72:73], v[82:83]
	v_fmac_f64_e32 v[14:15], v[38:39], v[72:73]
	global_load_dwordx4 v[38:41], v[80:81], off offset:32
	global_load_dwordx4 v[66:69], v[80:81], off offset:48
	v_add_u32_e32 v2, 4, v24
	s_waitcnt vmcnt(4)
	v_fmac_f64_e32 v[16:17], v[76:77], v[70:71]
	v_fmac_f64_e32 v[30:31], v[74:75], v[70:71]
	;; [unrolled: 1-line block ×3, first 2 shown]
	v_lshl_add_u64 v[74:75], v[2:3], 4, s[10:11]
	v_fma_f64 v[30:31], -v[76:77], v[72:73], v[30:31]
	global_load_dwordx4 v[70:73], v[74:75], off
	v_add_u32_e32 v2, -7, v0
	s_waitcnt vmcnt(2)
	v_fmac_f64_e32 v[78:79], v[34:35], v[38:39]
	v_fmac_f64_e32 v[14:15], v[36:37], v[38:39]
	v_fma_f64 v[76:77], -v[36:37], v[40:41], v[78:79]
	v_fmac_f64_e32 v[14:15], v[34:35], v[40:41]
	global_load_dwordx4 v[34:37], v[74:75], off offset:16
	v_fmac_f64_e32 v[30:31], v[20:21], v[38:39]
	v_fmac_f64_e32 v[16:17], v[22:23], v[38:39]
	v_fma_f64 v[30:31], -v[22:23], v[40:41], v[30:31]
	v_fmac_f64_e32 v[16:17], v[20:21], v[40:41]
	global_load_dwordx4 v[20:23], v[74:75], off offset:48
	global_load_dwordx4 v[38:41], v[74:75], off offset:32
	v_lshl_add_u64 v[74:75], v[2:3], 4, s[8:9]
	s_waitcnt vmcnt(4)
	v_fmac_f64_e32 v[76:77], v[26:27], v[66:67]
	v_fmac_f64_e32 v[14:15], v[28:29], v[66:67]
	v_add_u32_e32 v2, -6, v0
	v_fma_f64 v[76:77], -v[28:29], v[68:69], v[76:77]
	v_fmac_f64_e32 v[14:15], v[26:27], v[68:69]
	global_load_dwordx4 v[26:29], v[74:75], off
	v_lshl_add_u64 v[74:75], v[2:3], 4, s[8:9]
	v_fmac_f64_e32 v[30:31], v[46:47], v[66:67]
	v_fmac_f64_e32 v[16:17], v[48:49], v[66:67]
	v_fma_f64 v[30:31], -v[48:49], v[68:69], v[30:31]
	v_fmac_f64_e32 v[16:17], v[46:47], v[68:69]
	global_load_dwordx4 v[46:49], v[74:75], off
	v_add_u32_e32 v2, -5, v0
	v_lshl_add_u64 v[66:67], v[2:3], 4, s[8:9]
	global_load_dwordx4 v[66:69], v[66:67], off
	v_add_u32_e32 v2, -4, v0
	v_lshl_add_u64 v[74:75], v[2:3], 4, s[8:9]
	v_add_u32_e32 v2, -15, v0
	s_waitcnt vmcnt(6)
	v_fmac_f64_e32 v[76:77], v[62:63], v[70:71]
	v_fmac_f64_e32 v[14:15], v[64:65], v[70:71]
	v_fma_f64 v[78:79], -v[64:65], v[72:73], v[76:77]
	v_fmac_f64_e32 v[14:15], v[62:63], v[72:73]
	global_load_dwordx4 v[62:65], v[74:75], off
	v_lshl_add_u64 v[74:75], v[2:3], 4, s[8:9]
	v_add_u32_e32 v2, 8, v24
	global_load_dwordx4 v[74:77], v[74:75], off
	s_waitcnt vmcnt(7)
	v_fmac_f64_e32 v[78:79], v[58:59], v[34:35]
	v_fmac_f64_e32 v[14:15], v[60:61], v[34:35]
	v_fma_f64 v[60:61], -v[60:61], v[36:37], v[78:79]
	v_fmac_f64_e32 v[14:15], v[58:59], v[36:37]
	s_waitcnt vmcnt(5)
	v_fmac_f64_e32 v[60:61], v[54:55], v[38:39]
	v_fmac_f64_e32 v[14:15], v[56:57], v[38:39]
	v_fma_f64 v[80:81], -v[56:57], v[40:41], v[60:61]
	v_fmac_f64_e32 v[14:15], v[54:55], v[40:41]
	v_fmac_f64_e32 v[14:15], v[52:53], v[20:21]
	;; [unrolled: 1-line block ×4, first 2 shown]
	s_waitcnt vmcnt(4)
	v_fmac_f64_e32 v[30:31], v[26:27], v[70:71]
	v_fmac_f64_e32 v[16:17], v[28:29], v[70:71]
	v_fma_f64 v[70:71], -v[28:29], v[72:73], v[30:31]
	v_fmac_f64_e32 v[16:17], v[26:27], v[72:73]
	v_lshl_add_u64 v[72:73], v[2:3], 4, s[10:11]
	v_add_u32_e32 v2, -3, v0
	s_waitcnt vmcnt(3)
	v_fmac_f64_e32 v[70:71], v[46:47], v[34:35]
	v_fmac_f64_e32 v[16:17], v[48:49], v[34:35]
	global_load_dwordx4 v[24:27], v[72:73], off
	global_load_dwordx4 v[28:31], v[72:73], off offset:16
	v_fma_f64 v[70:71], -v[48:49], v[36:37], v[70:71]
	v_fmac_f64_e32 v[16:17], v[46:47], v[36:37]
	global_load_dwordx4 v[34:37], v[72:73], off offset:48
	global_load_dwordx4 v[46:49], v[72:73], off offset:32
	v_lshl_add_u64 v[72:73], v[2:3], 4, s[8:9]
	v_add_u32_e32 v2, -14, v0
	v_lshl_add_u64 v[78:79], v[2:3], 4, s[8:9]
	v_add_u32_e32 v2, -2, v0
	global_load_dwordx4 v[54:57], v[72:73], off
	global_load_dwordx4 v[58:61], v[78:79], off
	v_lshl_add_u64 v[72:73], v[2:3], 4, s[8:9]
	v_add_u32_e32 v2, -13, v0
	s_waitcnt vmcnt(8)
	v_fmac_f64_e32 v[70:71], v[66:67], v[38:39]
	v_fmac_f64_e32 v[16:17], v[68:69], v[38:39]
	v_lshl_add_u64 v[78:79], v[2:3], 4, s[8:9]
	v_add_u32_e32 v2, -1, v0
	v_fma_f64 v[70:71], -v[68:69], v[40:41], v[70:71]
	v_fmac_f64_e32 v[16:17], v[66:67], v[40:41]
	global_load_dwordx4 v[38:41], v[72:73], off
	global_load_dwordx4 v[66:69], v[78:79], off
	v_lshl_add_u64 v[50:51], v[2:3], 4, s[8:9]
	v_fma_f64 v[72:73], -v[52:53], v[22:23], v[80:81]
	v_add_u32_e32 v2, -12, v0
	global_load_dwordx4 v[50:53], v[50:51], off
	v_add_u32_e32 v0, 0xc0, v0
	s_waitcnt vmcnt(10)
	v_fmac_f64_e32 v[70:71], v[62:63], v[20:21]
	v_fmac_f64_e32 v[16:17], v[64:65], v[20:21]
	v_lshl_add_u64 v[20:21], v[2:3], 4, s[8:9]
	v_fma_f64 v[64:65], -v[64:65], v[22:23], v[70:71]
	v_fmac_f64_e32 v[16:17], v[62:63], v[22:23]
	global_load_dwordx4 v[20:23], v[20:21], off
	s_waitcnt vmcnt(9)
	v_fmac_f64_e32 v[72:73], v[74:75], v[24:25]
	v_fmac_f64_e32 v[14:15], v[76:77], v[24:25]
	;; [unrolled: 1-line block ×3, first 2 shown]
	s_waitcnt vmcnt(5)
	v_fmac_f64_e32 v[64:65], v[54:55], v[24:25]
	v_fmac_f64_e32 v[16:17], v[56:57], v[24:25]
	v_fma_f64 v[24:25], -v[76:77], v[26:27], v[72:73]
	v_fma_f64 v[56:57], -v[56:57], v[26:27], v[64:65]
	v_fmac_f64_e32 v[16:17], v[54:55], v[26:27]
	s_waitcnt vmcnt(4)
	v_fmac_f64_e32 v[24:25], v[58:59], v[28:29]
	v_fmac_f64_e32 v[14:15], v[60:61], v[28:29]
	v_fma_f64 v[24:25], -v[60:61], v[30:31], v[24:25]
	v_fmac_f64_e32 v[14:15], v[58:59], v[30:31]
	s_waitcnt vmcnt(3)
	v_fmac_f64_e32 v[56:57], v[38:39], v[28:29]
	v_fmac_f64_e32 v[16:17], v[40:41], v[28:29]
	v_fma_f64 v[26:27], -v[40:41], v[30:31], v[56:57]
	v_fmac_f64_e32 v[16:17], v[38:39], v[30:31]
	s_waitcnt vmcnt(2)
	v_fmac_f64_e32 v[24:25], v[66:67], v[46:47]
	v_fmac_f64_e32 v[14:15], v[68:69], v[46:47]
	s_waitcnt vmcnt(1)
	v_fmac_f64_e32 v[26:27], v[50:51], v[46:47]
	v_fmac_f64_e32 v[16:17], v[52:53], v[46:47]
	v_fma_f64 v[24:25], -v[68:69], v[48:49], v[24:25]
	v_fmac_f64_e32 v[14:15], v[66:67], v[48:49]
	v_fma_f64 v[26:27], -v[52:53], v[48:49], v[26:27]
	v_fmac_f64_e32 v[16:17], v[50:51], v[48:49]
	v_fmac_f64_e32 v[26:27], v[42:43], v[34:35]
	;; [unrolled: 1-line block ×4, first 2 shown]
	s_waitcnt vmcnt(0)
	v_fmac_f64_e32 v[24:25], v[20:21], v[34:35]
	v_fmac_f64_e32 v[14:15], v[22:23], v[34:35]
	v_fma_f64 v[22:23], -v[22:23], v[36:37], v[24:25]
	v_fmac_f64_e32 v[14:15], v[20:21], v[36:37]
	v_fma_f64 v[20:21], -v[44:45], v[36:37], v[26:27]
	s_andn2_b64 exec, exec, s[0:1]
	s_cbranch_execnz .LBB279_17
; %bb.18:
	s_or_b64 exec, exec, s[0:1]
.LBB279_19:
	s_or_b64 exec, exec, s[4:5]
.LBB279_20:
	v_mov_b32_dpp v18, v14 row_shr:1 row_mask:0xf bank_mask:0xf
	v_mov_b32_dpp v19, v15 row_shr:1 row_mask:0xf bank_mask:0xf
	v_add_f64 v[14:15], v[14:15], v[18:19]
	v_mov_b32_dpp v0, v22 row_shr:1 row_mask:0xf bank_mask:0xf
	v_mov_b32_dpp v1, v23 row_shr:1 row_mask:0xf bank_mask:0xf
	;; [unrolled: 1-line block ×4, first 2 shown]
	v_add_f64 v[18:19], v[14:15], v[18:19]
	v_mov_b32_dpp v14, v20 row_shr:1 row_mask:0xf bank_mask:0xf
	v_mov_b32_dpp v15, v21 row_shr:1 row_mask:0xf bank_mask:0xf
	v_add_f64 v[14:15], v[20:21], v[14:15]
	v_add_f64 v[0:1], v[22:23], v[0:1]
	v_mov_b32_dpp v22, v18 row_shr:4 row_mask:0xf bank_mask:0xe
	v_mov_b32_dpp v20, v14 row_shr:2 row_mask:0xf bank_mask:0xf
	;; [unrolled: 1-line block ×3, first 2 shown]
	v_add_f64 v[20:21], v[14:15], v[20:21]
	v_mov_b32_dpp v14, v16 row_shr:1 row_mask:0xf bank_mask:0xf
	v_mov_b32_dpp v15, v17 row_shr:1 row_mask:0xf bank_mask:0xf
	v_add_f64 v[14:15], v[16:17], v[14:15]
	v_mov_b32_dpp v2, v0 row_shr:2 row_mask:0xf bank_mask:0xf
	v_mov_b32_dpp v3, v1 row_shr:2 row_mask:0xf bank_mask:0xf
	;; [unrolled: 1-line block ×4, first 2 shown]
	v_add_f64 v[0:1], v[0:1], v[2:3]
	v_add_f64 v[26:27], v[14:15], v[16:17]
	v_mov_b32_dpp v23, v19 row_shr:4 row_mask:0xf bank_mask:0xe
	v_mov_b32_dpp v2, v0 row_shr:4 row_mask:0xf bank_mask:0xe
	;; [unrolled: 1-line block ×7, first 2 shown]
	v_cmp_eq_u32_e32 vcc, 7, v13
	s_and_b64 exec, exec, vcc
	s_cbranch_execz .LBB279_25
; %bb.21:
	s_load_dwordx2 s[2:3], s[2:3], 0x48
	v_cmp_eq_f64_e32 vcc, 0, v[8:9]
	v_cmp_eq_f64_e64 s[0:1], 0, v[10:11]
	v_add_f64 v[14:15], v[0:1], v[2:3]
	v_add_f64 v[16:17], v[18:19], v[22:23]
	;; [unrolled: 1-line block ×4, first 2 shown]
	s_and_b64 s[0:1], vcc, s[0:1]
	s_and_saveexec_b64 s[4:5], s[0:1]
	s_xor_b64 s[0:1], exec, s[4:5]
	s_cbranch_execz .LBB279_23
; %bb.22:
	v_lshlrev_b32_e32 v12, 1, v12
	v_mul_f64 v[8:9], v[16:17], -v[6:7]
	v_mul_f64 v[10:11], v[4:5], v[16:17]
	v_ashrrev_i32_e32 v13, 31, v12
	v_fmac_f64_e32 v[8:9], v[4:5], v[14:15]
	v_fmac_f64_e32 v[10:11], v[6:7], v[14:15]
	s_waitcnt lgkmcnt(0)
	v_lshl_add_u64 v[12:13], v[12:13], 4, s[2:3]
	global_store_dwordx4 v[12:13], v[8:11], off
                                        ; implicit-def: $vgpr14_vgpr15
                                        ; implicit-def: $vgpr16_vgpr17
	s_nop 1
	v_mul_f64 v[8:9], v[2:3], -v[6:7]
	v_mul_f64 v[10:11], v[4:5], v[2:3]
	v_fmac_f64_e32 v[8:9], v[4:5], v[0:1]
	v_fmac_f64_e32 v[10:11], v[6:7], v[0:1]
	global_store_dwordx4 v[12:13], v[8:11], off offset:16
                                        ; implicit-def: $vgpr4_vgpr5
                                        ; implicit-def: $vgpr6_vgpr7
                                        ; implicit-def: $vgpr8_vgpr9
                                        ; implicit-def: $vgpr10_vgpr11
                                        ; implicit-def: $vgpr12
                                        ; implicit-def: $vgpr0_vgpr1
                                        ; implicit-def: $vgpr2_vgpr3
.LBB279_23:
	s_andn2_saveexec_b64 s[0:1], s[0:1]
	s_cbranch_execz .LBB279_25
; %bb.24:
	v_lshlrev_b32_e32 v12, 1, v12
	v_ashrrev_i32_e32 v13, 31, v12
	s_waitcnt lgkmcnt(0)
	v_lshl_add_u64 v[12:13], v[12:13], 4, s[2:3]
	global_load_dwordx4 v[18:21], v[12:13], off
	global_load_dwordx4 v[22:25], v[12:13], off offset:16
	v_mul_f64 v[26:27], v[16:17], -v[6:7]
	v_mul_f64 v[16:17], v[4:5], v[16:17]
	v_mul_f64 v[28:29], v[2:3], -v[6:7]
	v_mul_f64 v[2:3], v[4:5], v[2:3]
	v_fmac_f64_e32 v[26:27], v[4:5], v[14:15]
	v_fmac_f64_e32 v[16:17], v[6:7], v[14:15]
	v_fmac_f64_e32 v[28:29], v[4:5], v[0:1]
	v_fmac_f64_e32 v[2:3], v[6:7], v[0:1]
	s_waitcnt vmcnt(1)
	v_fmac_f64_e32 v[26:27], v[8:9], v[18:19]
	v_fmac_f64_e32 v[16:17], v[10:11], v[18:19]
	s_waitcnt vmcnt(0)
	v_fmac_f64_e32 v[28:29], v[8:9], v[22:23]
	v_fmac_f64_e32 v[2:3], v[10:11], v[22:23]
	v_fma_f64 v[14:15], -v[10:11], v[20:21], v[26:27]
	v_fmac_f64_e32 v[16:17], v[8:9], v[20:21]
	v_fma_f64 v[0:1], -v[10:11], v[24:25], v[28:29]
	v_fmac_f64_e32 v[2:3], v[8:9], v[24:25]
	global_store_dwordx4 v[12:13], v[14:17], off
	global_store_dwordx4 v[12:13], v[0:3], off offset:16
.LBB279_25:
	s_endpgm
	.section	.rodata,"a",@progbits
	.p2align	6, 0x0
	.amdhsa_kernel _ZN9rocsparseL19gebsrmvn_2xn_kernelILj128ELj12ELj8E21rocsparse_complex_numIdEEEvi20rocsparse_direction_NS_24const_host_device_scalarIT2_EEPKiS8_PKS5_SA_S6_PS5_21rocsparse_index_base_b
		.amdhsa_group_segment_fixed_size 2048
		.amdhsa_private_segment_fixed_size 0
		.amdhsa_kernarg_size 88
		.amdhsa_user_sgpr_count 4
		.amdhsa_user_sgpr_dispatch_ptr 1
		.amdhsa_user_sgpr_queue_ptr 0
		.amdhsa_user_sgpr_kernarg_segment_ptr 1
		.amdhsa_user_sgpr_dispatch_id 0
		.amdhsa_user_sgpr_kernarg_preload_length 0
		.amdhsa_user_sgpr_kernarg_preload_offset 0
		.amdhsa_user_sgpr_private_segment_size 0
		.amdhsa_uses_dynamic_stack 0
		.amdhsa_enable_private_segment 0
		.amdhsa_system_sgpr_workgroup_id_x 1
		.amdhsa_system_sgpr_workgroup_id_y 0
		.amdhsa_system_sgpr_workgroup_id_z 0
		.amdhsa_system_sgpr_workgroup_info 0
		.amdhsa_system_vgpr_workitem_id 2
		.amdhsa_next_free_vgpr 92
		.amdhsa_next_free_sgpr 20
		.amdhsa_accum_offset 92
		.amdhsa_reserve_vcc 1
		.amdhsa_float_round_mode_32 0
		.amdhsa_float_round_mode_16_64 0
		.amdhsa_float_denorm_mode_32 3
		.amdhsa_float_denorm_mode_16_64 3
		.amdhsa_dx10_clamp 1
		.amdhsa_ieee_mode 1
		.amdhsa_fp16_overflow 0
		.amdhsa_tg_split 0
		.amdhsa_exception_fp_ieee_invalid_op 0
		.amdhsa_exception_fp_denorm_src 0
		.amdhsa_exception_fp_ieee_div_zero 0
		.amdhsa_exception_fp_ieee_overflow 0
		.amdhsa_exception_fp_ieee_underflow 0
		.amdhsa_exception_fp_ieee_inexact 0
		.amdhsa_exception_int_div_zero 0
	.end_amdhsa_kernel
	.section	.text._ZN9rocsparseL19gebsrmvn_2xn_kernelILj128ELj12ELj8E21rocsparse_complex_numIdEEEvi20rocsparse_direction_NS_24const_host_device_scalarIT2_EEPKiS8_PKS5_SA_S6_PS5_21rocsparse_index_base_b,"axG",@progbits,_ZN9rocsparseL19gebsrmvn_2xn_kernelILj128ELj12ELj8E21rocsparse_complex_numIdEEEvi20rocsparse_direction_NS_24const_host_device_scalarIT2_EEPKiS8_PKS5_SA_S6_PS5_21rocsparse_index_base_b,comdat
.Lfunc_end279:
	.size	_ZN9rocsparseL19gebsrmvn_2xn_kernelILj128ELj12ELj8E21rocsparse_complex_numIdEEEvi20rocsparse_direction_NS_24const_host_device_scalarIT2_EEPKiS8_PKS5_SA_S6_PS5_21rocsparse_index_base_b, .Lfunc_end279-_ZN9rocsparseL19gebsrmvn_2xn_kernelILj128ELj12ELj8E21rocsparse_complex_numIdEEEvi20rocsparse_direction_NS_24const_host_device_scalarIT2_EEPKiS8_PKS5_SA_S6_PS5_21rocsparse_index_base_b
                                        ; -- End function
	.section	.AMDGPU.csdata,"",@progbits
; Kernel info:
; codeLenInByte = 3328
; NumSgprs: 26
; NumVgprs: 92
; NumAgprs: 0
; TotalNumVgprs: 92
; ScratchSize: 0
; MemoryBound: 1
; FloatMode: 240
; IeeeMode: 1
; LDSByteSize: 2048 bytes/workgroup (compile time only)
; SGPRBlocks: 3
; VGPRBlocks: 11
; NumSGPRsForWavesPerEU: 26
; NumVGPRsForWavesPerEU: 92
; AccumOffset: 92
; Occupancy: 5
; WaveLimiterHint : 1
; COMPUTE_PGM_RSRC2:SCRATCH_EN: 0
; COMPUTE_PGM_RSRC2:USER_SGPR: 4
; COMPUTE_PGM_RSRC2:TRAP_HANDLER: 0
; COMPUTE_PGM_RSRC2:TGID_X_EN: 1
; COMPUTE_PGM_RSRC2:TGID_Y_EN: 0
; COMPUTE_PGM_RSRC2:TGID_Z_EN: 0
; COMPUTE_PGM_RSRC2:TIDIG_COMP_CNT: 2
; COMPUTE_PGM_RSRC3_GFX90A:ACCUM_OFFSET: 22
; COMPUTE_PGM_RSRC3_GFX90A:TG_SPLIT: 0
	.section	.text._ZN9rocsparseL19gebsrmvn_2xn_kernelILj128ELj12ELj16E21rocsparse_complex_numIdEEEvi20rocsparse_direction_NS_24const_host_device_scalarIT2_EEPKiS8_PKS5_SA_S6_PS5_21rocsparse_index_base_b,"axG",@progbits,_ZN9rocsparseL19gebsrmvn_2xn_kernelILj128ELj12ELj16E21rocsparse_complex_numIdEEEvi20rocsparse_direction_NS_24const_host_device_scalarIT2_EEPKiS8_PKS5_SA_S6_PS5_21rocsparse_index_base_b,comdat
	.globl	_ZN9rocsparseL19gebsrmvn_2xn_kernelILj128ELj12ELj16E21rocsparse_complex_numIdEEEvi20rocsparse_direction_NS_24const_host_device_scalarIT2_EEPKiS8_PKS5_SA_S6_PS5_21rocsparse_index_base_b ; -- Begin function _ZN9rocsparseL19gebsrmvn_2xn_kernelILj128ELj12ELj16E21rocsparse_complex_numIdEEEvi20rocsparse_direction_NS_24const_host_device_scalarIT2_EEPKiS8_PKS5_SA_S6_PS5_21rocsparse_index_base_b
	.p2align	8
	.type	_ZN9rocsparseL19gebsrmvn_2xn_kernelILj128ELj12ELj16E21rocsparse_complex_numIdEEEvi20rocsparse_direction_NS_24const_host_device_scalarIT2_EEPKiS8_PKS5_SA_S6_PS5_21rocsparse_index_base_b,@function
_ZN9rocsparseL19gebsrmvn_2xn_kernelILj128ELj12ELj16E21rocsparse_complex_numIdEEEvi20rocsparse_direction_NS_24const_host_device_scalarIT2_EEPKiS8_PKS5_SA_S6_PS5_21rocsparse_index_base_b: ; @_ZN9rocsparseL19gebsrmvn_2xn_kernelILj128ELj12ELj16E21rocsparse_complex_numIdEEEvi20rocsparse_direction_NS_24const_host_device_scalarIT2_EEPKiS8_PKS5_SA_S6_PS5_21rocsparse_index_base_b
; %bb.0:
	s_load_dwordx2 s[16:17], s[2:3], 0x50
	s_load_dwordx4 s[12:15], s[2:3], 0x8
	s_load_dwordx4 s[8:11], s[2:3], 0x38
	s_load_dwordx2 s[18:19], s[0:1], 0x4
	s_mov_b64 s[6:7], src_shared_base
	s_waitcnt lgkmcnt(0)
	s_bitcmp1_b32 s17, 0
	s_cselect_b64 s[0:1], -1, 0
	s_and_b64 vcc, s[0:1], exec
	s_cselect_b32 s5, s7, s13
	s_lshr_b32 s6, s18, 16
	v_bfe_u32 v2, v0, 10, 10
	v_and_b32_e32 v1, 0x3ff, v0
	s_mul_i32 s6, s6, s19
	v_mul_u32_u24_e32 v2, s19, v2
	v_mad_u32_u24 v2, s6, v1, v2
	v_bfe_u32 v0, v0, 20, 10
	v_add_lshl_u32 v0, v2, v0, 3
	v_mov_b32_e32 v6, s12
	v_add_u32_e32 v7, 0x400, v0
	v_mov_b64_e32 v[2:3], s[12:13]
	v_mov_b64_e32 v[4:5], s[8:9]
	ds_write2st64_b64 v0, v[4:5], v[2:3] offset1:2
	v_cndmask_b32_e64 v2, v6, v7, s[0:1]
	v_mov_b32_e32 v3, s5
	flat_load_dwordx2 v[4:5], v[2:3]
	s_xor_b64 s[18:19], s[0:1], -1
	v_mov_b64_e32 v[6:7], s[14:15]
	s_cbranch_vccnz .LBB280_2
; %bb.1:
	v_mov_b64_e32 v[2:3], s[12:13]
	flat_load_dwordx2 v[6:7], v[2:3] offset:8
.LBB280_2:
	s_and_b64 s[12:13], s[0:1], exec
	s_cselect_b32 s5, s7, s9
	v_mov_b32_e32 v2, s8
	v_cndmask_b32_e64 v2, v2, v0, s[0:1]
	v_mov_b32_e32 v3, s5
	flat_load_dwordx2 v[8:9], v[2:3]
	s_andn2_b64 vcc, exec, s[18:19]
	v_mov_b64_e32 v[10:11], s[10:11]
	s_cbranch_vccnz .LBB280_4
; %bb.3:
	v_mov_b64_e32 v[2:3], s[8:9]
	flat_load_dwordx2 v[10:11], v[2:3] offset:8
.LBB280_4:
	s_waitcnt vmcnt(0) lgkmcnt(0)
	v_cmp_eq_f64_e32 vcc, 0, v[4:5]
	v_cmp_eq_f64_e64 s[0:1], 0, v[6:7]
	s_and_b64 s[8:9], vcc, s[0:1]
	s_mov_b64 s[0:1], -1
	s_and_saveexec_b64 s[6:7], s[8:9]
; %bb.5:
	v_cmp_neq_f64_e32 vcc, 1.0, v[8:9]
	v_cmp_neq_f64_e64 s[0:1], 0, v[10:11]
	s_or_b64 s[0:1], vcc, s[0:1]
	s_orn2_b64 s[0:1], s[0:1], exec
; %bb.6:
	s_or_b64 exec, exec, s[6:7]
	s_and_saveexec_b64 s[6:7], s[0:1]
	s_cbranch_execz .LBB280_25
; %bb.7:
	s_load_dwordx2 s[0:1], s[2:3], 0x0
	v_lshrrev_b32_e32 v0, 4, v1
	v_lshl_or_b32 v12, s4, 3, v0
	s_waitcnt lgkmcnt(0)
	v_cmp_gt_i32_e32 vcc, s0, v12
	s_and_b64 exec, exec, vcc
	s_cbranch_execz .LBB280_25
; %bb.8:
	s_load_dwordx8 s[4:11], s[2:3], 0x18
	v_ashrrev_i32_e32 v13, 31, v12
	s_cmp_lg_u32 s1, 0
	s_waitcnt lgkmcnt(0)
	v_lshl_add_u64 v[2:3], v[12:13], 2, s[4:5]
	global_load_dwordx2 v[2:3], v[2:3], off
	v_and_b32_e32 v13, 15, v1
	s_waitcnt vmcnt(0)
	v_subrev_u32_e32 v0, s16, v2
	v_subrev_u32_e32 v32, s16, v3
	v_add_u32_e32 v18, v0, v13
	v_cmp_lt_i32_e64 s[0:1], v18, v32
	s_cbranch_scc0 .LBB280_14
; %bb.9:
	v_mov_b64_e32 v[16:17], 0
	s_mov_b64 s[4:5], 0
	v_mov_b64_e32 v[22:23], v[16:17]
	v_mov_b64_e32 v[20:21], v[16:17]
	;; [unrolled: 1-line block ×3, first 2 shown]
	s_and_saveexec_b64 s[12:13], s[0:1]
	s_cbranch_execz .LBB280_13
; %bb.10:
	v_mad_u64_u32 v[24:25], s[14:15], v18, 24, 22
	v_mov_b64_e32 v[16:17], 0
	s_mov_b64 s[14:15], 0
	v_mov_b32_e32 v27, 0
	v_mov_b32_e32 v28, v18
	v_mov_b64_e32 v[22:23], v[16:17]
	v_mov_b64_e32 v[20:21], v[16:17]
	;; [unrolled: 1-line block ×3, first 2 shown]
.LBB280_11:                             ; =>This Inner Loop Header: Depth=1
	v_ashrrev_i32_e32 v29, 31, v28
	v_subrev_u32_e32 v26, 22, v24
	v_lshl_add_u64 v[0:1], v[28:29], 2, s[6:7]
	v_lshl_add_u64 v[2:3], v[26:27], 4, s[8:9]
	global_load_dword v19, v[0:1], off
	global_load_dwordx4 v[34:37], v[2:3], off offset:48
	global_load_dwordx4 v[38:41], v[2:3], off offset:32
	;; [unrolled: 1-line block ×3, first 2 shown]
	global_load_dwordx4 v[46:49], v[2:3], off
	global_load_dwordx4 v[50:53], v[2:3], off offset:112
	global_load_dwordx4 v[54:57], v[2:3], off offset:96
	;; [unrolled: 1-line block ×4, first 2 shown]
	v_mov_b32_e32 v31, v27
	v_mov_b32_e32 v25, v27
	v_add_u32_e32 v26, -14, v24
	v_lshl_add_u64 v[78:79], v[24:25], 4, s[8:9]
	v_lshl_add_u64 v[80:81], v[26:27], 4, s[8:9]
	global_load_dwordx4 v[0:3], v[78:79], off
	global_load_dwordx4 v[66:69], v[78:79], off offset:16
	global_load_dwordx4 v[70:73], v[80:81], off offset:16
	global_load_dwordx4 v[74:77], v[80:81], off
	v_add_u32_e32 v28, 16, v28
	v_cmp_ge_i32_e32 vcc, v28, v32
	s_or_b64 s[14:15], vcc, s[14:15]
	s_waitcnt vmcnt(12)
	v_subrev_u32_e32 v19, s16, v19
	v_mul_lo_u32 v30, v19, 12
	v_lshl_add_u64 v[86:87], v[30:31], 4, s[10:11]
	global_load_dwordx4 v[78:81], v[86:87], off
	global_load_dwordx4 v[82:85], v[86:87], off offset:16
	v_add_u32_e32 v26, 4, v30
	s_waitcnt vmcnt(1)
	v_fmac_f64_e32 v[22:23], v[46:47], v[78:79]
	v_fmac_f64_e32 v[16:17], v[48:49], v[78:79]
	v_fma_f64 v[88:89], -v[48:49], v[80:81], v[22:23]
	v_fmac_f64_e32 v[16:17], v[46:47], v[80:81]
	global_load_dwordx4 v[46:49], v[86:87], off offset:32
	v_fmac_f64_e32 v[20:21], v[42:43], v[78:79]
	v_fmac_f64_e32 v[14:15], v[44:45], v[78:79]
	v_fma_f64 v[78:79], -v[44:45], v[80:81], v[20:21]
	global_load_dwordx4 v[20:23], v[86:87], off offset:48
	v_fmac_f64_e32 v[14:15], v[42:43], v[80:81]
	v_lshl_add_u64 v[86:87], v[26:27], 4, s[10:11]
	s_waitcnt vmcnt(2)
	v_fmac_f64_e32 v[88:89], v[38:39], v[82:83]
	v_fmac_f64_e32 v[16:17], v[40:41], v[82:83]
	v_add_u32_e32 v26, -12, v24
	global_load_dwordx4 v[42:45], v[86:87], off
	v_fma_f64 v[88:89], -v[40:41], v[84:85], v[88:89]
	v_fmac_f64_e32 v[16:17], v[38:39], v[84:85]
	global_load_dwordx4 v[38:41], v[86:87], off offset:16
	v_fmac_f64_e32 v[78:79], v[34:35], v[82:83]
	v_fmac_f64_e32 v[14:15], v[36:37], v[82:83]
	v_fma_f64 v[82:83], -v[36:37], v[84:85], v[78:79]
	v_fmac_f64_e32 v[14:15], v[34:35], v[84:85]
	v_lshl_add_u64 v[84:85], v[26:27], 4, s[8:9]
	global_load_dwordx4 v[34:37], v[86:87], off offset:48
	global_load_dwordx4 v[78:81], v[86:87], off offset:32
	v_add_u32_e32 v26, -10, v24
	s_waitcnt vmcnt(5)
	v_fmac_f64_e32 v[88:89], v[62:63], v[46:47]
	v_fmac_f64_e32 v[16:17], v[64:65], v[46:47]
	v_fma_f64 v[86:87], -v[64:65], v[48:49], v[88:89]
	v_fmac_f64_e32 v[16:17], v[62:63], v[48:49]
	global_load_dwordx4 v[62:65], v[84:85], off
	v_fmac_f64_e32 v[82:83], v[58:59], v[46:47]
	v_fmac_f64_e32 v[14:15], v[60:61], v[46:47]
	v_fma_f64 v[82:83], -v[60:61], v[48:49], v[82:83]
	v_fmac_f64_e32 v[14:15], v[58:59], v[48:49]
	global_load_dwordx4 v[46:49], v[84:85], off offset:16
	v_lshl_add_u64 v[84:85], v[26:27], 4, s[8:9]
	global_load_dwordx4 v[58:61], v[84:85], off
	s_waitcnt vmcnt(7)
	v_fmac_f64_e32 v[86:87], v[54:55], v[20:21]
	v_fmac_f64_e32 v[16:17], v[56:57], v[20:21]
	v_fma_f64 v[86:87], -v[56:57], v[22:23], v[86:87]
	v_fmac_f64_e32 v[16:17], v[54:55], v[22:23]
	global_load_dwordx4 v[54:57], v[84:85], off offset:16
	v_add_u32_e32 v26, -8, v24
	v_lshl_add_u64 v[88:89], v[26:27], 4, s[8:9]
	v_add_u32_e32 v26, -6, v24
	v_fmac_f64_e32 v[82:83], v[50:51], v[20:21]
	v_fmac_f64_e32 v[14:15], v[52:53], v[20:21]
	s_waitcnt vmcnt(7)
	v_fmac_f64_e32 v[86:87], v[74:75], v[42:43]
	v_fmac_f64_e32 v[16:17], v[76:77], v[42:43]
	v_lshl_add_u64 v[90:91], v[26:27], 4, s[8:9]
	v_add_u32_e32 v26, 8, v30
	v_fma_f64 v[30:31], -v[52:53], v[22:23], v[82:83]
	v_fmac_f64_e32 v[14:15], v[50:51], v[22:23]
	global_load_dwordx4 v[20:23], v[88:89], off
	global_load_dwordx4 v[50:53], v[88:89], off offset:16
	v_fma_f64 v[86:87], -v[76:77], v[44:45], v[86:87]
	v_fmac_f64_e32 v[16:17], v[74:75], v[44:45]
	v_fmac_f64_e32 v[30:31], v[70:71], v[42:43]
	;; [unrolled: 1-line block ×3, first 2 shown]
	v_lshl_add_u64 v[88:89], v[26:27], 4, s[10:11]
	global_load_dwordx4 v[74:77], v[90:91], off offset:16
	global_load_dwordx4 v[82:85], v[90:91], off
	v_fma_f64 v[30:31], -v[72:73], v[44:45], v[30:31]
	v_fmac_f64_e32 v[14:15], v[70:71], v[44:45]
	v_add_u32_e32 v26, -4, v24
	v_lshl_add_u64 v[72:73], v[26:27], 4, s[8:9]
	v_add_u32_e32 v26, -2, v24
	global_load_dwordx4 v[42:45], v[88:89], off offset:32
	v_lshl_add_u64 v[90:91], v[26:27], 4, s[8:9]
	v_add_u32_e32 v24, 0x180, v24
	s_waitcnt vmcnt(8)
	v_fmac_f64_e32 v[86:87], v[62:63], v[38:39]
	v_fmac_f64_e32 v[16:17], v[64:65], v[38:39]
	v_fma_f64 v[70:71], -v[64:65], v[40:41], v[86:87]
	v_fmac_f64_e32 v[16:17], v[62:63], v[40:41]
	global_load_dwordx4 v[62:65], v[88:89], off
	s_waitcnt vmcnt(8)
	v_fmac_f64_e32 v[30:31], v[46:47], v[38:39]
	v_fmac_f64_e32 v[14:15], v[48:49], v[38:39]
	s_waitcnt vmcnt(7)
	v_fmac_f64_e32 v[70:71], v[58:59], v[78:79]
	v_fmac_f64_e32 v[16:17], v[60:61], v[78:79]
	v_fma_f64 v[30:31], -v[48:49], v[40:41], v[30:31]
	v_fmac_f64_e32 v[14:15], v[46:47], v[40:41]
	global_load_dwordx4 v[38:41], v[88:89], off offset:16
	global_load_dwordx4 v[46:49], v[72:73], off
	v_fma_f64 v[86:87], -v[60:61], v[80:81], v[70:71]
	v_fmac_f64_e32 v[16:17], v[58:59], v[80:81]
	global_load_dwordx4 v[58:61], v[72:73], off offset:16
	s_waitcnt vmcnt(9)
	v_fmac_f64_e32 v[30:31], v[54:55], v[78:79]
	v_fmac_f64_e32 v[14:15], v[56:57], v[78:79]
	v_fma_f64 v[30:31], -v[56:57], v[80:81], v[30:31]
	v_fmac_f64_e32 v[14:15], v[54:55], v[80:81]
	global_load_dwordx4 v[54:57], v[90:91], off
	global_load_dwordx4 v[70:73], v[90:91], off offset:16
	global_load_dwordx4 v[78:81], v[88:89], off offset:48
	s_waitcnt vmcnt(11)
	v_fmac_f64_e32 v[86:87], v[20:21], v[34:35]
	v_fmac_f64_e32 v[16:17], v[22:23], v[34:35]
	s_waitcnt vmcnt(10)
	v_fmac_f64_e32 v[30:31], v[50:51], v[34:35]
	v_fmac_f64_e32 v[14:15], v[52:53], v[34:35]
	v_fma_f64 v[22:23], -v[22:23], v[36:37], v[86:87]
	v_fmac_f64_e32 v[16:17], v[20:21], v[36:37]
	v_fma_f64 v[20:21], -v[52:53], v[36:37], v[30:31]
	v_fmac_f64_e32 v[14:15], v[50:51], v[36:37]
	s_waitcnt vmcnt(6)
	v_fmac_f64_e32 v[22:23], v[82:83], v[62:63]
	v_fmac_f64_e32 v[16:17], v[84:85], v[62:63]
	;; [unrolled: 1-line block ×4, first 2 shown]
	v_fma_f64 v[22:23], -v[84:85], v[64:65], v[22:23]
	v_fmac_f64_e32 v[16:17], v[82:83], v[64:65]
	v_fma_f64 v[20:21], -v[76:77], v[64:65], v[20:21]
	v_fmac_f64_e32 v[14:15], v[74:75], v[64:65]
	s_waitcnt vmcnt(4)
	v_fmac_f64_e32 v[22:23], v[46:47], v[38:39]
	v_fmac_f64_e32 v[16:17], v[48:49], v[38:39]
	v_fma_f64 v[22:23], -v[48:49], v[40:41], v[22:23]
	s_waitcnt vmcnt(3)
	v_fmac_f64_e32 v[20:21], v[58:59], v[38:39]
	v_fmac_f64_e32 v[14:15], v[60:61], v[38:39]
	v_fmac_f64_e32 v[16:17], v[46:47], v[40:41]
	v_fma_f64 v[20:21], -v[60:61], v[40:41], v[20:21]
	v_fmac_f64_e32 v[14:15], v[58:59], v[40:41]
	s_waitcnt vmcnt(2)
	v_fmac_f64_e32 v[22:23], v[54:55], v[42:43]
	v_fmac_f64_e32 v[16:17], v[56:57], v[42:43]
	s_waitcnt vmcnt(1)
	v_fmac_f64_e32 v[20:21], v[70:71], v[42:43]
	v_fmac_f64_e32 v[14:15], v[72:73], v[42:43]
	v_fma_f64 v[22:23], -v[56:57], v[44:45], v[22:23]
	v_fmac_f64_e32 v[16:17], v[54:55], v[44:45]
	v_fma_f64 v[20:21], -v[72:73], v[44:45], v[20:21]
	v_fmac_f64_e32 v[14:15], v[70:71], v[44:45]
	s_waitcnt vmcnt(0)
	v_fmac_f64_e32 v[22:23], v[0:1], v[78:79]
	v_fmac_f64_e32 v[16:17], v[2:3], v[78:79]
	;; [unrolled: 1-line block ×4, first 2 shown]
	v_fma_f64 v[22:23], -v[2:3], v[80:81], v[22:23]
	v_fmac_f64_e32 v[16:17], v[0:1], v[80:81]
	v_fma_f64 v[20:21], -v[68:69], v[80:81], v[20:21]
	v_fmac_f64_e32 v[14:15], v[66:67], v[80:81]
	s_andn2_b64 exec, exec, s[14:15]
	s_cbranch_execnz .LBB280_11
; %bb.12:
	s_or_b64 exec, exec, s[14:15]
.LBB280_13:
	s_or_b64 exec, exec, s[12:13]
	s_andn2_b64 vcc, exec, s[4:5]
	s_cbranch_vccz .LBB280_15
	s_branch .LBB280_20
.LBB280_14:
                                        ; implicit-def: $vgpr16_vgpr17
                                        ; implicit-def: $vgpr22_vgpr23
                                        ; implicit-def: $vgpr20_vgpr21
                                        ; implicit-def: $vgpr14_vgpr15
.LBB280_15:
	v_mov_b64_e32 v[16:17], 0
	v_mov_b64_e32 v[22:23], v[16:17]
	;; [unrolled: 1-line block ×4, first 2 shown]
	s_and_saveexec_b64 s[4:5], s[0:1]
	s_cbranch_execz .LBB280_19
; %bb.16:
	v_mad_u64_u32 v[0:1], s[0:1], v18, 24, 23
	v_mov_b64_e32 v[16:17], 0
	s_mov_b64 s[0:1], 0
	v_mov_b32_e32 v3, 0
	v_mov_b64_e32 v[22:23], v[16:17]
	v_mov_b64_e32 v[20:21], v[16:17]
	;; [unrolled: 1-line block ×3, first 2 shown]
.LBB280_17:                             ; =>This Inner Loop Header: Depth=1
	v_ashrrev_i32_e32 v19, 31, v18
	v_subrev_u32_e32 v2, 23, v0
	v_add_u32_e32 v26, -11, v0
	v_mov_b32_e32 v27, v3
	v_mov_b32_e32 v1, v3
	v_lshl_add_u64 v[30:31], v[18:19], 2, s[6:7]
	v_lshl_add_u64 v[66:67], v[2:3], 4, s[8:9]
	;; [unrolled: 1-line block ×4, first 2 shown]
	global_load_dword v1, v[30:31], off
	global_load_dwordx4 v[26:29], v[66:67], off offset:48
	global_load_dwordx4 v[34:37], v[66:67], off offset:32
	;; [unrolled: 1-line block ×3, first 2 shown]
	global_load_dwordx4 v[42:45], v[66:67], off
	global_load_dwordx4 v[46:49], v[50:51], off
	v_mov_b32_e32 v25, v3
	global_load_dwordx4 v[50:53], v[66:67], off offset:112
	global_load_dwordx4 v[54:57], v[66:67], off offset:96
	;; [unrolled: 1-line block ×4, first 2 shown]
	v_add_u32_e32 v2, -10, v0
	v_lshl_add_u64 v[30:31], v[2:3], 4, s[8:9]
	v_add_u32_e32 v2, -9, v0
	v_add_u32_e32 v18, 16, v18
	v_cmp_ge_i32_e32 vcc, v18, v32
	s_or_b64 s[0:1], vcc, s[0:1]
	s_waitcnt vmcnt(9)
	v_subrev_u32_e32 v1, s16, v1
	v_mul_lo_u32 v24, v1, 12
	v_lshl_add_u64 v[80:81], v[24:25], 4, s[10:11]
	global_load_dwordx4 v[66:69], v[80:81], off
	global_load_dwordx4 v[70:73], v[80:81], off offset:16
	s_waitcnt vmcnt(1)
	v_fmac_f64_e32 v[22:23], v[42:43], v[66:67]
	v_fmac_f64_e32 v[16:17], v[44:45], v[66:67]
	v_fma_f64 v[82:83], -v[44:45], v[68:69], v[22:23]
	v_fmac_f64_e32 v[16:17], v[42:43], v[68:69]
	global_load_dwordx4 v[42:45], v[78:79], off
	global_load_dwordx4 v[74:77], v[30:31], off
	v_fmac_f64_e32 v[20:21], v[46:47], v[66:67]
	v_fmac_f64_e32 v[14:15], v[48:49], v[66:67]
	v_lshl_add_u64 v[66:67], v[2:3], 4, s[8:9]
	v_add_u32_e32 v2, -8, v0
	s_waitcnt vmcnt(2)
	v_fmac_f64_e32 v[82:83], v[38:39], v[70:71]
	v_fmac_f64_e32 v[16:17], v[40:41], v[70:71]
	v_fma_f64 v[30:31], -v[48:49], v[68:69], v[20:21]
	v_fmac_f64_e32 v[14:15], v[46:47], v[68:69]
	v_lshl_add_u64 v[68:69], v[2:3], 4, s[8:9]
	global_load_dwordx4 v[20:23], v[66:67], off
	global_load_dwordx4 v[46:49], v[68:69], off
	v_fma_f64 v[78:79], -v[40:41], v[72:73], v[82:83]
	v_fmac_f64_e32 v[16:17], v[38:39], v[72:73]
	global_load_dwordx4 v[38:41], v[80:81], off offset:32
	global_load_dwordx4 v[66:69], v[80:81], off offset:48
	v_add_u32_e32 v2, 4, v24
	s_waitcnt vmcnt(4)
	v_fmac_f64_e32 v[14:15], v[76:77], v[70:71]
	v_fmac_f64_e32 v[30:31], v[74:75], v[70:71]
	;; [unrolled: 1-line block ×3, first 2 shown]
	v_lshl_add_u64 v[74:75], v[2:3], 4, s[10:11]
	v_fma_f64 v[30:31], -v[76:77], v[72:73], v[30:31]
	global_load_dwordx4 v[70:73], v[74:75], off
	v_add_u32_e32 v2, -7, v0
	s_waitcnt vmcnt(2)
	v_fmac_f64_e32 v[78:79], v[34:35], v[38:39]
	v_fmac_f64_e32 v[16:17], v[36:37], v[38:39]
	v_fma_f64 v[76:77], -v[36:37], v[40:41], v[78:79]
	v_fmac_f64_e32 v[16:17], v[34:35], v[40:41]
	global_load_dwordx4 v[34:37], v[74:75], off offset:16
	v_fmac_f64_e32 v[30:31], v[20:21], v[38:39]
	v_fmac_f64_e32 v[14:15], v[22:23], v[38:39]
	v_fma_f64 v[30:31], -v[22:23], v[40:41], v[30:31]
	v_fmac_f64_e32 v[14:15], v[20:21], v[40:41]
	global_load_dwordx4 v[20:23], v[74:75], off offset:48
	global_load_dwordx4 v[38:41], v[74:75], off offset:32
	v_lshl_add_u64 v[74:75], v[2:3], 4, s[8:9]
	s_waitcnt vmcnt(4)
	v_fmac_f64_e32 v[76:77], v[26:27], v[66:67]
	v_fmac_f64_e32 v[16:17], v[28:29], v[66:67]
	v_add_u32_e32 v2, -6, v0
	v_fma_f64 v[76:77], -v[28:29], v[68:69], v[76:77]
	v_fmac_f64_e32 v[16:17], v[26:27], v[68:69]
	global_load_dwordx4 v[26:29], v[74:75], off
	v_lshl_add_u64 v[74:75], v[2:3], 4, s[8:9]
	v_fmac_f64_e32 v[30:31], v[46:47], v[66:67]
	v_fmac_f64_e32 v[14:15], v[48:49], v[66:67]
	v_fma_f64 v[30:31], -v[48:49], v[68:69], v[30:31]
	v_fmac_f64_e32 v[14:15], v[46:47], v[68:69]
	global_load_dwordx4 v[46:49], v[74:75], off
	v_add_u32_e32 v2, -5, v0
	v_lshl_add_u64 v[66:67], v[2:3], 4, s[8:9]
	global_load_dwordx4 v[66:69], v[66:67], off
	v_add_u32_e32 v2, -4, v0
	v_lshl_add_u64 v[74:75], v[2:3], 4, s[8:9]
	v_add_u32_e32 v2, -15, v0
	s_waitcnt vmcnt(6)
	v_fmac_f64_e32 v[76:77], v[62:63], v[70:71]
	v_fmac_f64_e32 v[16:17], v[64:65], v[70:71]
	v_fma_f64 v[78:79], -v[64:65], v[72:73], v[76:77]
	v_fmac_f64_e32 v[16:17], v[62:63], v[72:73]
	global_load_dwordx4 v[62:65], v[74:75], off
	v_lshl_add_u64 v[74:75], v[2:3], 4, s[8:9]
	v_add_u32_e32 v2, 8, v24
	global_load_dwordx4 v[74:77], v[74:75], off
	s_waitcnt vmcnt(7)
	v_fmac_f64_e32 v[78:79], v[58:59], v[34:35]
	v_fmac_f64_e32 v[16:17], v[60:61], v[34:35]
	v_fma_f64 v[60:61], -v[60:61], v[36:37], v[78:79]
	v_fmac_f64_e32 v[16:17], v[58:59], v[36:37]
	s_waitcnt vmcnt(5)
	v_fmac_f64_e32 v[60:61], v[54:55], v[38:39]
	v_fmac_f64_e32 v[16:17], v[56:57], v[38:39]
	v_fma_f64 v[80:81], -v[56:57], v[40:41], v[60:61]
	v_fmac_f64_e32 v[16:17], v[54:55], v[40:41]
	v_fmac_f64_e32 v[16:17], v[52:53], v[20:21]
	;; [unrolled: 1-line block ×4, first 2 shown]
	s_waitcnt vmcnt(4)
	v_fmac_f64_e32 v[30:31], v[26:27], v[70:71]
	v_fmac_f64_e32 v[14:15], v[28:29], v[70:71]
	v_fma_f64 v[70:71], -v[28:29], v[72:73], v[30:31]
	v_fmac_f64_e32 v[14:15], v[26:27], v[72:73]
	v_lshl_add_u64 v[72:73], v[2:3], 4, s[10:11]
	v_add_u32_e32 v2, -3, v0
	s_waitcnt vmcnt(3)
	v_fmac_f64_e32 v[70:71], v[46:47], v[34:35]
	v_fmac_f64_e32 v[14:15], v[48:49], v[34:35]
	global_load_dwordx4 v[24:27], v[72:73], off
	global_load_dwordx4 v[28:31], v[72:73], off offset:16
	v_fma_f64 v[70:71], -v[48:49], v[36:37], v[70:71]
	v_fmac_f64_e32 v[14:15], v[46:47], v[36:37]
	global_load_dwordx4 v[34:37], v[72:73], off offset:48
	global_load_dwordx4 v[46:49], v[72:73], off offset:32
	v_lshl_add_u64 v[72:73], v[2:3], 4, s[8:9]
	v_add_u32_e32 v2, -14, v0
	v_lshl_add_u64 v[78:79], v[2:3], 4, s[8:9]
	v_add_u32_e32 v2, -2, v0
	global_load_dwordx4 v[54:57], v[72:73], off
	global_load_dwordx4 v[58:61], v[78:79], off
	v_lshl_add_u64 v[72:73], v[2:3], 4, s[8:9]
	v_add_u32_e32 v2, -13, v0
	s_waitcnt vmcnt(8)
	v_fmac_f64_e32 v[70:71], v[66:67], v[38:39]
	v_fmac_f64_e32 v[14:15], v[68:69], v[38:39]
	v_lshl_add_u64 v[78:79], v[2:3], 4, s[8:9]
	v_add_u32_e32 v2, -1, v0
	v_fma_f64 v[70:71], -v[68:69], v[40:41], v[70:71]
	v_fmac_f64_e32 v[14:15], v[66:67], v[40:41]
	global_load_dwordx4 v[38:41], v[72:73], off
	global_load_dwordx4 v[66:69], v[78:79], off
	v_lshl_add_u64 v[50:51], v[2:3], 4, s[8:9]
	v_fma_f64 v[72:73], -v[52:53], v[22:23], v[80:81]
	v_add_u32_e32 v2, -12, v0
	global_load_dwordx4 v[50:53], v[50:51], off
	v_add_u32_e32 v0, 0x180, v0
	s_waitcnt vmcnt(10)
	v_fmac_f64_e32 v[70:71], v[62:63], v[20:21]
	v_fmac_f64_e32 v[14:15], v[64:65], v[20:21]
	v_lshl_add_u64 v[20:21], v[2:3], 4, s[8:9]
	v_fma_f64 v[64:65], -v[64:65], v[22:23], v[70:71]
	v_fmac_f64_e32 v[14:15], v[62:63], v[22:23]
	global_load_dwordx4 v[20:23], v[20:21], off
	s_waitcnt vmcnt(9)
	v_fmac_f64_e32 v[72:73], v[74:75], v[24:25]
	v_fmac_f64_e32 v[16:17], v[76:77], v[24:25]
	;; [unrolled: 1-line block ×3, first 2 shown]
	s_waitcnt vmcnt(5)
	v_fmac_f64_e32 v[64:65], v[54:55], v[24:25]
	v_fmac_f64_e32 v[14:15], v[56:57], v[24:25]
	v_fma_f64 v[24:25], -v[76:77], v[26:27], v[72:73]
	v_fma_f64 v[56:57], -v[56:57], v[26:27], v[64:65]
	v_fmac_f64_e32 v[14:15], v[54:55], v[26:27]
	s_waitcnt vmcnt(4)
	v_fmac_f64_e32 v[24:25], v[58:59], v[28:29]
	v_fmac_f64_e32 v[16:17], v[60:61], v[28:29]
	v_fma_f64 v[24:25], -v[60:61], v[30:31], v[24:25]
	v_fmac_f64_e32 v[16:17], v[58:59], v[30:31]
	s_waitcnt vmcnt(3)
	v_fmac_f64_e32 v[56:57], v[38:39], v[28:29]
	v_fmac_f64_e32 v[14:15], v[40:41], v[28:29]
	v_fma_f64 v[26:27], -v[40:41], v[30:31], v[56:57]
	v_fmac_f64_e32 v[14:15], v[38:39], v[30:31]
	s_waitcnt vmcnt(2)
	v_fmac_f64_e32 v[24:25], v[66:67], v[46:47]
	v_fmac_f64_e32 v[16:17], v[68:69], v[46:47]
	s_waitcnt vmcnt(1)
	v_fmac_f64_e32 v[26:27], v[50:51], v[46:47]
	v_fmac_f64_e32 v[14:15], v[52:53], v[46:47]
	v_fma_f64 v[24:25], -v[68:69], v[48:49], v[24:25]
	v_fmac_f64_e32 v[16:17], v[66:67], v[48:49]
	v_fma_f64 v[26:27], -v[52:53], v[48:49], v[26:27]
	v_fmac_f64_e32 v[14:15], v[50:51], v[48:49]
	v_fmac_f64_e32 v[26:27], v[42:43], v[34:35]
	;; [unrolled: 1-line block ×4, first 2 shown]
	s_waitcnt vmcnt(0)
	v_fmac_f64_e32 v[24:25], v[20:21], v[34:35]
	v_fmac_f64_e32 v[16:17], v[22:23], v[34:35]
	v_fma_f64 v[22:23], -v[22:23], v[36:37], v[24:25]
	v_fmac_f64_e32 v[16:17], v[20:21], v[36:37]
	v_fma_f64 v[20:21], -v[44:45], v[36:37], v[26:27]
	s_andn2_b64 exec, exec, s[0:1]
	s_cbranch_execnz .LBB280_17
; %bb.18:
	s_or_b64 exec, exec, s[0:1]
.LBB280_19:
	s_or_b64 exec, exec, s[4:5]
.LBB280_20:
	v_mov_b32_dpp v0, v22 row_shr:1 row_mask:0xf bank_mask:0xf
	v_mov_b32_dpp v1, v23 row_shr:1 row_mask:0xf bank_mask:0xf
	v_add_f64 v[0:1], v[22:23], v[0:1]
	v_mov_b32_dpp v18, v16 row_shr:1 row_mask:0xf bank_mask:0xf
	v_mov_b32_dpp v19, v17 row_shr:1 row_mask:0xf bank_mask:0xf
	;; [unrolled: 1-line block ×6, first 2 shown]
	v_add_f64 v[16:17], v[16:17], v[18:19]
	v_add_f64 v[20:21], v[20:21], v[22:23]
	;; [unrolled: 1-line block ×3, first 2 shown]
	v_mov_b32_dpp v2, v0 row_shr:2 row_mask:0xf bank_mask:0xf
	v_mov_b32_dpp v3, v1 row_shr:2 row_mask:0xf bank_mask:0xf
	v_mov_b32_dpp v18, v16 row_shr:2 row_mask:0xf bank_mask:0xf
	v_mov_b32_dpp v19, v17 row_shr:2 row_mask:0xf bank_mask:0xf
	v_mov_b32_dpp v22, v20 row_shr:2 row_mask:0xf bank_mask:0xf
	v_mov_b32_dpp v23, v21 row_shr:2 row_mask:0xf bank_mask:0xf
	v_mov_b32_dpp v24, v14 row_shr:2 row_mask:0xf bank_mask:0xf
	v_mov_b32_dpp v25, v15 row_shr:2 row_mask:0xf bank_mask:0xf
	v_add_f64 v[0:1], v[0:1], v[2:3]
	v_add_f64 v[16:17], v[16:17], v[18:19]
	;; [unrolled: 1-line block ×4, first 2 shown]
	v_mov_b32_dpp v2, v0 row_shr:4 row_mask:0xf bank_mask:0xe
	v_mov_b32_dpp v3, v1 row_shr:4 row_mask:0xf bank_mask:0xe
	;; [unrolled: 1-line block ×8, first 2 shown]
	v_add_f64 v[0:1], v[0:1], v[2:3]
	v_add_f64 v[16:17], v[16:17], v[18:19]
	;; [unrolled: 1-line block ×4, first 2 shown]
	v_mov_b32_dpp v2, v0 row_shr:8 row_mask:0xf bank_mask:0xc
	v_mov_b32_dpp v3, v1 row_shr:8 row_mask:0xf bank_mask:0xc
	;; [unrolled: 1-line block ×8, first 2 shown]
	v_cmp_eq_u32_e32 vcc, 15, v13
	s_and_b64 exec, exec, vcc
	s_cbranch_execz .LBB280_25
; %bb.21:
	s_load_dwordx2 s[2:3], s[2:3], 0x48
	v_cmp_eq_f64_e32 vcc, 0, v[8:9]
	v_cmp_eq_f64_e64 s[0:1], 0, v[10:11]
	v_add_f64 v[14:15], v[0:1], v[2:3]
	v_add_f64 v[16:17], v[16:17], v[18:19]
	;; [unrolled: 1-line block ×4, first 2 shown]
	s_and_b64 s[0:1], vcc, s[0:1]
	s_and_saveexec_b64 s[4:5], s[0:1]
	s_xor_b64 s[0:1], exec, s[4:5]
	s_cbranch_execz .LBB280_23
; %bb.22:
	v_lshlrev_b32_e32 v12, 1, v12
	v_mul_f64 v[8:9], v[16:17], -v[6:7]
	v_mul_f64 v[10:11], v[4:5], v[16:17]
	v_ashrrev_i32_e32 v13, 31, v12
	v_fmac_f64_e32 v[8:9], v[4:5], v[14:15]
	v_fmac_f64_e32 v[10:11], v[6:7], v[14:15]
	s_waitcnt lgkmcnt(0)
	v_lshl_add_u64 v[12:13], v[12:13], 4, s[2:3]
	global_store_dwordx4 v[12:13], v[8:11], off
                                        ; implicit-def: $vgpr14_vgpr15
                                        ; implicit-def: $vgpr16_vgpr17
	s_nop 1
	v_mul_f64 v[8:9], v[2:3], -v[6:7]
	v_mul_f64 v[10:11], v[4:5], v[2:3]
	v_fmac_f64_e32 v[8:9], v[4:5], v[0:1]
	v_fmac_f64_e32 v[10:11], v[6:7], v[0:1]
	global_store_dwordx4 v[12:13], v[8:11], off offset:16
                                        ; implicit-def: $vgpr4_vgpr5
                                        ; implicit-def: $vgpr6_vgpr7
                                        ; implicit-def: $vgpr8_vgpr9
                                        ; implicit-def: $vgpr10_vgpr11
                                        ; implicit-def: $vgpr12
                                        ; implicit-def: $vgpr0_vgpr1
                                        ; implicit-def: $vgpr2_vgpr3
.LBB280_23:
	s_andn2_saveexec_b64 s[0:1], s[0:1]
	s_cbranch_execz .LBB280_25
; %bb.24:
	v_lshlrev_b32_e32 v12, 1, v12
	v_ashrrev_i32_e32 v13, 31, v12
	s_waitcnt lgkmcnt(0)
	v_lshl_add_u64 v[12:13], v[12:13], 4, s[2:3]
	global_load_dwordx4 v[18:21], v[12:13], off
	global_load_dwordx4 v[22:25], v[12:13], off offset:16
	v_mul_f64 v[26:27], v[16:17], -v[6:7]
	v_mul_f64 v[16:17], v[4:5], v[16:17]
	v_mul_f64 v[28:29], v[2:3], -v[6:7]
	v_mul_f64 v[2:3], v[4:5], v[2:3]
	v_fmac_f64_e32 v[26:27], v[4:5], v[14:15]
	v_fmac_f64_e32 v[16:17], v[6:7], v[14:15]
	;; [unrolled: 1-line block ×4, first 2 shown]
	s_waitcnt vmcnt(1)
	v_fmac_f64_e32 v[26:27], v[8:9], v[18:19]
	v_fmac_f64_e32 v[16:17], v[10:11], v[18:19]
	s_waitcnt vmcnt(0)
	v_fmac_f64_e32 v[28:29], v[8:9], v[22:23]
	v_fmac_f64_e32 v[2:3], v[10:11], v[22:23]
	v_fma_f64 v[14:15], -v[10:11], v[20:21], v[26:27]
	v_fmac_f64_e32 v[16:17], v[8:9], v[20:21]
	v_fma_f64 v[0:1], -v[10:11], v[24:25], v[28:29]
	v_fmac_f64_e32 v[2:3], v[8:9], v[24:25]
	global_store_dwordx4 v[12:13], v[14:17], off
	global_store_dwordx4 v[12:13], v[0:3], off offset:16
.LBB280_25:
	s_endpgm
	.section	.rodata,"a",@progbits
	.p2align	6, 0x0
	.amdhsa_kernel _ZN9rocsparseL19gebsrmvn_2xn_kernelILj128ELj12ELj16E21rocsparse_complex_numIdEEEvi20rocsparse_direction_NS_24const_host_device_scalarIT2_EEPKiS8_PKS5_SA_S6_PS5_21rocsparse_index_base_b
		.amdhsa_group_segment_fixed_size 2048
		.amdhsa_private_segment_fixed_size 0
		.amdhsa_kernarg_size 88
		.amdhsa_user_sgpr_count 4
		.amdhsa_user_sgpr_dispatch_ptr 1
		.amdhsa_user_sgpr_queue_ptr 0
		.amdhsa_user_sgpr_kernarg_segment_ptr 1
		.amdhsa_user_sgpr_dispatch_id 0
		.amdhsa_user_sgpr_kernarg_preload_length 0
		.amdhsa_user_sgpr_kernarg_preload_offset 0
		.amdhsa_user_sgpr_private_segment_size 0
		.amdhsa_uses_dynamic_stack 0
		.amdhsa_enable_private_segment 0
		.amdhsa_system_sgpr_workgroup_id_x 1
		.amdhsa_system_sgpr_workgroup_id_y 0
		.amdhsa_system_sgpr_workgroup_id_z 0
		.amdhsa_system_sgpr_workgroup_info 0
		.amdhsa_system_vgpr_workitem_id 2
		.amdhsa_next_free_vgpr 92
		.amdhsa_next_free_sgpr 20
		.amdhsa_accum_offset 92
		.amdhsa_reserve_vcc 1
		.amdhsa_float_round_mode_32 0
		.amdhsa_float_round_mode_16_64 0
		.amdhsa_float_denorm_mode_32 3
		.amdhsa_float_denorm_mode_16_64 3
		.amdhsa_dx10_clamp 1
		.amdhsa_ieee_mode 1
		.amdhsa_fp16_overflow 0
		.amdhsa_tg_split 0
		.amdhsa_exception_fp_ieee_invalid_op 0
		.amdhsa_exception_fp_denorm_src 0
		.amdhsa_exception_fp_ieee_div_zero 0
		.amdhsa_exception_fp_ieee_overflow 0
		.amdhsa_exception_fp_ieee_underflow 0
		.amdhsa_exception_fp_ieee_inexact 0
		.amdhsa_exception_int_div_zero 0
	.end_amdhsa_kernel
	.section	.text._ZN9rocsparseL19gebsrmvn_2xn_kernelILj128ELj12ELj16E21rocsparse_complex_numIdEEEvi20rocsparse_direction_NS_24const_host_device_scalarIT2_EEPKiS8_PKS5_SA_S6_PS5_21rocsparse_index_base_b,"axG",@progbits,_ZN9rocsparseL19gebsrmvn_2xn_kernelILj128ELj12ELj16E21rocsparse_complex_numIdEEEvi20rocsparse_direction_NS_24const_host_device_scalarIT2_EEPKiS8_PKS5_SA_S6_PS5_21rocsparse_index_base_b,comdat
.Lfunc_end280:
	.size	_ZN9rocsparseL19gebsrmvn_2xn_kernelILj128ELj12ELj16E21rocsparse_complex_numIdEEEvi20rocsparse_direction_NS_24const_host_device_scalarIT2_EEPKiS8_PKS5_SA_S6_PS5_21rocsparse_index_base_b, .Lfunc_end280-_ZN9rocsparseL19gebsrmvn_2xn_kernelILj128ELj12ELj16E21rocsparse_complex_numIdEEEvi20rocsparse_direction_NS_24const_host_device_scalarIT2_EEPKiS8_PKS5_SA_S6_PS5_21rocsparse_index_base_b
                                        ; -- End function
	.section	.AMDGPU.csdata,"",@progbits
; Kernel info:
; codeLenInByte = 3424
; NumSgprs: 26
; NumVgprs: 92
; NumAgprs: 0
; TotalNumVgprs: 92
; ScratchSize: 0
; MemoryBound: 1
; FloatMode: 240
; IeeeMode: 1
; LDSByteSize: 2048 bytes/workgroup (compile time only)
; SGPRBlocks: 3
; VGPRBlocks: 11
; NumSGPRsForWavesPerEU: 26
; NumVGPRsForWavesPerEU: 92
; AccumOffset: 92
; Occupancy: 5
; WaveLimiterHint : 1
; COMPUTE_PGM_RSRC2:SCRATCH_EN: 0
; COMPUTE_PGM_RSRC2:USER_SGPR: 4
; COMPUTE_PGM_RSRC2:TRAP_HANDLER: 0
; COMPUTE_PGM_RSRC2:TGID_X_EN: 1
; COMPUTE_PGM_RSRC2:TGID_Y_EN: 0
; COMPUTE_PGM_RSRC2:TGID_Z_EN: 0
; COMPUTE_PGM_RSRC2:TIDIG_COMP_CNT: 2
; COMPUTE_PGM_RSRC3_GFX90A:ACCUM_OFFSET: 22
; COMPUTE_PGM_RSRC3_GFX90A:TG_SPLIT: 0
	.section	.text._ZN9rocsparseL19gebsrmvn_2xn_kernelILj128ELj12ELj32E21rocsparse_complex_numIdEEEvi20rocsparse_direction_NS_24const_host_device_scalarIT2_EEPKiS8_PKS5_SA_S6_PS5_21rocsparse_index_base_b,"axG",@progbits,_ZN9rocsparseL19gebsrmvn_2xn_kernelILj128ELj12ELj32E21rocsparse_complex_numIdEEEvi20rocsparse_direction_NS_24const_host_device_scalarIT2_EEPKiS8_PKS5_SA_S6_PS5_21rocsparse_index_base_b,comdat
	.globl	_ZN9rocsparseL19gebsrmvn_2xn_kernelILj128ELj12ELj32E21rocsparse_complex_numIdEEEvi20rocsparse_direction_NS_24const_host_device_scalarIT2_EEPKiS8_PKS5_SA_S6_PS5_21rocsparse_index_base_b ; -- Begin function _ZN9rocsparseL19gebsrmvn_2xn_kernelILj128ELj12ELj32E21rocsparse_complex_numIdEEEvi20rocsparse_direction_NS_24const_host_device_scalarIT2_EEPKiS8_PKS5_SA_S6_PS5_21rocsparse_index_base_b
	.p2align	8
	.type	_ZN9rocsparseL19gebsrmvn_2xn_kernelILj128ELj12ELj32E21rocsparse_complex_numIdEEEvi20rocsparse_direction_NS_24const_host_device_scalarIT2_EEPKiS8_PKS5_SA_S6_PS5_21rocsparse_index_base_b,@function
_ZN9rocsparseL19gebsrmvn_2xn_kernelILj128ELj12ELj32E21rocsparse_complex_numIdEEEvi20rocsparse_direction_NS_24const_host_device_scalarIT2_EEPKiS8_PKS5_SA_S6_PS5_21rocsparse_index_base_b: ; @_ZN9rocsparseL19gebsrmvn_2xn_kernelILj128ELj12ELj32E21rocsparse_complex_numIdEEEvi20rocsparse_direction_NS_24const_host_device_scalarIT2_EEPKiS8_PKS5_SA_S6_PS5_21rocsparse_index_base_b
; %bb.0:
	s_load_dwordx2 s[16:17], s[2:3], 0x50
	s_load_dwordx4 s[12:15], s[2:3], 0x8
	s_load_dwordx4 s[8:11], s[2:3], 0x38
	s_load_dwordx2 s[18:19], s[0:1], 0x4
	s_mov_b64 s[6:7], src_shared_base
	s_waitcnt lgkmcnt(0)
	s_bitcmp1_b32 s17, 0
	s_cselect_b64 s[0:1], -1, 0
	s_and_b64 vcc, s[0:1], exec
	s_cselect_b32 s5, s7, s13
	s_lshr_b32 s6, s18, 16
	v_bfe_u32 v2, v0, 10, 10
	v_and_b32_e32 v1, 0x3ff, v0
	s_mul_i32 s6, s6, s19
	v_mul_u32_u24_e32 v2, s19, v2
	v_mad_u32_u24 v2, s6, v1, v2
	v_bfe_u32 v0, v0, 20, 10
	v_add_lshl_u32 v0, v2, v0, 3
	v_mov_b32_e32 v6, s12
	v_add_u32_e32 v7, 0x400, v0
	v_mov_b64_e32 v[2:3], s[12:13]
	v_mov_b64_e32 v[4:5], s[8:9]
	ds_write2st64_b64 v0, v[4:5], v[2:3] offset1:2
	v_cndmask_b32_e64 v2, v6, v7, s[0:1]
	v_mov_b32_e32 v3, s5
	flat_load_dwordx2 v[4:5], v[2:3]
	s_xor_b64 s[18:19], s[0:1], -1
	v_mov_b64_e32 v[6:7], s[14:15]
	s_cbranch_vccnz .LBB281_2
; %bb.1:
	v_mov_b64_e32 v[2:3], s[12:13]
	flat_load_dwordx2 v[6:7], v[2:3] offset:8
.LBB281_2:
	s_and_b64 s[12:13], s[0:1], exec
	s_cselect_b32 s5, s7, s9
	v_mov_b32_e32 v2, s8
	v_cndmask_b32_e64 v2, v2, v0, s[0:1]
	v_mov_b32_e32 v3, s5
	flat_load_dwordx2 v[8:9], v[2:3]
	s_andn2_b64 vcc, exec, s[18:19]
	v_mov_b64_e32 v[10:11], s[10:11]
	s_cbranch_vccnz .LBB281_4
; %bb.3:
	v_mov_b64_e32 v[2:3], s[8:9]
	flat_load_dwordx2 v[10:11], v[2:3] offset:8
.LBB281_4:
	s_waitcnt vmcnt(0) lgkmcnt(0)
	v_cmp_eq_f64_e32 vcc, 0, v[4:5]
	v_cmp_eq_f64_e64 s[0:1], 0, v[6:7]
	s_and_b64 s[8:9], vcc, s[0:1]
	s_mov_b64 s[0:1], -1
	s_and_saveexec_b64 s[6:7], s[8:9]
; %bb.5:
	v_cmp_neq_f64_e32 vcc, 1.0, v[8:9]
	v_cmp_neq_f64_e64 s[0:1], 0, v[10:11]
	s_or_b64 s[0:1], vcc, s[0:1]
	s_orn2_b64 s[0:1], s[0:1], exec
; %bb.6:
	s_or_b64 exec, exec, s[6:7]
	s_and_saveexec_b64 s[6:7], s[0:1]
	s_cbranch_execz .LBB281_25
; %bb.7:
	s_load_dwordx2 s[0:1], s[2:3], 0x0
	v_lshrrev_b32_e32 v0, 5, v1
	v_lshl_or_b32 v12, s4, 2, v0
	s_waitcnt lgkmcnt(0)
	v_cmp_gt_i32_e32 vcc, s0, v12
	s_and_b64 exec, exec, vcc
	s_cbranch_execz .LBB281_25
; %bb.8:
	s_load_dwordx8 s[4:11], s[2:3], 0x18
	v_ashrrev_i32_e32 v13, 31, v12
	s_cmp_lg_u32 s1, 0
	s_waitcnt lgkmcnt(0)
	v_lshl_add_u64 v[2:3], v[12:13], 2, s[4:5]
	global_load_dwordx2 v[2:3], v[2:3], off
	v_and_b32_e32 v13, 31, v1
	s_waitcnt vmcnt(0)
	v_subrev_u32_e32 v0, s16, v2
	v_subrev_u32_e32 v32, s16, v3
	v_add_u32_e32 v18, v0, v13
	v_cmp_lt_i32_e64 s[0:1], v18, v32
	s_cbranch_scc0 .LBB281_14
; %bb.9:
	v_mov_b64_e32 v[16:17], 0
	s_mov_b64 s[4:5], 0
	v_mov_b64_e32 v[22:23], v[16:17]
	v_mov_b64_e32 v[20:21], v[16:17]
	;; [unrolled: 1-line block ×3, first 2 shown]
	s_and_saveexec_b64 s[12:13], s[0:1]
	s_cbranch_execz .LBB281_13
; %bb.10:
	v_mad_u64_u32 v[24:25], s[14:15], v18, 24, 22
	v_mov_b64_e32 v[16:17], 0
	s_mov_b64 s[14:15], 0
	v_mov_b32_e32 v27, 0
	v_mov_b32_e32 v28, v18
	v_mov_b64_e32 v[22:23], v[16:17]
	v_mov_b64_e32 v[20:21], v[16:17]
	;; [unrolled: 1-line block ×3, first 2 shown]
.LBB281_11:                             ; =>This Inner Loop Header: Depth=1
	v_ashrrev_i32_e32 v29, 31, v28
	v_subrev_u32_e32 v26, 22, v24
	v_lshl_add_u64 v[0:1], v[28:29], 2, s[6:7]
	v_lshl_add_u64 v[2:3], v[26:27], 4, s[8:9]
	global_load_dword v19, v[0:1], off
	global_load_dwordx4 v[34:37], v[2:3], off offset:48
	global_load_dwordx4 v[38:41], v[2:3], off offset:32
	;; [unrolled: 1-line block ×3, first 2 shown]
	global_load_dwordx4 v[46:49], v[2:3], off
	global_load_dwordx4 v[50:53], v[2:3], off offset:112
	global_load_dwordx4 v[54:57], v[2:3], off offset:96
	;; [unrolled: 1-line block ×4, first 2 shown]
	v_mov_b32_e32 v31, v27
	v_mov_b32_e32 v25, v27
	v_add_u32_e32 v26, -14, v24
	v_lshl_add_u64 v[78:79], v[24:25], 4, s[8:9]
	v_lshl_add_u64 v[80:81], v[26:27], 4, s[8:9]
	global_load_dwordx4 v[0:3], v[78:79], off
	global_load_dwordx4 v[66:69], v[78:79], off offset:16
	global_load_dwordx4 v[70:73], v[80:81], off offset:16
	global_load_dwordx4 v[74:77], v[80:81], off
	v_add_u32_e32 v28, 32, v28
	v_cmp_ge_i32_e32 vcc, v28, v32
	s_or_b64 s[14:15], vcc, s[14:15]
	s_waitcnt vmcnt(12)
	v_subrev_u32_e32 v19, s16, v19
	v_mul_lo_u32 v30, v19, 12
	v_lshl_add_u64 v[86:87], v[30:31], 4, s[10:11]
	global_load_dwordx4 v[78:81], v[86:87], off
	global_load_dwordx4 v[82:85], v[86:87], off offset:16
	v_add_u32_e32 v26, 4, v30
	s_waitcnt vmcnt(1)
	v_fmac_f64_e32 v[22:23], v[46:47], v[78:79]
	v_fmac_f64_e32 v[16:17], v[48:49], v[78:79]
	v_fma_f64 v[88:89], -v[48:49], v[80:81], v[22:23]
	v_fmac_f64_e32 v[16:17], v[46:47], v[80:81]
	global_load_dwordx4 v[46:49], v[86:87], off offset:32
	v_fmac_f64_e32 v[20:21], v[42:43], v[78:79]
	v_fmac_f64_e32 v[14:15], v[44:45], v[78:79]
	v_fma_f64 v[78:79], -v[44:45], v[80:81], v[20:21]
	global_load_dwordx4 v[20:23], v[86:87], off offset:48
	v_fmac_f64_e32 v[14:15], v[42:43], v[80:81]
	v_lshl_add_u64 v[86:87], v[26:27], 4, s[10:11]
	s_waitcnt vmcnt(2)
	v_fmac_f64_e32 v[88:89], v[38:39], v[82:83]
	v_fmac_f64_e32 v[16:17], v[40:41], v[82:83]
	v_add_u32_e32 v26, -12, v24
	global_load_dwordx4 v[42:45], v[86:87], off
	v_fma_f64 v[88:89], -v[40:41], v[84:85], v[88:89]
	v_fmac_f64_e32 v[16:17], v[38:39], v[84:85]
	global_load_dwordx4 v[38:41], v[86:87], off offset:16
	v_fmac_f64_e32 v[78:79], v[34:35], v[82:83]
	v_fmac_f64_e32 v[14:15], v[36:37], v[82:83]
	v_fma_f64 v[82:83], -v[36:37], v[84:85], v[78:79]
	v_fmac_f64_e32 v[14:15], v[34:35], v[84:85]
	v_lshl_add_u64 v[84:85], v[26:27], 4, s[8:9]
	global_load_dwordx4 v[34:37], v[86:87], off offset:48
	global_load_dwordx4 v[78:81], v[86:87], off offset:32
	v_add_u32_e32 v26, -10, v24
	s_waitcnt vmcnt(5)
	v_fmac_f64_e32 v[88:89], v[62:63], v[46:47]
	v_fmac_f64_e32 v[16:17], v[64:65], v[46:47]
	v_fma_f64 v[86:87], -v[64:65], v[48:49], v[88:89]
	v_fmac_f64_e32 v[16:17], v[62:63], v[48:49]
	global_load_dwordx4 v[62:65], v[84:85], off
	v_fmac_f64_e32 v[82:83], v[58:59], v[46:47]
	v_fmac_f64_e32 v[14:15], v[60:61], v[46:47]
	v_fma_f64 v[82:83], -v[60:61], v[48:49], v[82:83]
	v_fmac_f64_e32 v[14:15], v[58:59], v[48:49]
	global_load_dwordx4 v[46:49], v[84:85], off offset:16
	v_lshl_add_u64 v[84:85], v[26:27], 4, s[8:9]
	global_load_dwordx4 v[58:61], v[84:85], off
	s_waitcnt vmcnt(7)
	v_fmac_f64_e32 v[86:87], v[54:55], v[20:21]
	v_fmac_f64_e32 v[16:17], v[56:57], v[20:21]
	v_fma_f64 v[86:87], -v[56:57], v[22:23], v[86:87]
	v_fmac_f64_e32 v[16:17], v[54:55], v[22:23]
	global_load_dwordx4 v[54:57], v[84:85], off offset:16
	v_add_u32_e32 v26, -8, v24
	v_lshl_add_u64 v[88:89], v[26:27], 4, s[8:9]
	v_add_u32_e32 v26, -6, v24
	v_fmac_f64_e32 v[82:83], v[50:51], v[20:21]
	v_fmac_f64_e32 v[14:15], v[52:53], v[20:21]
	s_waitcnt vmcnt(7)
	v_fmac_f64_e32 v[86:87], v[74:75], v[42:43]
	v_fmac_f64_e32 v[16:17], v[76:77], v[42:43]
	v_lshl_add_u64 v[90:91], v[26:27], 4, s[8:9]
	v_add_u32_e32 v26, 8, v30
	v_fma_f64 v[30:31], -v[52:53], v[22:23], v[82:83]
	v_fmac_f64_e32 v[14:15], v[50:51], v[22:23]
	global_load_dwordx4 v[20:23], v[88:89], off
	global_load_dwordx4 v[50:53], v[88:89], off offset:16
	v_fma_f64 v[86:87], -v[76:77], v[44:45], v[86:87]
	v_fmac_f64_e32 v[16:17], v[74:75], v[44:45]
	v_fmac_f64_e32 v[30:31], v[70:71], v[42:43]
	;; [unrolled: 1-line block ×3, first 2 shown]
	v_lshl_add_u64 v[88:89], v[26:27], 4, s[10:11]
	global_load_dwordx4 v[74:77], v[90:91], off offset:16
	global_load_dwordx4 v[82:85], v[90:91], off
	v_fma_f64 v[30:31], -v[72:73], v[44:45], v[30:31]
	v_fmac_f64_e32 v[14:15], v[70:71], v[44:45]
	v_add_u32_e32 v26, -4, v24
	v_lshl_add_u64 v[72:73], v[26:27], 4, s[8:9]
	v_add_u32_e32 v26, -2, v24
	global_load_dwordx4 v[42:45], v[88:89], off offset:32
	v_lshl_add_u64 v[90:91], v[26:27], 4, s[8:9]
	v_add_u32_e32 v24, 0x300, v24
	s_waitcnt vmcnt(8)
	v_fmac_f64_e32 v[86:87], v[62:63], v[38:39]
	v_fmac_f64_e32 v[16:17], v[64:65], v[38:39]
	v_fma_f64 v[70:71], -v[64:65], v[40:41], v[86:87]
	v_fmac_f64_e32 v[16:17], v[62:63], v[40:41]
	global_load_dwordx4 v[62:65], v[88:89], off
	s_waitcnt vmcnt(8)
	v_fmac_f64_e32 v[30:31], v[46:47], v[38:39]
	v_fmac_f64_e32 v[14:15], v[48:49], v[38:39]
	s_waitcnt vmcnt(7)
	v_fmac_f64_e32 v[70:71], v[58:59], v[78:79]
	v_fmac_f64_e32 v[16:17], v[60:61], v[78:79]
	v_fma_f64 v[30:31], -v[48:49], v[40:41], v[30:31]
	v_fmac_f64_e32 v[14:15], v[46:47], v[40:41]
	global_load_dwordx4 v[38:41], v[88:89], off offset:16
	global_load_dwordx4 v[46:49], v[72:73], off
	v_fma_f64 v[86:87], -v[60:61], v[80:81], v[70:71]
	v_fmac_f64_e32 v[16:17], v[58:59], v[80:81]
	global_load_dwordx4 v[58:61], v[72:73], off offset:16
	s_waitcnt vmcnt(9)
	v_fmac_f64_e32 v[30:31], v[54:55], v[78:79]
	v_fmac_f64_e32 v[14:15], v[56:57], v[78:79]
	v_fma_f64 v[30:31], -v[56:57], v[80:81], v[30:31]
	v_fmac_f64_e32 v[14:15], v[54:55], v[80:81]
	global_load_dwordx4 v[54:57], v[90:91], off
	global_load_dwordx4 v[70:73], v[90:91], off offset:16
	global_load_dwordx4 v[78:81], v[88:89], off offset:48
	s_waitcnt vmcnt(11)
	v_fmac_f64_e32 v[86:87], v[20:21], v[34:35]
	v_fmac_f64_e32 v[16:17], v[22:23], v[34:35]
	s_waitcnt vmcnt(10)
	v_fmac_f64_e32 v[30:31], v[50:51], v[34:35]
	v_fmac_f64_e32 v[14:15], v[52:53], v[34:35]
	v_fma_f64 v[22:23], -v[22:23], v[36:37], v[86:87]
	v_fmac_f64_e32 v[16:17], v[20:21], v[36:37]
	v_fma_f64 v[20:21], -v[52:53], v[36:37], v[30:31]
	v_fmac_f64_e32 v[14:15], v[50:51], v[36:37]
	s_waitcnt vmcnt(6)
	v_fmac_f64_e32 v[22:23], v[82:83], v[62:63]
	v_fmac_f64_e32 v[16:17], v[84:85], v[62:63]
	;; [unrolled: 1-line block ×4, first 2 shown]
	v_fma_f64 v[22:23], -v[84:85], v[64:65], v[22:23]
	v_fmac_f64_e32 v[16:17], v[82:83], v[64:65]
	v_fma_f64 v[20:21], -v[76:77], v[64:65], v[20:21]
	v_fmac_f64_e32 v[14:15], v[74:75], v[64:65]
	s_waitcnt vmcnt(4)
	v_fmac_f64_e32 v[22:23], v[46:47], v[38:39]
	v_fmac_f64_e32 v[16:17], v[48:49], v[38:39]
	v_fma_f64 v[22:23], -v[48:49], v[40:41], v[22:23]
	s_waitcnt vmcnt(3)
	v_fmac_f64_e32 v[20:21], v[58:59], v[38:39]
	v_fmac_f64_e32 v[14:15], v[60:61], v[38:39]
	;; [unrolled: 1-line block ×3, first 2 shown]
	v_fma_f64 v[20:21], -v[60:61], v[40:41], v[20:21]
	v_fmac_f64_e32 v[14:15], v[58:59], v[40:41]
	s_waitcnt vmcnt(2)
	v_fmac_f64_e32 v[22:23], v[54:55], v[42:43]
	v_fmac_f64_e32 v[16:17], v[56:57], v[42:43]
	s_waitcnt vmcnt(1)
	v_fmac_f64_e32 v[20:21], v[70:71], v[42:43]
	v_fmac_f64_e32 v[14:15], v[72:73], v[42:43]
	v_fma_f64 v[22:23], -v[56:57], v[44:45], v[22:23]
	v_fmac_f64_e32 v[16:17], v[54:55], v[44:45]
	v_fma_f64 v[20:21], -v[72:73], v[44:45], v[20:21]
	v_fmac_f64_e32 v[14:15], v[70:71], v[44:45]
	s_waitcnt vmcnt(0)
	v_fmac_f64_e32 v[22:23], v[0:1], v[78:79]
	v_fmac_f64_e32 v[16:17], v[2:3], v[78:79]
	;; [unrolled: 1-line block ×4, first 2 shown]
	v_fma_f64 v[22:23], -v[2:3], v[80:81], v[22:23]
	v_fmac_f64_e32 v[16:17], v[0:1], v[80:81]
	v_fma_f64 v[20:21], -v[68:69], v[80:81], v[20:21]
	v_fmac_f64_e32 v[14:15], v[66:67], v[80:81]
	s_andn2_b64 exec, exec, s[14:15]
	s_cbranch_execnz .LBB281_11
; %bb.12:
	s_or_b64 exec, exec, s[14:15]
.LBB281_13:
	s_or_b64 exec, exec, s[12:13]
	s_andn2_b64 vcc, exec, s[4:5]
	s_cbranch_vccz .LBB281_15
	s_branch .LBB281_20
.LBB281_14:
                                        ; implicit-def: $vgpr16_vgpr17
                                        ; implicit-def: $vgpr22_vgpr23
                                        ; implicit-def: $vgpr20_vgpr21
                                        ; implicit-def: $vgpr14_vgpr15
.LBB281_15:
	v_mov_b64_e32 v[16:17], 0
	v_mov_b64_e32 v[22:23], v[16:17]
	;; [unrolled: 1-line block ×4, first 2 shown]
	s_and_saveexec_b64 s[4:5], s[0:1]
	s_cbranch_execz .LBB281_19
; %bb.16:
	v_mad_u64_u32 v[0:1], s[0:1], v18, 24, 23
	v_mov_b64_e32 v[16:17], 0
	s_mov_b64 s[0:1], 0
	v_mov_b32_e32 v3, 0
	v_mov_b64_e32 v[22:23], v[16:17]
	v_mov_b64_e32 v[20:21], v[16:17]
	;; [unrolled: 1-line block ×3, first 2 shown]
.LBB281_17:                             ; =>This Inner Loop Header: Depth=1
	v_ashrrev_i32_e32 v19, 31, v18
	v_subrev_u32_e32 v2, 23, v0
	v_add_u32_e32 v26, -11, v0
	v_mov_b32_e32 v27, v3
	v_mov_b32_e32 v1, v3
	v_lshl_add_u64 v[30:31], v[18:19], 2, s[6:7]
	v_lshl_add_u64 v[66:67], v[2:3], 4, s[8:9]
	;; [unrolled: 1-line block ×4, first 2 shown]
	global_load_dword v1, v[30:31], off
	global_load_dwordx4 v[26:29], v[66:67], off offset:48
	global_load_dwordx4 v[34:37], v[66:67], off offset:32
	;; [unrolled: 1-line block ×3, first 2 shown]
	global_load_dwordx4 v[42:45], v[66:67], off
	global_load_dwordx4 v[46:49], v[50:51], off
	v_mov_b32_e32 v25, v3
	global_load_dwordx4 v[50:53], v[66:67], off offset:112
	global_load_dwordx4 v[54:57], v[66:67], off offset:96
	;; [unrolled: 1-line block ×4, first 2 shown]
	v_add_u32_e32 v2, -10, v0
	v_lshl_add_u64 v[30:31], v[2:3], 4, s[8:9]
	v_add_u32_e32 v2, -9, v0
	v_add_u32_e32 v18, 32, v18
	v_cmp_ge_i32_e32 vcc, v18, v32
	s_or_b64 s[0:1], vcc, s[0:1]
	s_waitcnt vmcnt(9)
	v_subrev_u32_e32 v1, s16, v1
	v_mul_lo_u32 v24, v1, 12
	v_lshl_add_u64 v[80:81], v[24:25], 4, s[10:11]
	global_load_dwordx4 v[66:69], v[80:81], off
	global_load_dwordx4 v[70:73], v[80:81], off offset:16
	s_waitcnt vmcnt(1)
	v_fmac_f64_e32 v[22:23], v[42:43], v[66:67]
	v_fmac_f64_e32 v[16:17], v[44:45], v[66:67]
	v_fma_f64 v[82:83], -v[44:45], v[68:69], v[22:23]
	v_fmac_f64_e32 v[16:17], v[42:43], v[68:69]
	global_load_dwordx4 v[42:45], v[78:79], off
	global_load_dwordx4 v[74:77], v[30:31], off
	v_fmac_f64_e32 v[20:21], v[46:47], v[66:67]
	v_fmac_f64_e32 v[14:15], v[48:49], v[66:67]
	v_lshl_add_u64 v[66:67], v[2:3], 4, s[8:9]
	v_add_u32_e32 v2, -8, v0
	s_waitcnt vmcnt(2)
	v_fmac_f64_e32 v[82:83], v[38:39], v[70:71]
	v_fmac_f64_e32 v[16:17], v[40:41], v[70:71]
	v_fma_f64 v[30:31], -v[48:49], v[68:69], v[20:21]
	v_fmac_f64_e32 v[14:15], v[46:47], v[68:69]
	v_lshl_add_u64 v[68:69], v[2:3], 4, s[8:9]
	global_load_dwordx4 v[20:23], v[66:67], off
	global_load_dwordx4 v[46:49], v[68:69], off
	v_fma_f64 v[78:79], -v[40:41], v[72:73], v[82:83]
	v_fmac_f64_e32 v[16:17], v[38:39], v[72:73]
	global_load_dwordx4 v[38:41], v[80:81], off offset:32
	global_load_dwordx4 v[66:69], v[80:81], off offset:48
	v_add_u32_e32 v2, 4, v24
	s_waitcnt vmcnt(4)
	v_fmac_f64_e32 v[14:15], v[76:77], v[70:71]
	v_fmac_f64_e32 v[30:31], v[74:75], v[70:71]
	;; [unrolled: 1-line block ×3, first 2 shown]
	v_lshl_add_u64 v[74:75], v[2:3], 4, s[10:11]
	v_fma_f64 v[30:31], -v[76:77], v[72:73], v[30:31]
	global_load_dwordx4 v[70:73], v[74:75], off
	v_add_u32_e32 v2, -7, v0
	s_waitcnt vmcnt(2)
	v_fmac_f64_e32 v[78:79], v[34:35], v[38:39]
	v_fmac_f64_e32 v[16:17], v[36:37], v[38:39]
	v_fma_f64 v[76:77], -v[36:37], v[40:41], v[78:79]
	v_fmac_f64_e32 v[16:17], v[34:35], v[40:41]
	global_load_dwordx4 v[34:37], v[74:75], off offset:16
	v_fmac_f64_e32 v[30:31], v[20:21], v[38:39]
	v_fmac_f64_e32 v[14:15], v[22:23], v[38:39]
	v_fma_f64 v[30:31], -v[22:23], v[40:41], v[30:31]
	v_fmac_f64_e32 v[14:15], v[20:21], v[40:41]
	global_load_dwordx4 v[20:23], v[74:75], off offset:48
	global_load_dwordx4 v[38:41], v[74:75], off offset:32
	v_lshl_add_u64 v[74:75], v[2:3], 4, s[8:9]
	s_waitcnt vmcnt(4)
	v_fmac_f64_e32 v[76:77], v[26:27], v[66:67]
	v_fmac_f64_e32 v[16:17], v[28:29], v[66:67]
	v_add_u32_e32 v2, -6, v0
	v_fma_f64 v[76:77], -v[28:29], v[68:69], v[76:77]
	v_fmac_f64_e32 v[16:17], v[26:27], v[68:69]
	global_load_dwordx4 v[26:29], v[74:75], off
	v_lshl_add_u64 v[74:75], v[2:3], 4, s[8:9]
	v_fmac_f64_e32 v[30:31], v[46:47], v[66:67]
	v_fmac_f64_e32 v[14:15], v[48:49], v[66:67]
	v_fma_f64 v[30:31], -v[48:49], v[68:69], v[30:31]
	v_fmac_f64_e32 v[14:15], v[46:47], v[68:69]
	global_load_dwordx4 v[46:49], v[74:75], off
	v_add_u32_e32 v2, -5, v0
	v_lshl_add_u64 v[66:67], v[2:3], 4, s[8:9]
	global_load_dwordx4 v[66:69], v[66:67], off
	v_add_u32_e32 v2, -4, v0
	v_lshl_add_u64 v[74:75], v[2:3], 4, s[8:9]
	v_add_u32_e32 v2, -15, v0
	s_waitcnt vmcnt(6)
	v_fmac_f64_e32 v[76:77], v[62:63], v[70:71]
	v_fmac_f64_e32 v[16:17], v[64:65], v[70:71]
	v_fma_f64 v[78:79], -v[64:65], v[72:73], v[76:77]
	v_fmac_f64_e32 v[16:17], v[62:63], v[72:73]
	global_load_dwordx4 v[62:65], v[74:75], off
	v_lshl_add_u64 v[74:75], v[2:3], 4, s[8:9]
	v_add_u32_e32 v2, 8, v24
	global_load_dwordx4 v[74:77], v[74:75], off
	s_waitcnt vmcnt(7)
	v_fmac_f64_e32 v[78:79], v[58:59], v[34:35]
	v_fmac_f64_e32 v[16:17], v[60:61], v[34:35]
	v_fma_f64 v[60:61], -v[60:61], v[36:37], v[78:79]
	v_fmac_f64_e32 v[16:17], v[58:59], v[36:37]
	s_waitcnt vmcnt(5)
	v_fmac_f64_e32 v[60:61], v[54:55], v[38:39]
	v_fmac_f64_e32 v[16:17], v[56:57], v[38:39]
	v_fma_f64 v[80:81], -v[56:57], v[40:41], v[60:61]
	v_fmac_f64_e32 v[16:17], v[54:55], v[40:41]
	v_fmac_f64_e32 v[16:17], v[52:53], v[20:21]
	;; [unrolled: 1-line block ×4, first 2 shown]
	s_waitcnt vmcnt(4)
	v_fmac_f64_e32 v[30:31], v[26:27], v[70:71]
	v_fmac_f64_e32 v[14:15], v[28:29], v[70:71]
	v_fma_f64 v[70:71], -v[28:29], v[72:73], v[30:31]
	v_fmac_f64_e32 v[14:15], v[26:27], v[72:73]
	v_lshl_add_u64 v[72:73], v[2:3], 4, s[10:11]
	v_add_u32_e32 v2, -3, v0
	s_waitcnt vmcnt(3)
	v_fmac_f64_e32 v[70:71], v[46:47], v[34:35]
	v_fmac_f64_e32 v[14:15], v[48:49], v[34:35]
	global_load_dwordx4 v[24:27], v[72:73], off
	global_load_dwordx4 v[28:31], v[72:73], off offset:16
	v_fma_f64 v[70:71], -v[48:49], v[36:37], v[70:71]
	v_fmac_f64_e32 v[14:15], v[46:47], v[36:37]
	global_load_dwordx4 v[34:37], v[72:73], off offset:48
	global_load_dwordx4 v[46:49], v[72:73], off offset:32
	v_lshl_add_u64 v[72:73], v[2:3], 4, s[8:9]
	v_add_u32_e32 v2, -14, v0
	v_lshl_add_u64 v[78:79], v[2:3], 4, s[8:9]
	v_add_u32_e32 v2, -2, v0
	global_load_dwordx4 v[54:57], v[72:73], off
	global_load_dwordx4 v[58:61], v[78:79], off
	v_lshl_add_u64 v[72:73], v[2:3], 4, s[8:9]
	v_add_u32_e32 v2, -13, v0
	s_waitcnt vmcnt(8)
	v_fmac_f64_e32 v[70:71], v[66:67], v[38:39]
	v_fmac_f64_e32 v[14:15], v[68:69], v[38:39]
	v_lshl_add_u64 v[78:79], v[2:3], 4, s[8:9]
	v_add_u32_e32 v2, -1, v0
	v_fma_f64 v[70:71], -v[68:69], v[40:41], v[70:71]
	v_fmac_f64_e32 v[14:15], v[66:67], v[40:41]
	global_load_dwordx4 v[38:41], v[72:73], off
	global_load_dwordx4 v[66:69], v[78:79], off
	v_lshl_add_u64 v[50:51], v[2:3], 4, s[8:9]
	v_fma_f64 v[72:73], -v[52:53], v[22:23], v[80:81]
	v_add_u32_e32 v2, -12, v0
	global_load_dwordx4 v[50:53], v[50:51], off
	v_add_u32_e32 v0, 0x300, v0
	s_waitcnt vmcnt(10)
	v_fmac_f64_e32 v[70:71], v[62:63], v[20:21]
	v_fmac_f64_e32 v[14:15], v[64:65], v[20:21]
	v_lshl_add_u64 v[20:21], v[2:3], 4, s[8:9]
	v_fma_f64 v[64:65], -v[64:65], v[22:23], v[70:71]
	v_fmac_f64_e32 v[14:15], v[62:63], v[22:23]
	global_load_dwordx4 v[20:23], v[20:21], off
	s_waitcnt vmcnt(9)
	v_fmac_f64_e32 v[72:73], v[74:75], v[24:25]
	v_fmac_f64_e32 v[16:17], v[76:77], v[24:25]
	;; [unrolled: 1-line block ×3, first 2 shown]
	s_waitcnt vmcnt(5)
	v_fmac_f64_e32 v[64:65], v[54:55], v[24:25]
	v_fmac_f64_e32 v[14:15], v[56:57], v[24:25]
	v_fma_f64 v[24:25], -v[76:77], v[26:27], v[72:73]
	v_fma_f64 v[56:57], -v[56:57], v[26:27], v[64:65]
	v_fmac_f64_e32 v[14:15], v[54:55], v[26:27]
	s_waitcnt vmcnt(4)
	v_fmac_f64_e32 v[24:25], v[58:59], v[28:29]
	v_fmac_f64_e32 v[16:17], v[60:61], v[28:29]
	v_fma_f64 v[24:25], -v[60:61], v[30:31], v[24:25]
	v_fmac_f64_e32 v[16:17], v[58:59], v[30:31]
	s_waitcnt vmcnt(3)
	v_fmac_f64_e32 v[56:57], v[38:39], v[28:29]
	v_fmac_f64_e32 v[14:15], v[40:41], v[28:29]
	;; [unrolled: 5-line block ×3, first 2 shown]
	s_waitcnt vmcnt(1)
	v_fmac_f64_e32 v[26:27], v[50:51], v[46:47]
	v_fmac_f64_e32 v[14:15], v[52:53], v[46:47]
	v_fma_f64 v[24:25], -v[68:69], v[48:49], v[24:25]
	v_fmac_f64_e32 v[16:17], v[66:67], v[48:49]
	v_fma_f64 v[26:27], -v[52:53], v[48:49], v[26:27]
	v_fmac_f64_e32 v[14:15], v[50:51], v[48:49]
	v_fmac_f64_e32 v[26:27], v[42:43], v[34:35]
	;; [unrolled: 1-line block ×4, first 2 shown]
	s_waitcnt vmcnt(0)
	v_fmac_f64_e32 v[24:25], v[20:21], v[34:35]
	v_fmac_f64_e32 v[16:17], v[22:23], v[34:35]
	v_fma_f64 v[22:23], -v[22:23], v[36:37], v[24:25]
	v_fmac_f64_e32 v[16:17], v[20:21], v[36:37]
	v_fma_f64 v[20:21], -v[44:45], v[36:37], v[26:27]
	s_andn2_b64 exec, exec, s[0:1]
	s_cbranch_execnz .LBB281_17
; %bb.18:
	s_or_b64 exec, exec, s[0:1]
.LBB281_19:
	s_or_b64 exec, exec, s[4:5]
.LBB281_20:
	v_mov_b32_dpp v0, v22 row_shr:1 row_mask:0xf bank_mask:0xf
	v_mov_b32_dpp v1, v23 row_shr:1 row_mask:0xf bank_mask:0xf
	v_add_f64 v[0:1], v[22:23], v[0:1]
	v_mov_b32_dpp v18, v16 row_shr:1 row_mask:0xf bank_mask:0xf
	v_mov_b32_dpp v19, v17 row_shr:1 row_mask:0xf bank_mask:0xf
	;; [unrolled: 1-line block ×6, first 2 shown]
	v_add_f64 v[16:17], v[16:17], v[18:19]
	v_add_f64 v[20:21], v[20:21], v[22:23]
	v_add_f64 v[14:15], v[14:15], v[24:25]
	v_mov_b32_dpp v2, v0 row_shr:2 row_mask:0xf bank_mask:0xf
	v_mov_b32_dpp v3, v1 row_shr:2 row_mask:0xf bank_mask:0xf
	v_mov_b32_dpp v18, v16 row_shr:2 row_mask:0xf bank_mask:0xf
	v_mov_b32_dpp v19, v17 row_shr:2 row_mask:0xf bank_mask:0xf
	v_mov_b32_dpp v22, v20 row_shr:2 row_mask:0xf bank_mask:0xf
	v_mov_b32_dpp v23, v21 row_shr:2 row_mask:0xf bank_mask:0xf
	v_mov_b32_dpp v24, v14 row_shr:2 row_mask:0xf bank_mask:0xf
	v_mov_b32_dpp v25, v15 row_shr:2 row_mask:0xf bank_mask:0xf
	v_add_f64 v[0:1], v[0:1], v[2:3]
	v_add_f64 v[16:17], v[16:17], v[18:19]
	v_add_f64 v[20:21], v[20:21], v[22:23]
	v_add_f64 v[14:15], v[14:15], v[24:25]
	v_mov_b32_dpp v2, v0 row_shr:4 row_mask:0xf bank_mask:0xe
	v_mov_b32_dpp v3, v1 row_shr:4 row_mask:0xf bank_mask:0xe
	v_mov_b32_dpp v18, v16 row_shr:4 row_mask:0xf bank_mask:0xe
	v_mov_b32_dpp v19, v17 row_shr:4 row_mask:0xf bank_mask:0xe
	v_mov_b32_dpp v22, v20 row_shr:4 row_mask:0xf bank_mask:0xe
	v_mov_b32_dpp v23, v21 row_shr:4 row_mask:0xf bank_mask:0xe
	v_mov_b32_dpp v24, v14 row_shr:4 row_mask:0xf bank_mask:0xe
	v_mov_b32_dpp v25, v15 row_shr:4 row_mask:0xf bank_mask:0xe
	v_add_f64 v[0:1], v[0:1], v[2:3]
	;; [unrolled: 12-line block ×3, first 2 shown]
	v_add_f64 v[16:17], v[16:17], v[18:19]
	v_add_f64 v[20:21], v[20:21], v[22:23]
	;; [unrolled: 1-line block ×3, first 2 shown]
	v_mov_b32_dpp v2, v0 row_bcast:15 row_mask:0xa bank_mask:0xf
	v_mov_b32_dpp v3, v1 row_bcast:15 row_mask:0xa bank_mask:0xf
	;; [unrolled: 1-line block ×8, first 2 shown]
	v_cmp_eq_u32_e32 vcc, 31, v13
	s_and_b64 exec, exec, vcc
	s_cbranch_execz .LBB281_25
; %bb.21:
	s_load_dwordx2 s[2:3], s[2:3], 0x48
	v_cmp_eq_f64_e32 vcc, 0, v[8:9]
	v_cmp_eq_f64_e64 s[0:1], 0, v[10:11]
	v_add_f64 v[14:15], v[0:1], v[2:3]
	v_add_f64 v[16:17], v[16:17], v[18:19]
	;; [unrolled: 1-line block ×4, first 2 shown]
	s_and_b64 s[0:1], vcc, s[0:1]
	s_and_saveexec_b64 s[4:5], s[0:1]
	s_xor_b64 s[0:1], exec, s[4:5]
	s_cbranch_execz .LBB281_23
; %bb.22:
	v_lshlrev_b32_e32 v12, 1, v12
	v_mul_f64 v[8:9], v[16:17], -v[6:7]
	v_mul_f64 v[10:11], v[4:5], v[16:17]
	v_ashrrev_i32_e32 v13, 31, v12
	v_fmac_f64_e32 v[8:9], v[4:5], v[14:15]
	v_fmac_f64_e32 v[10:11], v[6:7], v[14:15]
	s_waitcnt lgkmcnt(0)
	v_lshl_add_u64 v[12:13], v[12:13], 4, s[2:3]
	global_store_dwordx4 v[12:13], v[8:11], off
                                        ; implicit-def: $vgpr14_vgpr15
                                        ; implicit-def: $vgpr16_vgpr17
	s_nop 1
	v_mul_f64 v[8:9], v[2:3], -v[6:7]
	v_mul_f64 v[10:11], v[4:5], v[2:3]
	v_fmac_f64_e32 v[8:9], v[4:5], v[0:1]
	v_fmac_f64_e32 v[10:11], v[6:7], v[0:1]
	global_store_dwordx4 v[12:13], v[8:11], off offset:16
                                        ; implicit-def: $vgpr4_vgpr5
                                        ; implicit-def: $vgpr6_vgpr7
                                        ; implicit-def: $vgpr8_vgpr9
                                        ; implicit-def: $vgpr10_vgpr11
                                        ; implicit-def: $vgpr12
                                        ; implicit-def: $vgpr0_vgpr1
                                        ; implicit-def: $vgpr2_vgpr3
.LBB281_23:
	s_andn2_saveexec_b64 s[0:1], s[0:1]
	s_cbranch_execz .LBB281_25
; %bb.24:
	v_lshlrev_b32_e32 v12, 1, v12
	v_ashrrev_i32_e32 v13, 31, v12
	s_waitcnt lgkmcnt(0)
	v_lshl_add_u64 v[12:13], v[12:13], 4, s[2:3]
	global_load_dwordx4 v[18:21], v[12:13], off
	global_load_dwordx4 v[22:25], v[12:13], off offset:16
	v_mul_f64 v[26:27], v[16:17], -v[6:7]
	v_mul_f64 v[16:17], v[4:5], v[16:17]
	v_mul_f64 v[28:29], v[2:3], -v[6:7]
	v_mul_f64 v[2:3], v[4:5], v[2:3]
	v_fmac_f64_e32 v[26:27], v[4:5], v[14:15]
	v_fmac_f64_e32 v[16:17], v[6:7], v[14:15]
	;; [unrolled: 1-line block ×4, first 2 shown]
	s_waitcnt vmcnt(1)
	v_fmac_f64_e32 v[26:27], v[8:9], v[18:19]
	v_fmac_f64_e32 v[16:17], v[10:11], v[18:19]
	s_waitcnt vmcnt(0)
	v_fmac_f64_e32 v[28:29], v[8:9], v[22:23]
	v_fmac_f64_e32 v[2:3], v[10:11], v[22:23]
	v_fma_f64 v[14:15], -v[10:11], v[20:21], v[26:27]
	v_fmac_f64_e32 v[16:17], v[8:9], v[20:21]
	v_fma_f64 v[0:1], -v[10:11], v[24:25], v[28:29]
	v_fmac_f64_e32 v[2:3], v[8:9], v[24:25]
	global_store_dwordx4 v[12:13], v[14:17], off
	global_store_dwordx4 v[12:13], v[0:3], off offset:16
.LBB281_25:
	s_endpgm
	.section	.rodata,"a",@progbits
	.p2align	6, 0x0
	.amdhsa_kernel _ZN9rocsparseL19gebsrmvn_2xn_kernelILj128ELj12ELj32E21rocsparse_complex_numIdEEEvi20rocsparse_direction_NS_24const_host_device_scalarIT2_EEPKiS8_PKS5_SA_S6_PS5_21rocsparse_index_base_b
		.amdhsa_group_segment_fixed_size 2048
		.amdhsa_private_segment_fixed_size 0
		.amdhsa_kernarg_size 88
		.amdhsa_user_sgpr_count 4
		.amdhsa_user_sgpr_dispatch_ptr 1
		.amdhsa_user_sgpr_queue_ptr 0
		.amdhsa_user_sgpr_kernarg_segment_ptr 1
		.amdhsa_user_sgpr_dispatch_id 0
		.amdhsa_user_sgpr_kernarg_preload_length 0
		.amdhsa_user_sgpr_kernarg_preload_offset 0
		.amdhsa_user_sgpr_private_segment_size 0
		.amdhsa_uses_dynamic_stack 0
		.amdhsa_enable_private_segment 0
		.amdhsa_system_sgpr_workgroup_id_x 1
		.amdhsa_system_sgpr_workgroup_id_y 0
		.amdhsa_system_sgpr_workgroup_id_z 0
		.amdhsa_system_sgpr_workgroup_info 0
		.amdhsa_system_vgpr_workitem_id 2
		.amdhsa_next_free_vgpr 92
		.amdhsa_next_free_sgpr 20
		.amdhsa_accum_offset 92
		.amdhsa_reserve_vcc 1
		.amdhsa_float_round_mode_32 0
		.amdhsa_float_round_mode_16_64 0
		.amdhsa_float_denorm_mode_32 3
		.amdhsa_float_denorm_mode_16_64 3
		.amdhsa_dx10_clamp 1
		.amdhsa_ieee_mode 1
		.amdhsa_fp16_overflow 0
		.amdhsa_tg_split 0
		.amdhsa_exception_fp_ieee_invalid_op 0
		.amdhsa_exception_fp_denorm_src 0
		.amdhsa_exception_fp_ieee_div_zero 0
		.amdhsa_exception_fp_ieee_overflow 0
		.amdhsa_exception_fp_ieee_underflow 0
		.amdhsa_exception_fp_ieee_inexact 0
		.amdhsa_exception_int_div_zero 0
	.end_amdhsa_kernel
	.section	.text._ZN9rocsparseL19gebsrmvn_2xn_kernelILj128ELj12ELj32E21rocsparse_complex_numIdEEEvi20rocsparse_direction_NS_24const_host_device_scalarIT2_EEPKiS8_PKS5_SA_S6_PS5_21rocsparse_index_base_b,"axG",@progbits,_ZN9rocsparseL19gebsrmvn_2xn_kernelILj128ELj12ELj32E21rocsparse_complex_numIdEEEvi20rocsparse_direction_NS_24const_host_device_scalarIT2_EEPKiS8_PKS5_SA_S6_PS5_21rocsparse_index_base_b,comdat
.Lfunc_end281:
	.size	_ZN9rocsparseL19gebsrmvn_2xn_kernelILj128ELj12ELj32E21rocsparse_complex_numIdEEEvi20rocsparse_direction_NS_24const_host_device_scalarIT2_EEPKiS8_PKS5_SA_S6_PS5_21rocsparse_index_base_b, .Lfunc_end281-_ZN9rocsparseL19gebsrmvn_2xn_kernelILj128ELj12ELj32E21rocsparse_complex_numIdEEEvi20rocsparse_direction_NS_24const_host_device_scalarIT2_EEPKiS8_PKS5_SA_S6_PS5_21rocsparse_index_base_b
                                        ; -- End function
	.section	.AMDGPU.csdata,"",@progbits
; Kernel info:
; codeLenInByte = 3520
; NumSgprs: 26
; NumVgprs: 92
; NumAgprs: 0
; TotalNumVgprs: 92
; ScratchSize: 0
; MemoryBound: 1
; FloatMode: 240
; IeeeMode: 1
; LDSByteSize: 2048 bytes/workgroup (compile time only)
; SGPRBlocks: 3
; VGPRBlocks: 11
; NumSGPRsForWavesPerEU: 26
; NumVGPRsForWavesPerEU: 92
; AccumOffset: 92
; Occupancy: 5
; WaveLimiterHint : 1
; COMPUTE_PGM_RSRC2:SCRATCH_EN: 0
; COMPUTE_PGM_RSRC2:USER_SGPR: 4
; COMPUTE_PGM_RSRC2:TRAP_HANDLER: 0
; COMPUTE_PGM_RSRC2:TGID_X_EN: 1
; COMPUTE_PGM_RSRC2:TGID_Y_EN: 0
; COMPUTE_PGM_RSRC2:TGID_Z_EN: 0
; COMPUTE_PGM_RSRC2:TIDIG_COMP_CNT: 2
; COMPUTE_PGM_RSRC3_GFX90A:ACCUM_OFFSET: 22
; COMPUTE_PGM_RSRC3_GFX90A:TG_SPLIT: 0
	.section	.text._ZN9rocsparseL19gebsrmvn_2xn_kernelILj128ELj12ELj64E21rocsparse_complex_numIdEEEvi20rocsparse_direction_NS_24const_host_device_scalarIT2_EEPKiS8_PKS5_SA_S6_PS5_21rocsparse_index_base_b,"axG",@progbits,_ZN9rocsparseL19gebsrmvn_2xn_kernelILj128ELj12ELj64E21rocsparse_complex_numIdEEEvi20rocsparse_direction_NS_24const_host_device_scalarIT2_EEPKiS8_PKS5_SA_S6_PS5_21rocsparse_index_base_b,comdat
	.globl	_ZN9rocsparseL19gebsrmvn_2xn_kernelILj128ELj12ELj64E21rocsparse_complex_numIdEEEvi20rocsparse_direction_NS_24const_host_device_scalarIT2_EEPKiS8_PKS5_SA_S6_PS5_21rocsparse_index_base_b ; -- Begin function _ZN9rocsparseL19gebsrmvn_2xn_kernelILj128ELj12ELj64E21rocsparse_complex_numIdEEEvi20rocsparse_direction_NS_24const_host_device_scalarIT2_EEPKiS8_PKS5_SA_S6_PS5_21rocsparse_index_base_b
	.p2align	8
	.type	_ZN9rocsparseL19gebsrmvn_2xn_kernelILj128ELj12ELj64E21rocsparse_complex_numIdEEEvi20rocsparse_direction_NS_24const_host_device_scalarIT2_EEPKiS8_PKS5_SA_S6_PS5_21rocsparse_index_base_b,@function
_ZN9rocsparseL19gebsrmvn_2xn_kernelILj128ELj12ELj64E21rocsparse_complex_numIdEEEvi20rocsparse_direction_NS_24const_host_device_scalarIT2_EEPKiS8_PKS5_SA_S6_PS5_21rocsparse_index_base_b: ; @_ZN9rocsparseL19gebsrmvn_2xn_kernelILj128ELj12ELj64E21rocsparse_complex_numIdEEEvi20rocsparse_direction_NS_24const_host_device_scalarIT2_EEPKiS8_PKS5_SA_S6_PS5_21rocsparse_index_base_b
; %bb.0:
	s_load_dwordx2 s[16:17], s[2:3], 0x50
	s_load_dwordx4 s[12:15], s[2:3], 0x8
	s_load_dwordx4 s[8:11], s[2:3], 0x38
	s_load_dwordx2 s[18:19], s[0:1], 0x4
	s_mov_b64 s[6:7], src_shared_base
	s_waitcnt lgkmcnt(0)
	s_bitcmp1_b32 s17, 0
	s_cselect_b64 s[0:1], -1, 0
	s_and_b64 vcc, s[0:1], exec
	s_cselect_b32 s5, s7, s13
	s_lshr_b32 s6, s18, 16
	v_bfe_u32 v2, v0, 10, 10
	v_and_b32_e32 v1, 0x3ff, v0
	s_mul_i32 s6, s6, s19
	v_mul_u32_u24_e32 v2, s19, v2
	v_mad_u32_u24 v2, s6, v1, v2
	v_bfe_u32 v0, v0, 20, 10
	v_add_lshl_u32 v0, v2, v0, 3
	v_mov_b32_e32 v6, s12
	v_add_u32_e32 v7, 0x400, v0
	v_mov_b64_e32 v[2:3], s[12:13]
	v_mov_b64_e32 v[4:5], s[8:9]
	ds_write2st64_b64 v0, v[4:5], v[2:3] offset1:2
	v_cndmask_b32_e64 v2, v6, v7, s[0:1]
	v_mov_b32_e32 v3, s5
	flat_load_dwordx2 v[4:5], v[2:3]
	s_xor_b64 s[18:19], s[0:1], -1
	v_mov_b64_e32 v[6:7], s[14:15]
	s_cbranch_vccnz .LBB282_2
; %bb.1:
	v_mov_b64_e32 v[2:3], s[12:13]
	flat_load_dwordx2 v[6:7], v[2:3] offset:8
.LBB282_2:
	s_and_b64 s[12:13], s[0:1], exec
	s_cselect_b32 s5, s7, s9
	v_mov_b32_e32 v2, s8
	v_cndmask_b32_e64 v2, v2, v0, s[0:1]
	v_mov_b32_e32 v3, s5
	flat_load_dwordx2 v[8:9], v[2:3]
	s_andn2_b64 vcc, exec, s[18:19]
	v_mov_b64_e32 v[10:11], s[10:11]
	s_cbranch_vccnz .LBB282_4
; %bb.3:
	v_mov_b64_e32 v[2:3], s[8:9]
	flat_load_dwordx2 v[10:11], v[2:3] offset:8
.LBB282_4:
	s_waitcnt vmcnt(0) lgkmcnt(0)
	v_cmp_eq_f64_e32 vcc, 0, v[4:5]
	v_cmp_eq_f64_e64 s[0:1], 0, v[6:7]
	s_and_b64 s[8:9], vcc, s[0:1]
	s_mov_b64 s[0:1], -1
	s_and_saveexec_b64 s[6:7], s[8:9]
; %bb.5:
	v_cmp_neq_f64_e32 vcc, 1.0, v[8:9]
	v_cmp_neq_f64_e64 s[0:1], 0, v[10:11]
	s_or_b64 s[0:1], vcc, s[0:1]
	s_orn2_b64 s[0:1], s[0:1], exec
; %bb.6:
	s_or_b64 exec, exec, s[6:7]
	s_and_saveexec_b64 s[6:7], s[0:1]
	s_cbranch_execz .LBB282_25
; %bb.7:
	s_load_dwordx2 s[0:1], s[2:3], 0x0
	v_lshrrev_b32_e32 v0, 6, v1
	v_lshl_or_b32 v12, s4, 1, v0
	s_waitcnt lgkmcnt(0)
	v_cmp_gt_i32_e32 vcc, s0, v12
	s_and_b64 exec, exec, vcc
	s_cbranch_execz .LBB282_25
; %bb.8:
	s_load_dwordx8 s[4:11], s[2:3], 0x18
	v_ashrrev_i32_e32 v13, 31, v12
	s_cmp_lg_u32 s1, 0
	s_waitcnt lgkmcnt(0)
	v_lshl_add_u64 v[2:3], v[12:13], 2, s[4:5]
	global_load_dwordx2 v[2:3], v[2:3], off
	v_and_b32_e32 v13, 63, v1
	s_waitcnt vmcnt(0)
	v_subrev_u32_e32 v0, s16, v2
	v_subrev_u32_e32 v32, s16, v3
	v_add_u32_e32 v18, v0, v13
	v_cmp_lt_i32_e64 s[0:1], v18, v32
	s_cbranch_scc0 .LBB282_14
; %bb.9:
	v_mov_b64_e32 v[16:17], 0
	s_mov_b64 s[4:5], 0
	v_mov_b64_e32 v[22:23], v[16:17]
	v_mov_b64_e32 v[20:21], v[16:17]
	;; [unrolled: 1-line block ×3, first 2 shown]
	s_and_saveexec_b64 s[12:13], s[0:1]
	s_cbranch_execz .LBB282_13
; %bb.10:
	v_mad_u64_u32 v[24:25], s[14:15], v18, 24, 22
	v_mov_b64_e32 v[16:17], 0
	s_mov_b64 s[14:15], 0
	v_mov_b32_e32 v27, 0
	v_mov_b32_e32 v28, v18
	v_mov_b64_e32 v[22:23], v[16:17]
	v_mov_b64_e32 v[20:21], v[16:17]
	;; [unrolled: 1-line block ×3, first 2 shown]
.LBB282_11:                             ; =>This Inner Loop Header: Depth=1
	v_ashrrev_i32_e32 v29, 31, v28
	v_subrev_u32_e32 v26, 22, v24
	v_lshl_add_u64 v[0:1], v[28:29], 2, s[6:7]
	v_lshl_add_u64 v[2:3], v[26:27], 4, s[8:9]
	global_load_dword v19, v[0:1], off
	global_load_dwordx4 v[34:37], v[2:3], off offset:48
	global_load_dwordx4 v[38:41], v[2:3], off offset:32
	;; [unrolled: 1-line block ×3, first 2 shown]
	global_load_dwordx4 v[46:49], v[2:3], off
	global_load_dwordx4 v[50:53], v[2:3], off offset:112
	global_load_dwordx4 v[54:57], v[2:3], off offset:96
	;; [unrolled: 1-line block ×4, first 2 shown]
	v_mov_b32_e32 v31, v27
	v_mov_b32_e32 v25, v27
	v_add_u32_e32 v26, -14, v24
	v_lshl_add_u64 v[78:79], v[24:25], 4, s[8:9]
	v_lshl_add_u64 v[80:81], v[26:27], 4, s[8:9]
	global_load_dwordx4 v[0:3], v[78:79], off
	global_load_dwordx4 v[66:69], v[78:79], off offset:16
	global_load_dwordx4 v[70:73], v[80:81], off offset:16
	global_load_dwordx4 v[74:77], v[80:81], off
	v_add_u32_e32 v28, 64, v28
	v_cmp_ge_i32_e32 vcc, v28, v32
	s_or_b64 s[14:15], vcc, s[14:15]
	s_waitcnt vmcnt(12)
	v_subrev_u32_e32 v19, s16, v19
	v_mul_lo_u32 v30, v19, 12
	v_lshl_add_u64 v[86:87], v[30:31], 4, s[10:11]
	global_load_dwordx4 v[78:81], v[86:87], off
	global_load_dwordx4 v[82:85], v[86:87], off offset:16
	v_add_u32_e32 v26, 4, v30
	s_waitcnt vmcnt(1)
	v_fmac_f64_e32 v[22:23], v[46:47], v[78:79]
	v_fmac_f64_e32 v[16:17], v[48:49], v[78:79]
	v_fma_f64 v[88:89], -v[48:49], v[80:81], v[22:23]
	v_fmac_f64_e32 v[16:17], v[46:47], v[80:81]
	global_load_dwordx4 v[46:49], v[86:87], off offset:32
	v_fmac_f64_e32 v[20:21], v[42:43], v[78:79]
	v_fmac_f64_e32 v[14:15], v[44:45], v[78:79]
	v_fma_f64 v[78:79], -v[44:45], v[80:81], v[20:21]
	global_load_dwordx4 v[20:23], v[86:87], off offset:48
	v_fmac_f64_e32 v[14:15], v[42:43], v[80:81]
	v_lshl_add_u64 v[86:87], v[26:27], 4, s[10:11]
	s_waitcnt vmcnt(2)
	v_fmac_f64_e32 v[88:89], v[38:39], v[82:83]
	v_fmac_f64_e32 v[16:17], v[40:41], v[82:83]
	v_add_u32_e32 v26, -12, v24
	global_load_dwordx4 v[42:45], v[86:87], off
	v_fma_f64 v[88:89], -v[40:41], v[84:85], v[88:89]
	v_fmac_f64_e32 v[16:17], v[38:39], v[84:85]
	global_load_dwordx4 v[38:41], v[86:87], off offset:16
	v_fmac_f64_e32 v[78:79], v[34:35], v[82:83]
	v_fmac_f64_e32 v[14:15], v[36:37], v[82:83]
	v_fma_f64 v[82:83], -v[36:37], v[84:85], v[78:79]
	v_fmac_f64_e32 v[14:15], v[34:35], v[84:85]
	v_lshl_add_u64 v[84:85], v[26:27], 4, s[8:9]
	global_load_dwordx4 v[34:37], v[86:87], off offset:48
	global_load_dwordx4 v[78:81], v[86:87], off offset:32
	v_add_u32_e32 v26, -10, v24
	s_waitcnt vmcnt(5)
	v_fmac_f64_e32 v[88:89], v[62:63], v[46:47]
	v_fmac_f64_e32 v[16:17], v[64:65], v[46:47]
	v_fma_f64 v[86:87], -v[64:65], v[48:49], v[88:89]
	v_fmac_f64_e32 v[16:17], v[62:63], v[48:49]
	global_load_dwordx4 v[62:65], v[84:85], off
	v_fmac_f64_e32 v[82:83], v[58:59], v[46:47]
	v_fmac_f64_e32 v[14:15], v[60:61], v[46:47]
	v_fma_f64 v[82:83], -v[60:61], v[48:49], v[82:83]
	v_fmac_f64_e32 v[14:15], v[58:59], v[48:49]
	global_load_dwordx4 v[46:49], v[84:85], off offset:16
	v_lshl_add_u64 v[84:85], v[26:27], 4, s[8:9]
	global_load_dwordx4 v[58:61], v[84:85], off
	s_waitcnt vmcnt(7)
	v_fmac_f64_e32 v[86:87], v[54:55], v[20:21]
	v_fmac_f64_e32 v[16:17], v[56:57], v[20:21]
	v_fma_f64 v[86:87], -v[56:57], v[22:23], v[86:87]
	v_fmac_f64_e32 v[16:17], v[54:55], v[22:23]
	global_load_dwordx4 v[54:57], v[84:85], off offset:16
	v_add_u32_e32 v26, -8, v24
	v_lshl_add_u64 v[88:89], v[26:27], 4, s[8:9]
	v_add_u32_e32 v26, -6, v24
	v_fmac_f64_e32 v[82:83], v[50:51], v[20:21]
	v_fmac_f64_e32 v[14:15], v[52:53], v[20:21]
	s_waitcnt vmcnt(7)
	v_fmac_f64_e32 v[86:87], v[74:75], v[42:43]
	v_fmac_f64_e32 v[16:17], v[76:77], v[42:43]
	v_lshl_add_u64 v[90:91], v[26:27], 4, s[8:9]
	v_add_u32_e32 v26, 8, v30
	v_fma_f64 v[30:31], -v[52:53], v[22:23], v[82:83]
	v_fmac_f64_e32 v[14:15], v[50:51], v[22:23]
	global_load_dwordx4 v[20:23], v[88:89], off
	global_load_dwordx4 v[50:53], v[88:89], off offset:16
	v_fma_f64 v[86:87], -v[76:77], v[44:45], v[86:87]
	v_fmac_f64_e32 v[16:17], v[74:75], v[44:45]
	v_fmac_f64_e32 v[30:31], v[70:71], v[42:43]
	v_fmac_f64_e32 v[14:15], v[72:73], v[42:43]
	v_lshl_add_u64 v[88:89], v[26:27], 4, s[10:11]
	global_load_dwordx4 v[74:77], v[90:91], off offset:16
	global_load_dwordx4 v[82:85], v[90:91], off
	v_fma_f64 v[30:31], -v[72:73], v[44:45], v[30:31]
	v_fmac_f64_e32 v[14:15], v[70:71], v[44:45]
	v_add_u32_e32 v26, -4, v24
	v_lshl_add_u64 v[72:73], v[26:27], 4, s[8:9]
	v_add_u32_e32 v26, -2, v24
	global_load_dwordx4 v[42:45], v[88:89], off offset:32
	v_lshl_add_u64 v[90:91], v[26:27], 4, s[8:9]
	v_add_u32_e32 v24, 0x600, v24
	s_waitcnt vmcnt(8)
	v_fmac_f64_e32 v[86:87], v[62:63], v[38:39]
	v_fmac_f64_e32 v[16:17], v[64:65], v[38:39]
	v_fma_f64 v[70:71], -v[64:65], v[40:41], v[86:87]
	v_fmac_f64_e32 v[16:17], v[62:63], v[40:41]
	global_load_dwordx4 v[62:65], v[88:89], off
	s_waitcnt vmcnt(8)
	v_fmac_f64_e32 v[30:31], v[46:47], v[38:39]
	v_fmac_f64_e32 v[14:15], v[48:49], v[38:39]
	s_waitcnt vmcnt(7)
	v_fmac_f64_e32 v[70:71], v[58:59], v[78:79]
	v_fmac_f64_e32 v[16:17], v[60:61], v[78:79]
	v_fma_f64 v[30:31], -v[48:49], v[40:41], v[30:31]
	v_fmac_f64_e32 v[14:15], v[46:47], v[40:41]
	global_load_dwordx4 v[38:41], v[88:89], off offset:16
	global_load_dwordx4 v[46:49], v[72:73], off
	v_fma_f64 v[86:87], -v[60:61], v[80:81], v[70:71]
	v_fmac_f64_e32 v[16:17], v[58:59], v[80:81]
	global_load_dwordx4 v[58:61], v[72:73], off offset:16
	s_waitcnt vmcnt(9)
	v_fmac_f64_e32 v[30:31], v[54:55], v[78:79]
	v_fmac_f64_e32 v[14:15], v[56:57], v[78:79]
	v_fma_f64 v[30:31], -v[56:57], v[80:81], v[30:31]
	v_fmac_f64_e32 v[14:15], v[54:55], v[80:81]
	global_load_dwordx4 v[54:57], v[90:91], off
	global_load_dwordx4 v[70:73], v[90:91], off offset:16
	global_load_dwordx4 v[78:81], v[88:89], off offset:48
	s_waitcnt vmcnt(11)
	v_fmac_f64_e32 v[86:87], v[20:21], v[34:35]
	v_fmac_f64_e32 v[16:17], v[22:23], v[34:35]
	s_waitcnt vmcnt(10)
	v_fmac_f64_e32 v[30:31], v[50:51], v[34:35]
	v_fmac_f64_e32 v[14:15], v[52:53], v[34:35]
	v_fma_f64 v[22:23], -v[22:23], v[36:37], v[86:87]
	v_fmac_f64_e32 v[16:17], v[20:21], v[36:37]
	v_fma_f64 v[20:21], -v[52:53], v[36:37], v[30:31]
	v_fmac_f64_e32 v[14:15], v[50:51], v[36:37]
	s_waitcnt vmcnt(6)
	v_fmac_f64_e32 v[22:23], v[82:83], v[62:63]
	v_fmac_f64_e32 v[16:17], v[84:85], v[62:63]
	;; [unrolled: 1-line block ×4, first 2 shown]
	v_fma_f64 v[22:23], -v[84:85], v[64:65], v[22:23]
	v_fmac_f64_e32 v[16:17], v[82:83], v[64:65]
	v_fma_f64 v[20:21], -v[76:77], v[64:65], v[20:21]
	v_fmac_f64_e32 v[14:15], v[74:75], v[64:65]
	s_waitcnt vmcnt(4)
	v_fmac_f64_e32 v[22:23], v[46:47], v[38:39]
	v_fmac_f64_e32 v[16:17], v[48:49], v[38:39]
	v_fma_f64 v[22:23], -v[48:49], v[40:41], v[22:23]
	s_waitcnt vmcnt(3)
	v_fmac_f64_e32 v[20:21], v[58:59], v[38:39]
	v_fmac_f64_e32 v[14:15], v[60:61], v[38:39]
	;; [unrolled: 1-line block ×3, first 2 shown]
	v_fma_f64 v[20:21], -v[60:61], v[40:41], v[20:21]
	v_fmac_f64_e32 v[14:15], v[58:59], v[40:41]
	s_waitcnt vmcnt(2)
	v_fmac_f64_e32 v[22:23], v[54:55], v[42:43]
	v_fmac_f64_e32 v[16:17], v[56:57], v[42:43]
	s_waitcnt vmcnt(1)
	v_fmac_f64_e32 v[20:21], v[70:71], v[42:43]
	v_fmac_f64_e32 v[14:15], v[72:73], v[42:43]
	v_fma_f64 v[22:23], -v[56:57], v[44:45], v[22:23]
	v_fmac_f64_e32 v[16:17], v[54:55], v[44:45]
	v_fma_f64 v[20:21], -v[72:73], v[44:45], v[20:21]
	v_fmac_f64_e32 v[14:15], v[70:71], v[44:45]
	s_waitcnt vmcnt(0)
	v_fmac_f64_e32 v[22:23], v[0:1], v[78:79]
	v_fmac_f64_e32 v[16:17], v[2:3], v[78:79]
	;; [unrolled: 1-line block ×4, first 2 shown]
	v_fma_f64 v[22:23], -v[2:3], v[80:81], v[22:23]
	v_fmac_f64_e32 v[16:17], v[0:1], v[80:81]
	v_fma_f64 v[20:21], -v[68:69], v[80:81], v[20:21]
	v_fmac_f64_e32 v[14:15], v[66:67], v[80:81]
	s_andn2_b64 exec, exec, s[14:15]
	s_cbranch_execnz .LBB282_11
; %bb.12:
	s_or_b64 exec, exec, s[14:15]
.LBB282_13:
	s_or_b64 exec, exec, s[12:13]
	s_andn2_b64 vcc, exec, s[4:5]
	s_cbranch_vccz .LBB282_15
	s_branch .LBB282_20
.LBB282_14:
                                        ; implicit-def: $vgpr16_vgpr17
                                        ; implicit-def: $vgpr22_vgpr23
                                        ; implicit-def: $vgpr20_vgpr21
                                        ; implicit-def: $vgpr14_vgpr15
.LBB282_15:
	v_mov_b64_e32 v[16:17], 0
	v_mov_b64_e32 v[22:23], v[16:17]
	;; [unrolled: 1-line block ×4, first 2 shown]
	s_and_saveexec_b64 s[4:5], s[0:1]
	s_cbranch_execz .LBB282_19
; %bb.16:
	v_mad_u64_u32 v[0:1], s[0:1], v18, 24, 23
	v_mov_b64_e32 v[16:17], 0
	s_mov_b64 s[0:1], 0
	v_mov_b32_e32 v3, 0
	v_mov_b64_e32 v[22:23], v[16:17]
	v_mov_b64_e32 v[20:21], v[16:17]
	;; [unrolled: 1-line block ×3, first 2 shown]
.LBB282_17:                             ; =>This Inner Loop Header: Depth=1
	v_ashrrev_i32_e32 v19, 31, v18
	v_subrev_u32_e32 v2, 23, v0
	v_add_u32_e32 v26, -11, v0
	v_mov_b32_e32 v27, v3
	v_mov_b32_e32 v1, v3
	v_lshl_add_u64 v[30:31], v[18:19], 2, s[6:7]
	v_lshl_add_u64 v[66:67], v[2:3], 4, s[8:9]
	;; [unrolled: 1-line block ×4, first 2 shown]
	global_load_dword v1, v[30:31], off
	global_load_dwordx4 v[26:29], v[66:67], off offset:48
	global_load_dwordx4 v[34:37], v[66:67], off offset:32
	;; [unrolled: 1-line block ×3, first 2 shown]
	global_load_dwordx4 v[42:45], v[66:67], off
	global_load_dwordx4 v[46:49], v[50:51], off
	v_mov_b32_e32 v25, v3
	global_load_dwordx4 v[50:53], v[66:67], off offset:112
	global_load_dwordx4 v[54:57], v[66:67], off offset:96
	;; [unrolled: 1-line block ×4, first 2 shown]
	v_add_u32_e32 v2, -10, v0
	v_lshl_add_u64 v[30:31], v[2:3], 4, s[8:9]
	v_add_u32_e32 v2, -9, v0
	v_add_u32_e32 v18, 64, v18
	v_cmp_ge_i32_e32 vcc, v18, v32
	s_or_b64 s[0:1], vcc, s[0:1]
	s_waitcnt vmcnt(9)
	v_subrev_u32_e32 v1, s16, v1
	v_mul_lo_u32 v24, v1, 12
	v_lshl_add_u64 v[80:81], v[24:25], 4, s[10:11]
	global_load_dwordx4 v[66:69], v[80:81], off
	global_load_dwordx4 v[70:73], v[80:81], off offset:16
	s_waitcnt vmcnt(1)
	v_fmac_f64_e32 v[22:23], v[42:43], v[66:67]
	v_fmac_f64_e32 v[16:17], v[44:45], v[66:67]
	v_fma_f64 v[82:83], -v[44:45], v[68:69], v[22:23]
	v_fmac_f64_e32 v[16:17], v[42:43], v[68:69]
	global_load_dwordx4 v[42:45], v[78:79], off
	global_load_dwordx4 v[74:77], v[30:31], off
	v_fmac_f64_e32 v[20:21], v[46:47], v[66:67]
	v_fmac_f64_e32 v[14:15], v[48:49], v[66:67]
	v_lshl_add_u64 v[66:67], v[2:3], 4, s[8:9]
	v_add_u32_e32 v2, -8, v0
	s_waitcnt vmcnt(2)
	v_fmac_f64_e32 v[82:83], v[38:39], v[70:71]
	v_fmac_f64_e32 v[16:17], v[40:41], v[70:71]
	v_fma_f64 v[30:31], -v[48:49], v[68:69], v[20:21]
	v_fmac_f64_e32 v[14:15], v[46:47], v[68:69]
	v_lshl_add_u64 v[68:69], v[2:3], 4, s[8:9]
	global_load_dwordx4 v[20:23], v[66:67], off
	global_load_dwordx4 v[46:49], v[68:69], off
	v_fma_f64 v[78:79], -v[40:41], v[72:73], v[82:83]
	v_fmac_f64_e32 v[16:17], v[38:39], v[72:73]
	global_load_dwordx4 v[38:41], v[80:81], off offset:32
	global_load_dwordx4 v[66:69], v[80:81], off offset:48
	v_add_u32_e32 v2, 4, v24
	s_waitcnt vmcnt(4)
	v_fmac_f64_e32 v[14:15], v[76:77], v[70:71]
	v_fmac_f64_e32 v[30:31], v[74:75], v[70:71]
	;; [unrolled: 1-line block ×3, first 2 shown]
	v_lshl_add_u64 v[74:75], v[2:3], 4, s[10:11]
	v_fma_f64 v[30:31], -v[76:77], v[72:73], v[30:31]
	global_load_dwordx4 v[70:73], v[74:75], off
	v_add_u32_e32 v2, -7, v0
	s_waitcnt vmcnt(2)
	v_fmac_f64_e32 v[78:79], v[34:35], v[38:39]
	v_fmac_f64_e32 v[16:17], v[36:37], v[38:39]
	v_fma_f64 v[76:77], -v[36:37], v[40:41], v[78:79]
	v_fmac_f64_e32 v[16:17], v[34:35], v[40:41]
	global_load_dwordx4 v[34:37], v[74:75], off offset:16
	v_fmac_f64_e32 v[30:31], v[20:21], v[38:39]
	v_fmac_f64_e32 v[14:15], v[22:23], v[38:39]
	v_fma_f64 v[30:31], -v[22:23], v[40:41], v[30:31]
	v_fmac_f64_e32 v[14:15], v[20:21], v[40:41]
	global_load_dwordx4 v[20:23], v[74:75], off offset:48
	global_load_dwordx4 v[38:41], v[74:75], off offset:32
	v_lshl_add_u64 v[74:75], v[2:3], 4, s[8:9]
	s_waitcnt vmcnt(4)
	v_fmac_f64_e32 v[76:77], v[26:27], v[66:67]
	v_fmac_f64_e32 v[16:17], v[28:29], v[66:67]
	v_add_u32_e32 v2, -6, v0
	v_fma_f64 v[76:77], -v[28:29], v[68:69], v[76:77]
	v_fmac_f64_e32 v[16:17], v[26:27], v[68:69]
	global_load_dwordx4 v[26:29], v[74:75], off
	v_lshl_add_u64 v[74:75], v[2:3], 4, s[8:9]
	v_fmac_f64_e32 v[30:31], v[46:47], v[66:67]
	v_fmac_f64_e32 v[14:15], v[48:49], v[66:67]
	v_fma_f64 v[30:31], -v[48:49], v[68:69], v[30:31]
	v_fmac_f64_e32 v[14:15], v[46:47], v[68:69]
	global_load_dwordx4 v[46:49], v[74:75], off
	v_add_u32_e32 v2, -5, v0
	v_lshl_add_u64 v[66:67], v[2:3], 4, s[8:9]
	global_load_dwordx4 v[66:69], v[66:67], off
	v_add_u32_e32 v2, -4, v0
	v_lshl_add_u64 v[74:75], v[2:3], 4, s[8:9]
	v_add_u32_e32 v2, -15, v0
	s_waitcnt vmcnt(6)
	v_fmac_f64_e32 v[76:77], v[62:63], v[70:71]
	v_fmac_f64_e32 v[16:17], v[64:65], v[70:71]
	v_fma_f64 v[78:79], -v[64:65], v[72:73], v[76:77]
	v_fmac_f64_e32 v[16:17], v[62:63], v[72:73]
	global_load_dwordx4 v[62:65], v[74:75], off
	v_lshl_add_u64 v[74:75], v[2:3], 4, s[8:9]
	v_add_u32_e32 v2, 8, v24
	global_load_dwordx4 v[74:77], v[74:75], off
	s_waitcnt vmcnt(7)
	v_fmac_f64_e32 v[78:79], v[58:59], v[34:35]
	v_fmac_f64_e32 v[16:17], v[60:61], v[34:35]
	v_fma_f64 v[60:61], -v[60:61], v[36:37], v[78:79]
	v_fmac_f64_e32 v[16:17], v[58:59], v[36:37]
	s_waitcnt vmcnt(5)
	v_fmac_f64_e32 v[60:61], v[54:55], v[38:39]
	v_fmac_f64_e32 v[16:17], v[56:57], v[38:39]
	v_fma_f64 v[80:81], -v[56:57], v[40:41], v[60:61]
	v_fmac_f64_e32 v[16:17], v[54:55], v[40:41]
	v_fmac_f64_e32 v[16:17], v[52:53], v[20:21]
	;; [unrolled: 1-line block ×4, first 2 shown]
	s_waitcnt vmcnt(4)
	v_fmac_f64_e32 v[30:31], v[26:27], v[70:71]
	v_fmac_f64_e32 v[14:15], v[28:29], v[70:71]
	v_fma_f64 v[70:71], -v[28:29], v[72:73], v[30:31]
	v_fmac_f64_e32 v[14:15], v[26:27], v[72:73]
	v_lshl_add_u64 v[72:73], v[2:3], 4, s[10:11]
	v_add_u32_e32 v2, -3, v0
	s_waitcnt vmcnt(3)
	v_fmac_f64_e32 v[70:71], v[46:47], v[34:35]
	v_fmac_f64_e32 v[14:15], v[48:49], v[34:35]
	global_load_dwordx4 v[24:27], v[72:73], off
	global_load_dwordx4 v[28:31], v[72:73], off offset:16
	v_fma_f64 v[70:71], -v[48:49], v[36:37], v[70:71]
	v_fmac_f64_e32 v[14:15], v[46:47], v[36:37]
	global_load_dwordx4 v[34:37], v[72:73], off offset:48
	global_load_dwordx4 v[46:49], v[72:73], off offset:32
	v_lshl_add_u64 v[72:73], v[2:3], 4, s[8:9]
	v_add_u32_e32 v2, -14, v0
	v_lshl_add_u64 v[78:79], v[2:3], 4, s[8:9]
	v_add_u32_e32 v2, -2, v0
	global_load_dwordx4 v[54:57], v[72:73], off
	global_load_dwordx4 v[58:61], v[78:79], off
	v_lshl_add_u64 v[72:73], v[2:3], 4, s[8:9]
	v_add_u32_e32 v2, -13, v0
	s_waitcnt vmcnt(8)
	v_fmac_f64_e32 v[70:71], v[66:67], v[38:39]
	v_fmac_f64_e32 v[14:15], v[68:69], v[38:39]
	v_lshl_add_u64 v[78:79], v[2:3], 4, s[8:9]
	v_add_u32_e32 v2, -1, v0
	v_fma_f64 v[70:71], -v[68:69], v[40:41], v[70:71]
	v_fmac_f64_e32 v[14:15], v[66:67], v[40:41]
	global_load_dwordx4 v[38:41], v[72:73], off
	global_load_dwordx4 v[66:69], v[78:79], off
	v_lshl_add_u64 v[50:51], v[2:3], 4, s[8:9]
	v_fma_f64 v[72:73], -v[52:53], v[22:23], v[80:81]
	v_add_u32_e32 v2, -12, v0
	global_load_dwordx4 v[50:53], v[50:51], off
	v_add_u32_e32 v0, 0x600, v0
	s_waitcnt vmcnt(10)
	v_fmac_f64_e32 v[70:71], v[62:63], v[20:21]
	v_fmac_f64_e32 v[14:15], v[64:65], v[20:21]
	v_lshl_add_u64 v[20:21], v[2:3], 4, s[8:9]
	v_fma_f64 v[64:65], -v[64:65], v[22:23], v[70:71]
	v_fmac_f64_e32 v[14:15], v[62:63], v[22:23]
	global_load_dwordx4 v[20:23], v[20:21], off
	s_waitcnt vmcnt(9)
	v_fmac_f64_e32 v[72:73], v[74:75], v[24:25]
	v_fmac_f64_e32 v[16:17], v[76:77], v[24:25]
	;; [unrolled: 1-line block ×3, first 2 shown]
	s_waitcnt vmcnt(5)
	v_fmac_f64_e32 v[64:65], v[54:55], v[24:25]
	v_fmac_f64_e32 v[14:15], v[56:57], v[24:25]
	v_fma_f64 v[24:25], -v[76:77], v[26:27], v[72:73]
	v_fma_f64 v[56:57], -v[56:57], v[26:27], v[64:65]
	v_fmac_f64_e32 v[14:15], v[54:55], v[26:27]
	s_waitcnt vmcnt(4)
	v_fmac_f64_e32 v[24:25], v[58:59], v[28:29]
	v_fmac_f64_e32 v[16:17], v[60:61], v[28:29]
	v_fma_f64 v[24:25], -v[60:61], v[30:31], v[24:25]
	v_fmac_f64_e32 v[16:17], v[58:59], v[30:31]
	s_waitcnt vmcnt(3)
	v_fmac_f64_e32 v[56:57], v[38:39], v[28:29]
	v_fmac_f64_e32 v[14:15], v[40:41], v[28:29]
	v_fma_f64 v[26:27], -v[40:41], v[30:31], v[56:57]
	v_fmac_f64_e32 v[14:15], v[38:39], v[30:31]
	s_waitcnt vmcnt(2)
	v_fmac_f64_e32 v[24:25], v[66:67], v[46:47]
	v_fmac_f64_e32 v[16:17], v[68:69], v[46:47]
	s_waitcnt vmcnt(1)
	v_fmac_f64_e32 v[26:27], v[50:51], v[46:47]
	v_fmac_f64_e32 v[14:15], v[52:53], v[46:47]
	v_fma_f64 v[24:25], -v[68:69], v[48:49], v[24:25]
	v_fmac_f64_e32 v[16:17], v[66:67], v[48:49]
	v_fma_f64 v[26:27], -v[52:53], v[48:49], v[26:27]
	v_fmac_f64_e32 v[14:15], v[50:51], v[48:49]
	v_fmac_f64_e32 v[26:27], v[42:43], v[34:35]
	;; [unrolled: 1-line block ×4, first 2 shown]
	s_waitcnt vmcnt(0)
	v_fmac_f64_e32 v[24:25], v[20:21], v[34:35]
	v_fmac_f64_e32 v[16:17], v[22:23], v[34:35]
	v_fma_f64 v[22:23], -v[22:23], v[36:37], v[24:25]
	v_fmac_f64_e32 v[16:17], v[20:21], v[36:37]
	v_fma_f64 v[20:21], -v[44:45], v[36:37], v[26:27]
	s_andn2_b64 exec, exec, s[0:1]
	s_cbranch_execnz .LBB282_17
; %bb.18:
	s_or_b64 exec, exec, s[0:1]
.LBB282_19:
	s_or_b64 exec, exec, s[4:5]
.LBB282_20:
	v_mov_b32_dpp v0, v22 row_shr:1 row_mask:0xf bank_mask:0xf
	v_mov_b32_dpp v1, v23 row_shr:1 row_mask:0xf bank_mask:0xf
	v_add_f64 v[0:1], v[22:23], v[0:1]
	v_mov_b32_dpp v18, v16 row_shr:1 row_mask:0xf bank_mask:0xf
	v_mov_b32_dpp v19, v17 row_shr:1 row_mask:0xf bank_mask:0xf
	;; [unrolled: 1-line block ×6, first 2 shown]
	v_add_f64 v[16:17], v[16:17], v[18:19]
	v_add_f64 v[20:21], v[20:21], v[22:23]
	v_add_f64 v[14:15], v[14:15], v[24:25]
	v_mov_b32_dpp v2, v0 row_shr:2 row_mask:0xf bank_mask:0xf
	v_mov_b32_dpp v3, v1 row_shr:2 row_mask:0xf bank_mask:0xf
	v_mov_b32_dpp v18, v16 row_shr:2 row_mask:0xf bank_mask:0xf
	v_mov_b32_dpp v19, v17 row_shr:2 row_mask:0xf bank_mask:0xf
	v_mov_b32_dpp v22, v20 row_shr:2 row_mask:0xf bank_mask:0xf
	v_mov_b32_dpp v23, v21 row_shr:2 row_mask:0xf bank_mask:0xf
	v_mov_b32_dpp v24, v14 row_shr:2 row_mask:0xf bank_mask:0xf
	v_mov_b32_dpp v25, v15 row_shr:2 row_mask:0xf bank_mask:0xf
	v_add_f64 v[0:1], v[0:1], v[2:3]
	v_add_f64 v[16:17], v[16:17], v[18:19]
	v_add_f64 v[20:21], v[20:21], v[22:23]
	v_add_f64 v[14:15], v[14:15], v[24:25]
	v_mov_b32_dpp v2, v0 row_shr:4 row_mask:0xf bank_mask:0xe
	v_mov_b32_dpp v3, v1 row_shr:4 row_mask:0xf bank_mask:0xe
	v_mov_b32_dpp v18, v16 row_shr:4 row_mask:0xf bank_mask:0xe
	v_mov_b32_dpp v19, v17 row_shr:4 row_mask:0xf bank_mask:0xe
	v_mov_b32_dpp v22, v20 row_shr:4 row_mask:0xf bank_mask:0xe
	v_mov_b32_dpp v23, v21 row_shr:4 row_mask:0xf bank_mask:0xe
	v_mov_b32_dpp v24, v14 row_shr:4 row_mask:0xf bank_mask:0xe
	v_mov_b32_dpp v25, v15 row_shr:4 row_mask:0xf bank_mask:0xe
	v_add_f64 v[0:1], v[0:1], v[2:3]
	;; [unrolled: 12-line block ×3, first 2 shown]
	v_add_f64 v[16:17], v[16:17], v[18:19]
	v_add_f64 v[20:21], v[20:21], v[22:23]
	;; [unrolled: 1-line block ×3, first 2 shown]
	v_mov_b32_dpp v2, v0 row_bcast:15 row_mask:0xa bank_mask:0xf
	v_mov_b32_dpp v3, v1 row_bcast:15 row_mask:0xa bank_mask:0xf
	;; [unrolled: 1-line block ×8, first 2 shown]
	v_add_f64 v[0:1], v[0:1], v[2:3]
	v_add_f64 v[16:17], v[16:17], v[18:19]
	;; [unrolled: 1-line block ×4, first 2 shown]
	v_mov_b32_dpp v2, v0 row_bcast:31 row_mask:0xc bank_mask:0xf
	v_mov_b32_dpp v3, v1 row_bcast:31 row_mask:0xc bank_mask:0xf
	;; [unrolled: 1-line block ×8, first 2 shown]
	v_cmp_eq_u32_e32 vcc, 63, v13
	s_and_b64 exec, exec, vcc
	s_cbranch_execz .LBB282_25
; %bb.21:
	s_load_dwordx2 s[2:3], s[2:3], 0x48
	v_cmp_eq_f64_e32 vcc, 0, v[8:9]
	v_cmp_eq_f64_e64 s[0:1], 0, v[10:11]
	v_add_f64 v[14:15], v[0:1], v[2:3]
	v_add_f64 v[16:17], v[16:17], v[18:19]
	;; [unrolled: 1-line block ×4, first 2 shown]
	s_and_b64 s[0:1], vcc, s[0:1]
	s_and_saveexec_b64 s[4:5], s[0:1]
	s_xor_b64 s[0:1], exec, s[4:5]
	s_cbranch_execz .LBB282_23
; %bb.22:
	v_lshlrev_b32_e32 v12, 1, v12
	v_mul_f64 v[8:9], v[16:17], -v[6:7]
	v_mul_f64 v[10:11], v[4:5], v[16:17]
	v_ashrrev_i32_e32 v13, 31, v12
	v_fmac_f64_e32 v[8:9], v[4:5], v[14:15]
	v_fmac_f64_e32 v[10:11], v[6:7], v[14:15]
	s_waitcnt lgkmcnt(0)
	v_lshl_add_u64 v[12:13], v[12:13], 4, s[2:3]
	global_store_dwordx4 v[12:13], v[8:11], off
                                        ; implicit-def: $vgpr14_vgpr15
                                        ; implicit-def: $vgpr16_vgpr17
	s_nop 1
	v_mul_f64 v[8:9], v[2:3], -v[6:7]
	v_mul_f64 v[10:11], v[4:5], v[2:3]
	v_fmac_f64_e32 v[8:9], v[4:5], v[0:1]
	v_fmac_f64_e32 v[10:11], v[6:7], v[0:1]
	global_store_dwordx4 v[12:13], v[8:11], off offset:16
                                        ; implicit-def: $vgpr4_vgpr5
                                        ; implicit-def: $vgpr6_vgpr7
                                        ; implicit-def: $vgpr8_vgpr9
                                        ; implicit-def: $vgpr10_vgpr11
                                        ; implicit-def: $vgpr12
                                        ; implicit-def: $vgpr0_vgpr1
                                        ; implicit-def: $vgpr2_vgpr3
.LBB282_23:
	s_andn2_saveexec_b64 s[0:1], s[0:1]
	s_cbranch_execz .LBB282_25
; %bb.24:
	v_lshlrev_b32_e32 v12, 1, v12
	v_ashrrev_i32_e32 v13, 31, v12
	s_waitcnt lgkmcnt(0)
	v_lshl_add_u64 v[12:13], v[12:13], 4, s[2:3]
	global_load_dwordx4 v[18:21], v[12:13], off
	global_load_dwordx4 v[22:25], v[12:13], off offset:16
	v_mul_f64 v[26:27], v[16:17], -v[6:7]
	v_mul_f64 v[16:17], v[4:5], v[16:17]
	v_mul_f64 v[28:29], v[2:3], -v[6:7]
	v_mul_f64 v[2:3], v[4:5], v[2:3]
	v_fmac_f64_e32 v[26:27], v[4:5], v[14:15]
	v_fmac_f64_e32 v[16:17], v[6:7], v[14:15]
	;; [unrolled: 1-line block ×4, first 2 shown]
	s_waitcnt vmcnt(1)
	v_fmac_f64_e32 v[26:27], v[8:9], v[18:19]
	v_fmac_f64_e32 v[16:17], v[10:11], v[18:19]
	s_waitcnt vmcnt(0)
	v_fmac_f64_e32 v[28:29], v[8:9], v[22:23]
	v_fmac_f64_e32 v[2:3], v[10:11], v[22:23]
	v_fma_f64 v[14:15], -v[10:11], v[20:21], v[26:27]
	v_fmac_f64_e32 v[16:17], v[8:9], v[20:21]
	v_fma_f64 v[0:1], -v[10:11], v[24:25], v[28:29]
	v_fmac_f64_e32 v[2:3], v[8:9], v[24:25]
	global_store_dwordx4 v[12:13], v[14:17], off
	global_store_dwordx4 v[12:13], v[0:3], off offset:16
.LBB282_25:
	s_endpgm
	.section	.rodata,"a",@progbits
	.p2align	6, 0x0
	.amdhsa_kernel _ZN9rocsparseL19gebsrmvn_2xn_kernelILj128ELj12ELj64E21rocsparse_complex_numIdEEEvi20rocsparse_direction_NS_24const_host_device_scalarIT2_EEPKiS8_PKS5_SA_S6_PS5_21rocsparse_index_base_b
		.amdhsa_group_segment_fixed_size 2048
		.amdhsa_private_segment_fixed_size 0
		.amdhsa_kernarg_size 88
		.amdhsa_user_sgpr_count 4
		.amdhsa_user_sgpr_dispatch_ptr 1
		.amdhsa_user_sgpr_queue_ptr 0
		.amdhsa_user_sgpr_kernarg_segment_ptr 1
		.amdhsa_user_sgpr_dispatch_id 0
		.amdhsa_user_sgpr_kernarg_preload_length 0
		.amdhsa_user_sgpr_kernarg_preload_offset 0
		.amdhsa_user_sgpr_private_segment_size 0
		.amdhsa_uses_dynamic_stack 0
		.amdhsa_enable_private_segment 0
		.amdhsa_system_sgpr_workgroup_id_x 1
		.amdhsa_system_sgpr_workgroup_id_y 0
		.amdhsa_system_sgpr_workgroup_id_z 0
		.amdhsa_system_sgpr_workgroup_info 0
		.amdhsa_system_vgpr_workitem_id 2
		.amdhsa_next_free_vgpr 92
		.amdhsa_next_free_sgpr 20
		.amdhsa_accum_offset 92
		.amdhsa_reserve_vcc 1
		.amdhsa_float_round_mode_32 0
		.amdhsa_float_round_mode_16_64 0
		.amdhsa_float_denorm_mode_32 3
		.amdhsa_float_denorm_mode_16_64 3
		.amdhsa_dx10_clamp 1
		.amdhsa_ieee_mode 1
		.amdhsa_fp16_overflow 0
		.amdhsa_tg_split 0
		.amdhsa_exception_fp_ieee_invalid_op 0
		.amdhsa_exception_fp_denorm_src 0
		.amdhsa_exception_fp_ieee_div_zero 0
		.amdhsa_exception_fp_ieee_overflow 0
		.amdhsa_exception_fp_ieee_underflow 0
		.amdhsa_exception_fp_ieee_inexact 0
		.amdhsa_exception_int_div_zero 0
	.end_amdhsa_kernel
	.section	.text._ZN9rocsparseL19gebsrmvn_2xn_kernelILj128ELj12ELj64E21rocsparse_complex_numIdEEEvi20rocsparse_direction_NS_24const_host_device_scalarIT2_EEPKiS8_PKS5_SA_S6_PS5_21rocsparse_index_base_b,"axG",@progbits,_ZN9rocsparseL19gebsrmvn_2xn_kernelILj128ELj12ELj64E21rocsparse_complex_numIdEEEvi20rocsparse_direction_NS_24const_host_device_scalarIT2_EEPKiS8_PKS5_SA_S6_PS5_21rocsparse_index_base_b,comdat
.Lfunc_end282:
	.size	_ZN9rocsparseL19gebsrmvn_2xn_kernelILj128ELj12ELj64E21rocsparse_complex_numIdEEEvi20rocsparse_direction_NS_24const_host_device_scalarIT2_EEPKiS8_PKS5_SA_S6_PS5_21rocsparse_index_base_b, .Lfunc_end282-_ZN9rocsparseL19gebsrmvn_2xn_kernelILj128ELj12ELj64E21rocsparse_complex_numIdEEEvi20rocsparse_direction_NS_24const_host_device_scalarIT2_EEPKiS8_PKS5_SA_S6_PS5_21rocsparse_index_base_b
                                        ; -- End function
	.section	.AMDGPU.csdata,"",@progbits
; Kernel info:
; codeLenInByte = 3616
; NumSgprs: 26
; NumVgprs: 92
; NumAgprs: 0
; TotalNumVgprs: 92
; ScratchSize: 0
; MemoryBound: 1
; FloatMode: 240
; IeeeMode: 1
; LDSByteSize: 2048 bytes/workgroup (compile time only)
; SGPRBlocks: 3
; VGPRBlocks: 11
; NumSGPRsForWavesPerEU: 26
; NumVGPRsForWavesPerEU: 92
; AccumOffset: 92
; Occupancy: 5
; WaveLimiterHint : 1
; COMPUTE_PGM_RSRC2:SCRATCH_EN: 0
; COMPUTE_PGM_RSRC2:USER_SGPR: 4
; COMPUTE_PGM_RSRC2:TRAP_HANDLER: 0
; COMPUTE_PGM_RSRC2:TGID_X_EN: 1
; COMPUTE_PGM_RSRC2:TGID_Y_EN: 0
; COMPUTE_PGM_RSRC2:TGID_Z_EN: 0
; COMPUTE_PGM_RSRC2:TIDIG_COMP_CNT: 2
; COMPUTE_PGM_RSRC3_GFX90A:ACCUM_OFFSET: 22
; COMPUTE_PGM_RSRC3_GFX90A:TG_SPLIT: 0
	.section	.text._ZN9rocsparseL19gebsrmvn_2xn_kernelILj128ELj13ELj4E21rocsparse_complex_numIdEEEvi20rocsparse_direction_NS_24const_host_device_scalarIT2_EEPKiS8_PKS5_SA_S6_PS5_21rocsparse_index_base_b,"axG",@progbits,_ZN9rocsparseL19gebsrmvn_2xn_kernelILj128ELj13ELj4E21rocsparse_complex_numIdEEEvi20rocsparse_direction_NS_24const_host_device_scalarIT2_EEPKiS8_PKS5_SA_S6_PS5_21rocsparse_index_base_b,comdat
	.globl	_ZN9rocsparseL19gebsrmvn_2xn_kernelILj128ELj13ELj4E21rocsparse_complex_numIdEEEvi20rocsparse_direction_NS_24const_host_device_scalarIT2_EEPKiS8_PKS5_SA_S6_PS5_21rocsparse_index_base_b ; -- Begin function _ZN9rocsparseL19gebsrmvn_2xn_kernelILj128ELj13ELj4E21rocsparse_complex_numIdEEEvi20rocsparse_direction_NS_24const_host_device_scalarIT2_EEPKiS8_PKS5_SA_S6_PS5_21rocsparse_index_base_b
	.p2align	8
	.type	_ZN9rocsparseL19gebsrmvn_2xn_kernelILj128ELj13ELj4E21rocsparse_complex_numIdEEEvi20rocsparse_direction_NS_24const_host_device_scalarIT2_EEPKiS8_PKS5_SA_S6_PS5_21rocsparse_index_base_b,@function
_ZN9rocsparseL19gebsrmvn_2xn_kernelILj128ELj13ELj4E21rocsparse_complex_numIdEEEvi20rocsparse_direction_NS_24const_host_device_scalarIT2_EEPKiS8_PKS5_SA_S6_PS5_21rocsparse_index_base_b: ; @_ZN9rocsparseL19gebsrmvn_2xn_kernelILj128ELj13ELj4E21rocsparse_complex_numIdEEEvi20rocsparse_direction_NS_24const_host_device_scalarIT2_EEPKiS8_PKS5_SA_S6_PS5_21rocsparse_index_base_b
; %bb.0:
	s_load_dwordx2 s[16:17], s[2:3], 0x50
	s_load_dwordx4 s[12:15], s[2:3], 0x8
	s_load_dwordx4 s[8:11], s[2:3], 0x38
	s_load_dwordx2 s[18:19], s[0:1], 0x4
	s_mov_b64 s[6:7], src_shared_base
	s_waitcnt lgkmcnt(0)
	s_bitcmp1_b32 s17, 0
	s_cselect_b64 s[0:1], -1, 0
	s_and_b64 vcc, s[0:1], exec
	s_cselect_b32 s5, s7, s13
	s_lshr_b32 s6, s18, 16
	v_bfe_u32 v3, v0, 10, 10
	v_and_b32_e32 v2, 0x3ff, v0
	s_mul_i32 s6, s6, s19
	v_mul_u32_u24_e32 v3, s19, v3
	v_mad_u32_u24 v3, s6, v2, v3
	v_bfe_u32 v0, v0, 20, 10
	v_add_lshl_u32 v0, v3, v0, 3
	v_mov_b32_e32 v1, s12
	v_add_u32_e32 v3, 0x400, v0
	v_mov_b64_e32 v[4:5], s[12:13]
	v_mov_b64_e32 v[6:7], s[8:9]
	ds_write2st64_b64 v0, v[6:7], v[4:5] offset1:2
	v_cndmask_b32_e64 v4, v1, v3, s[0:1]
	v_mov_b32_e32 v5, s5
	flat_load_dwordx2 v[4:5], v[4:5]
	s_xor_b64 s[18:19], s[0:1], -1
	v_mov_b64_e32 v[6:7], s[14:15]
	s_cbranch_vccnz .LBB283_2
; %bb.1:
	v_mov_b64_e32 v[6:7], s[12:13]
	flat_load_dwordx2 v[6:7], v[6:7] offset:8
.LBB283_2:
	s_and_b64 s[12:13], s[0:1], exec
	s_cselect_b32 s5, s7, s9
	v_mov_b32_e32 v1, s8
	v_cndmask_b32_e64 v0, v1, v0, s[0:1]
	v_mov_b32_e32 v1, s5
	flat_load_dwordx2 v[8:9], v[0:1]
	s_andn2_b64 vcc, exec, s[18:19]
	v_mov_b64_e32 v[10:11], s[10:11]
	s_cbranch_vccnz .LBB283_4
; %bb.3:
	v_mov_b64_e32 v[0:1], s[8:9]
	flat_load_dwordx2 v[10:11], v[0:1] offset:8
.LBB283_4:
	s_waitcnt vmcnt(0) lgkmcnt(0)
	v_cmp_eq_f64_e32 vcc, 0, v[4:5]
	v_cmp_eq_f64_e64 s[0:1], 0, v[6:7]
	s_and_b64 s[8:9], vcc, s[0:1]
	s_mov_b64 s[0:1], -1
	s_and_saveexec_b64 s[6:7], s[8:9]
; %bb.5:
	v_cmp_neq_f64_e32 vcc, 1.0, v[8:9]
	v_cmp_neq_f64_e64 s[0:1], 0, v[10:11]
	s_or_b64 s[0:1], vcc, s[0:1]
	s_orn2_b64 s[0:1], s[0:1], exec
; %bb.6:
	s_or_b64 exec, exec, s[6:7]
	s_and_saveexec_b64 s[6:7], s[0:1]
	s_cbranch_execz .LBB283_29
; %bb.7:
	s_load_dwordx2 s[0:1], s[2:3], 0x0
	v_lshrrev_b32_e32 v0, 2, v2
	v_lshl_or_b32 v12, s4, 5, v0
	s_waitcnt lgkmcnt(0)
	v_cmp_gt_i32_e32 vcc, s0, v12
	s_and_b64 exec, exec, vcc
	s_cbranch_execz .LBB283_29
; %bb.8:
	s_load_dwordx8 s[4:11], s[2:3], 0x18
	v_ashrrev_i32_e32 v13, 31, v12
	s_cmp_lg_u32 s1, 0
	s_waitcnt lgkmcnt(0)
	v_lshl_add_u64 v[0:1], v[12:13], 2, s[4:5]
	global_load_dwordx2 v[0:1], v[0:1], off
	v_and_b32_e32 v13, 3, v2
	s_waitcnt vmcnt(0)
	v_subrev_u32_e32 v2, s16, v0
	v_subrev_u32_e32 v34, s16, v1
	v_add_u32_e32 v14, v2, v13
	v_cmp_lt_i32_e64 s[0:1], v14, v34
	s_cbranch_scc0 .LBB283_16
; %bb.9:
	v_mov_b64_e32 v[16:17], 0
	s_mov_b64 s[4:5], 0
	v_mov_b64_e32 v[22:23], v[16:17]
	v_mov_b64_e32 v[20:21], v[16:17]
	;; [unrolled: 1-line block ×3, first 2 shown]
	s_and_saveexec_b64 s[12:13], s[0:1]
	s_cbranch_execz .LBB283_18
; %bb.10:
	v_mul_lo_u32 v0, v0, 26
	v_mad_u32_u24 v0, v13, 26, v0
	s_mul_i32 s14, s16, 26
	v_mov_b64_e32 v[16:17], 0
	v_mul_lo_u32 v15, v14, 26
	v_subrev_u32_e32 v35, s14, v0
	s_mov_b64 s[14:15], 0
	v_mov_b32_e32 v1, 0
	v_mov_b32_e32 v2, v14
	v_mov_b64_e32 v[22:23], v[16:17]
	v_mov_b64_e32 v[20:21], v[16:17]
	v_mov_b64_e32 v[18:19], v[16:17]
	s_branch .LBB283_12
.LBB283_11:                             ;   in Loop: Header=BB283_12 Depth=1
	v_add_u32_e32 v2, 4, v2
	v_cmp_ge_i32_e32 vcc, v2, v34
	v_add_u32_e32 v15, 0x68, v15
	s_or_b64 s[14:15], vcc, s[14:15]
	v_add_u32_e32 v35, 0x68, v35
	s_andn2_b64 exec, exec, s[14:15]
	s_cbranch_execz .LBB283_17
.LBB283_12:                             ; =>This Loop Header: Depth=1
                                        ;     Child Loop BB283_14 Depth 2
	v_ashrrev_i32_e32 v3, 31, v2
	v_lshl_add_u64 v[24:25], v[2:3], 2, s[6:7]
	global_load_dword v0, v[24:25], off
	s_mov_b32 s17, 0
	v_mov_b64_e32 v[26:27], v[16:17]
	v_mov_b64_e32 v[30:31], v[22:23]
	;; [unrolled: 1-line block ×4, first 2 shown]
	s_waitcnt vmcnt(0)
	v_subrev_u32_e32 v0, s16, v0
	v_mul_lo_u32 v24, v0, 13
	s_branch .LBB283_14
.LBB283_13:                             ;   in Loop: Header=BB283_12 Depth=1
                                        ; implicit-def: $vgpr28_vgpr29
                                        ; implicit-def: $vgpr32_vgpr33
                                        ; implicit-def: $vgpr30_vgpr31
                                        ; implicit-def: $vgpr26_vgpr27
                                        ; implicit-def: $sgpr17
                                        ; implicit-def: $vgpr24
	s_branch .LBB283_11
.LBB283_14:                             ;   Parent Loop BB283_12 Depth=1
                                        ; =>  This Inner Loop Header: Depth=2
	v_add_u32_e32 v0, s17, v35
	v_mov_b32_e32 v25, v1
	v_lshl_add_u64 v[16:17], v[0:1], 4, s[8:9]
	v_lshl_add_u64 v[18:19], v[24:25], 4, s[10:11]
	global_load_dwordx4 v[36:39], v[16:17], off
	global_load_dwordx4 v[40:43], v[18:19], off
	global_load_dwordx4 v[44:47], v[16:17], off offset:16
	s_cmp_eq_u32 s17, 24
	s_waitcnt vmcnt(1)
	v_fmac_f64_e32 v[26:27], v[38:39], v[40:41]
	s_waitcnt vmcnt(0)
	v_fmac_f64_e32 v[28:29], v[46:47], v[40:41]
	v_fmac_f64_e32 v[30:31], v[36:37], v[40:41]
	;; [unrolled: 1-line block ×3, first 2 shown]
	v_mov_b64_e32 v[16:17], v[26:27]
	v_mov_b64_e32 v[18:19], v[28:29]
	v_fma_f64 v[22:23], -v[38:39], v[42:43], v[30:31]
	v_fma_f64 v[20:21], -v[46:47], v[42:43], v[32:33]
	v_fmac_f64_e32 v[16:17], v[36:37], v[42:43]
	v_fmac_f64_e32 v[18:19], v[44:45], v[42:43]
	s_cbranch_scc1 .LBB283_13
; %bb.15:                               ;   in Loop: Header=BB283_14 Depth=2
	v_add_u32_e32 v3, s17, v15
	v_add_u32_e32 v0, 2, v3
	v_lshl_add_u64 v[26:27], v[0:1], 4, s[8:9]
	v_add_u32_e32 v0, 1, v24
	v_lshl_add_u64 v[32:33], v[0:1], 4, s[10:11]
	v_add_u32_e32 v0, 4, v3
	global_load_dwordx4 v[28:31], v[32:33], off
	global_load_dwordx4 v[36:39], v[26:27], off
	global_load_dwordx4 v[40:43], v[26:27], off offset:16
	v_lshl_add_u64 v[26:27], v[0:1], 4, s[8:9]
	v_add_u32_e32 v0, 2, v24
	v_lshl_add_u64 v[32:33], v[0:1], 4, s[10:11]
	v_add_u32_e32 v0, 6, v3
	global_load_dwordx4 v[44:47], v[32:33], off
	global_load_dwordx4 v[48:51], v[26:27], off
	global_load_dwordx4 v[52:55], v[26:27], off offset:16
	v_lshl_add_u64 v[26:27], v[0:1], 4, s[8:9]
	v_add_u32_e32 v0, 3, v24
	v_lshl_add_u64 v[32:33], v[0:1], 4, s[10:11]
	global_load_dwordx4 v[56:59], v[32:33], off
	global_load_dwordx4 v[60:63], v[26:27], off
	global_load_dwordx4 v[64:67], v[26:27], off offset:16
	s_add_i32 s17, s17, 8
	v_add_u32_e32 v24, 4, v24
	s_waitcnt vmcnt(7)
	v_fma_f64 v[32:33], v[36:37], v[28:29], v[22:23]
	v_fma_f64 v[26:27], v[38:39], v[28:29], v[16:17]
	s_waitcnt vmcnt(6)
	v_fma_f64 v[68:69], v[40:41], v[28:29], v[20:21]
	v_fma_f64 v[28:29], v[42:43], v[28:29], v[18:19]
	v_fma_f64 v[32:33], -v[38:39], v[30:31], v[32:33]
	v_fmac_f64_e32 v[26:27], v[36:37], v[30:31]
	v_fma_f64 v[36:37], -v[42:43], v[30:31], v[68:69]
	v_fmac_f64_e32 v[28:29], v[40:41], v[30:31]
	s_waitcnt vmcnt(4)
	v_fmac_f64_e32 v[32:33], v[48:49], v[44:45]
	v_fmac_f64_e32 v[26:27], v[50:51], v[44:45]
	s_waitcnt vmcnt(3)
	v_fmac_f64_e32 v[36:37], v[52:53], v[44:45]
	v_fmac_f64_e32 v[28:29], v[54:55], v[44:45]
	v_fma_f64 v[30:31], -v[50:51], v[46:47], v[32:33]
	v_fmac_f64_e32 v[26:27], v[48:49], v[46:47]
	v_fma_f64 v[32:33], -v[54:55], v[46:47], v[36:37]
	v_fmac_f64_e32 v[28:29], v[52:53], v[46:47]
	s_waitcnt vmcnt(1)
	v_fmac_f64_e32 v[30:31], v[60:61], v[56:57]
	v_fmac_f64_e32 v[26:27], v[62:63], v[56:57]
	s_waitcnt vmcnt(0)
	v_fmac_f64_e32 v[32:33], v[64:65], v[56:57]
	v_fmac_f64_e32 v[28:29], v[66:67], v[56:57]
	v_fma_f64 v[30:31], -v[62:63], v[58:59], v[30:31]
	v_fmac_f64_e32 v[26:27], v[60:61], v[58:59]
	v_fma_f64 v[32:33], -v[66:67], v[58:59], v[32:33]
	v_fmac_f64_e32 v[28:29], v[64:65], v[58:59]
	s_cbranch_execnz .LBB283_14
	s_branch .LBB283_11
.LBB283_16:
                                        ; implicit-def: $vgpr16_vgpr17
                                        ; implicit-def: $vgpr22_vgpr23
                                        ; implicit-def: $vgpr20_vgpr21
                                        ; implicit-def: $vgpr18_vgpr19
	s_branch .LBB283_19
.LBB283_17:
	s_or_b64 exec, exec, s[14:15]
.LBB283_18:
	s_or_b64 exec, exec, s[12:13]
	s_andn2_b64 vcc, exec, s[4:5]
	s_cbranch_vccnz .LBB283_24
.LBB283_19:
	v_mov_b64_e32 v[16:17], 0
	v_mov_b64_e32 v[22:23], v[16:17]
	;; [unrolled: 1-line block ×4, first 2 shown]
	s_and_saveexec_b64 s[4:5], s[0:1]
	s_cbranch_execz .LBB283_23
; %bb.20:
	v_mad_u64_u32 v[24:25], s[0:1], v14, 26, 25
	v_mov_b64_e32 v[16:17], 0
	s_mov_b64 s[0:1], 0
	v_mov_b32_e32 v27, 0
	v_mov_b64_e32 v[22:23], v[16:17]
	v_mov_b64_e32 v[20:21], v[16:17]
	;; [unrolled: 1-line block ×3, first 2 shown]
.LBB283_21:                             ; =>This Inner Loop Header: Depth=1
	v_ashrrev_i32_e32 v15, 31, v14
	v_subrev_u32_e32 v26, 25, v24
	v_add_u32_e32 v0, -12, v24
	v_mov_b32_e32 v1, v27
	v_mov_b32_e32 v25, v27
	v_lshl_add_u64 v[44:45], v[14:15], 2, s[6:7]
	v_lshl_add_u64 v[46:47], v[26:27], 4, s[8:9]
	;; [unrolled: 1-line block ×4, first 2 shown]
	global_load_dword v15, v[44:45], off
	global_load_dwordx4 v[30:33], v[46:47], off offset:16
	global_load_dwordx4 v[36:39], v[46:47], off
	global_load_dwordx4 v[40:43], v[48:49], off
	;; [unrolled: 1-line block ×3, first 2 shown]
	v_mov_b32_e32 v29, v27
	v_add_u32_e32 v14, 4, v14
	v_cmp_ge_i32_e32 vcc, v14, v34
	s_or_b64 s[0:1], vcc, s[0:1]
	s_waitcnt vmcnt(4)
	v_subrev_u32_e32 v15, s16, v15
	v_mul_lo_u32 v28, v15, 13
	v_lshl_add_u64 v[44:45], v[28:29], 4, s[10:11]
	global_load_dwordx4 v[44:47], v[44:45], off
	v_add_u32_e32 v26, 1, v28
	v_lshl_add_u64 v[48:49], v[26:27], 4, s[10:11]
	global_load_dwordx4 v[48:51], v[48:49], off
	v_add_u32_e32 v26, -11, v24
	v_lshl_add_u64 v[52:53], v[26:27], 4, s[8:9]
	global_load_dwordx4 v[52:55], v[52:53], off
	v_subrev_u32_e32 v26, 23, v24
	v_lshl_add_u64 v[56:57], v[26:27], 4, s[8:9]
	v_add_u32_e32 v26, 2, v28
	v_lshl_add_u64 v[60:61], v[26:27], 4, s[10:11]
	global_load_dwordx4 v[56:59], v[56:57], off
	v_add_u32_e32 v26, -10, v24
	global_load_dwordx4 v[60:63], v[60:61], off
	v_lshl_add_u64 v[64:65], v[26:27], 4, s[8:9]
	v_subrev_u32_e32 v26, 22, v24
	global_load_dwordx4 v[64:67], v[64:65], off
	v_lshl_add_u64 v[68:69], v[26:27], 4, s[8:9]
	global_load_dwordx4 v[68:71], v[68:69], off
	v_add_u32_e32 v26, 3, v28
	v_lshl_add_u64 v[72:73], v[26:27], 4, s[10:11]
	v_add_u32_e32 v26, -9, v24
	global_load_dwordx4 v[72:75], v[72:73], off
	v_lshl_add_u64 v[76:77], v[26:27], 4, s[8:9]
	v_subrev_u32_e32 v26, 21, v24
	s_waitcnt vmcnt(7)
	v_fmac_f64_e32 v[22:23], v[36:37], v[44:45]
	v_fmac_f64_e32 v[16:17], v[38:39], v[44:45]
	v_fma_f64 v[78:79], -v[38:39], v[46:47], v[22:23]
	v_fmac_f64_e32 v[16:17], v[36:37], v[46:47]
	global_load_dwordx4 v[36:39], v[76:77], off
	v_lshl_add_u64 v[22:23], v[26:27], 4, s[8:9]
	v_add_u32_e32 v26, 4, v28
	v_fmac_f64_e32 v[18:19], v[42:43], v[44:45]
	v_fmac_f64_e32 v[20:21], v[40:41], v[44:45]
	;; [unrolled: 1-line block ×3, first 2 shown]
	v_lshl_add_u64 v[40:41], v[26:27], 4, s[10:11]
	v_add_u32_e32 v26, -8, v24
	v_fma_f64 v[44:45], -v[42:43], v[46:47], v[20:21]
	global_load_dwordx4 v[20:23], v[22:23], off
	v_lshl_add_u64 v[46:47], v[26:27], 4, s[8:9]
	global_load_dwordx4 v[40:43], v[40:41], off
	v_subrev_u32_e32 v26, 20, v24
	s_waitcnt vmcnt(9)
	v_fmac_f64_e32 v[78:79], v[30:31], v[48:49]
	v_fmac_f64_e32 v[16:17], v[32:33], v[48:49]
	v_fma_f64 v[76:77], -v[32:33], v[50:51], v[78:79]
	v_fmac_f64_e32 v[16:17], v[30:31], v[50:51]
	global_load_dwordx4 v[30:33], v[46:47], off
	v_lshl_add_u64 v[46:47], v[26:27], 4, s[8:9]
	v_add_u32_e32 v26, 5, v28
	s_waitcnt vmcnt(9)
	v_fmac_f64_e32 v[44:45], v[52:53], v[48:49]
	v_fmac_f64_e32 v[18:19], v[54:55], v[48:49]
	v_lshl_add_u64 v[48:49], v[26:27], 4, s[10:11]
	v_fma_f64 v[78:79], -v[54:55], v[50:51], v[44:45]
	v_fmac_f64_e32 v[18:19], v[52:53], v[50:51]
	global_load_dwordx4 v[44:47], v[46:47], off
	v_add_u32_e32 v26, -7, v24
	global_load_dwordx4 v[48:51], v[48:49], off
	v_lshl_add_u64 v[52:53], v[26:27], 4, s[8:9]
	v_subrev_u32_e32 v26, 19, v24
	global_load_dwordx4 v[52:55], v[52:53], off
	s_waitcnt vmcnt(10)
	v_fmac_f64_e32 v[16:17], v[58:59], v[60:61]
	v_fmac_f64_e32 v[76:77], v[56:57], v[60:61]
	;; [unrolled: 1-line block ×3, first 2 shown]
	v_lshl_add_u64 v[56:57], v[26:27], 4, s[8:9]
	v_add_u32_e32 v26, 6, v28
	s_waitcnt vmcnt(9)
	v_fmac_f64_e32 v[78:79], v[64:65], v[60:61]
	v_fmac_f64_e32 v[18:19], v[66:67], v[60:61]
	v_lshl_add_u64 v[60:61], v[26:27], 4, s[10:11]
	v_add_u32_e32 v26, -6, v24
	v_fmac_f64_e32 v[18:19], v[64:65], v[62:63]
	v_lshl_add_u64 v[64:65], v[26:27], 4, s[8:9]
	v_fma_f64 v[76:77], -v[58:59], v[62:63], v[76:77]
	v_fma_f64 v[78:79], -v[66:67], v[62:63], v[78:79]
	global_load_dwordx4 v[60:63], v[60:61], off
	v_subrev_u32_e32 v26, 18, v24
	s_waitcnt vmcnt(8)
	v_fmac_f64_e32 v[16:17], v[70:71], v[72:73]
	global_load_dwordx4 v[64:67], v[64:65], off
	v_fmac_f64_e32 v[76:77], v[68:69], v[72:73]
	global_load_dwordx4 v[56:59], v[56:57], off
	v_fmac_f64_e32 v[16:17], v[68:69], v[74:75]
	v_lshl_add_u64 v[68:69], v[26:27], 4, s[8:9]
	v_add_u32_e32 v26, 7, v28
	v_fma_f64 v[76:77], -v[70:71], v[74:75], v[76:77]
	s_waitcnt vmcnt(9)
	v_fmac_f64_e32 v[78:79], v[36:37], v[72:73]
	v_fmac_f64_e32 v[18:19], v[38:39], v[72:73]
	v_fma_f64 v[72:73], -v[38:39], v[74:75], v[78:79]
	v_fmac_f64_e32 v[18:19], v[36:37], v[74:75]
	global_load_dwordx4 v[36:39], v[68:69], off
	v_lshl_add_u64 v[68:69], v[26:27], 4, s[10:11]
	v_add_u32_e32 v26, -5, v24
	global_load_dwordx4 v[68:71], v[68:69], off
	v_lshl_add_u64 v[74:75], v[26:27], 4, s[8:9]
	v_subrev_u32_e32 v26, 17, v24
	s_waitcnt vmcnt(9)
	v_fmac_f64_e32 v[76:77], v[20:21], v[40:41]
	v_fmac_f64_e32 v[16:17], v[22:23], v[40:41]
	v_fma_f64 v[76:77], -v[22:23], v[42:43], v[76:77]
	v_fmac_f64_e32 v[16:17], v[20:21], v[42:43]
	global_load_dwordx4 v[20:23], v[74:75], off
	v_lshl_add_u64 v[74:75], v[26:27], 4, s[8:9]
	v_add_u32_e32 v26, 8, v28
	s_waitcnt vmcnt(9)
	v_fmac_f64_e32 v[72:73], v[30:31], v[40:41]
	v_fmac_f64_e32 v[18:19], v[32:33], v[40:41]
	v_lshl_add_u64 v[40:41], v[26:27], 4, s[10:11]
	v_add_u32_e32 v26, -4, v24
	v_fma_f64 v[72:73], -v[32:33], v[42:43], v[72:73]
	v_fmac_f64_e32 v[18:19], v[30:31], v[42:43]
	global_load_dwordx4 v[30:33], v[74:75], off
	v_lshl_add_u64 v[74:75], v[26:27], 4, s[8:9]
	global_load_dwordx4 v[40:43], v[40:41], off
	s_waitcnt vmcnt(9)
	v_fmac_f64_e32 v[76:77], v[44:45], v[48:49]
	v_fmac_f64_e32 v[16:17], v[46:47], v[48:49]
	v_fma_f64 v[76:77], -v[46:47], v[50:51], v[76:77]
	v_fmac_f64_e32 v[16:17], v[44:45], v[50:51]
	global_load_dwordx4 v[44:47], v[74:75], off
	v_add_u32_e32 v26, -16, v24
	v_lshl_add_u64 v[74:75], v[26:27], 4, s[8:9]
	v_add_u32_e32 v26, 9, v28
	s_waitcnt vmcnt(9)
	v_fmac_f64_e32 v[18:19], v[54:55], v[48:49]
	v_fmac_f64_e32 v[72:73], v[52:53], v[48:49]
	;; [unrolled: 1-line block ×3, first 2 shown]
	v_lshl_add_u64 v[52:53], v[26:27], 4, s[10:11]
	v_add_u32_e32 v26, -3, v24
	v_fma_f64 v[72:73], -v[54:55], v[50:51], v[72:73]
	global_load_dwordx4 v[48:51], v[74:75], off
	v_lshl_add_u64 v[74:75], v[26:27], 4, s[8:9]
	v_add_u32_e32 v26, -15, v24
	v_lshl_add_u64 v[78:79], v[26:27], 4, s[8:9]
	v_add_u32_e32 v26, 10, v28
	global_load_dwordx4 v[52:55], v[52:53], off
	s_waitcnt vmcnt(9)
	v_fmac_f64_e32 v[18:19], v[66:67], v[60:61]
	v_fmac_f64_e32 v[72:73], v[64:65], v[60:61]
	s_waitcnt vmcnt(8)
	v_fmac_f64_e32 v[76:77], v[56:57], v[60:61]
	v_fmac_f64_e32 v[16:17], v[58:59], v[60:61]
	;; [unrolled: 1-line block ×3, first 2 shown]
	v_lshl_add_u64 v[64:65], v[26:27], 4, s[10:11]
	v_add_u32_e32 v26, -2, v24
	v_fma_f64 v[76:77], -v[58:59], v[62:63], v[76:77]
	v_fmac_f64_e32 v[16:17], v[56:57], v[62:63]
	global_load_dwordx4 v[56:59], v[74:75], off
	v_fma_f64 v[72:73], -v[66:67], v[62:63], v[72:73]
	global_load_dwordx4 v[60:63], v[78:79], off
	v_lshl_add_u64 v[74:75], v[26:27], 4, s[8:9]
	v_add_u32_e32 v26, -14, v24
	global_load_dwordx4 v[64:67], v[64:65], off
	v_lshl_add_u64 v[78:79], v[26:27], 4, s[8:9]
	v_add_u32_e32 v26, 11, v28
	s_waitcnt vmcnt(9)
	v_fmac_f64_e32 v[76:77], v[36:37], v[68:69]
	v_fmac_f64_e32 v[16:17], v[38:39], v[68:69]
	v_fma_f64 v[76:77], -v[38:39], v[70:71], v[76:77]
	v_fmac_f64_e32 v[16:17], v[36:37], v[70:71]
	global_load_dwordx4 v[36:39], v[74:75], off
	s_waitcnt vmcnt(9)
	v_fmac_f64_e32 v[72:73], v[20:21], v[68:69]
	v_fmac_f64_e32 v[18:19], v[22:23], v[68:69]
	v_lshl_add_u64 v[68:69], v[26:27], 4, s[10:11]
	v_add_u32_e32 v26, -1, v24
	v_fma_f64 v[80:81], -v[22:23], v[70:71], v[72:73]
	v_fmac_f64_e32 v[18:19], v[20:21], v[70:71]
	global_load_dwordx4 v[20:23], v[78:79], off
	v_lshl_add_u64 v[78:79], v[26:27], 4, s[8:9]
	v_add_u32_e32 v26, -13, v24
	v_lshl_add_u64 v[82:83], v[26:27], 4, s[8:9]
	v_add_u32_e32 v26, 12, v28
	global_load_dwordx4 v[68:71], v[68:69], off
	s_waitcnt vmcnt(9)
	v_fmac_f64_e32 v[16:17], v[32:33], v[40:41]
	v_fmac_f64_e32 v[76:77], v[30:31], v[40:41]
	;; [unrolled: 1-line block ×3, first 2 shown]
	global_load_dwordx4 v[28:31], v[78:79], off
	global_load_dwordx4 v[72:75], v[82:83], off
	s_waitcnt vmcnt(10)
	v_fmac_f64_e32 v[80:81], v[44:45], v[40:41]
	v_fmac_f64_e32 v[18:19], v[46:47], v[40:41]
	v_lshl_add_u64 v[40:41], v[26:27], 4, s[10:11]
	v_fma_f64 v[32:33], -v[32:33], v[42:43], v[76:77]
	v_fma_f64 v[46:47], -v[46:47], v[42:43], v[80:81]
	v_fmac_f64_e32 v[18:19], v[44:45], v[42:43]
	global_load_dwordx4 v[40:43], v[40:41], off
	v_add_u32_e32 v24, 0x68, v24
	s_waitcnt vmcnt(9)
	v_fmac_f64_e32 v[32:33], v[48:49], v[52:53]
	v_fmac_f64_e32 v[16:17], v[50:51], v[52:53]
	v_fma_f64 v[32:33], -v[50:51], v[54:55], v[32:33]
	v_fmac_f64_e32 v[16:17], v[48:49], v[54:55]
	s_waitcnt vmcnt(8)
	v_fmac_f64_e32 v[46:47], v[56:57], v[52:53]
	v_fmac_f64_e32 v[18:19], v[58:59], v[52:53]
	v_fma_f64 v[44:45], -v[58:59], v[54:55], v[46:47]
	v_fmac_f64_e32 v[18:19], v[56:57], v[54:55]
	;; [unrolled: 5-line block ×4, first 2 shown]
	s_waitcnt vmcnt(3)
	v_fmac_f64_e32 v[32:33], v[20:21], v[68:69]
	v_fmac_f64_e32 v[16:17], v[22:23], v[68:69]
	v_fma_f64 v[22:23], -v[22:23], v[70:71], v[32:33]
	s_waitcnt vmcnt(2)
	v_fmac_f64_e32 v[38:39], v[28:29], v[68:69]
	v_fmac_f64_e32 v[18:19], v[30:31], v[68:69]
	;; [unrolled: 1-line block ×3, first 2 shown]
	v_fma_f64 v[20:21], -v[30:31], v[70:71], v[38:39]
	v_fmac_f64_e32 v[18:19], v[28:29], v[70:71]
	s_waitcnt vmcnt(0)
	v_fmac_f64_e32 v[22:23], v[72:73], v[40:41]
	v_fmac_f64_e32 v[16:17], v[74:75], v[40:41]
	v_fmac_f64_e32 v[20:21], v[0:1], v[40:41]
	v_fmac_f64_e32 v[18:19], v[2:3], v[40:41]
	v_fma_f64 v[22:23], -v[74:75], v[42:43], v[22:23]
	v_fmac_f64_e32 v[16:17], v[72:73], v[42:43]
	v_fma_f64 v[20:21], -v[2:3], v[42:43], v[20:21]
	v_fmac_f64_e32 v[18:19], v[0:1], v[42:43]
	s_andn2_b64 exec, exec, s[0:1]
	s_cbranch_execnz .LBB283_21
; %bb.22:
	s_or_b64 exec, exec, s[0:1]
.LBB283_23:
	s_or_b64 exec, exec, s[4:5]
.LBB283_24:
	v_mov_b32_dpp v14, v16 row_shr:1 row_mask:0xf bank_mask:0xf
	v_mov_b32_dpp v15, v17 row_shr:1 row_mask:0xf bank_mask:0xf
	v_add_f64 v[16:17], v[16:17], v[14:15]
	v_mov_b32_dpp v14, v20 row_shr:1 row_mask:0xf bank_mask:0xf
	v_mov_b32_dpp v15, v21 row_shr:1 row_mask:0xf bank_mask:0xf
	;; [unrolled: 1-line block ×4, first 2 shown]
	v_add_f64 v[20:21], v[20:21], v[14:15]
	v_mov_b32_dpp v14, v18 row_shr:1 row_mask:0xf bank_mask:0xf
	v_mov_b32_dpp v15, v19 row_shr:1 row_mask:0xf bank_mask:0xf
	v_add_f64 v[0:1], v[22:23], v[0:1]
	v_add_f64 v[18:19], v[18:19], v[14:15]
	v_mov_b32_dpp v22, v16 row_shr:2 row_mask:0xf bank_mask:0xf
	v_mov_b32_dpp v2, v0 row_shr:2 row_mask:0xf bank_mask:0xf
	;; [unrolled: 1-line block ×8, first 2 shown]
	v_cmp_eq_u32_e32 vcc, 3, v13
	s_and_b64 exec, exec, vcc
	s_cbranch_execz .LBB283_29
; %bb.25:
	s_load_dwordx2 s[2:3], s[2:3], 0x48
	v_cmp_eq_f64_e32 vcc, 0, v[8:9]
	v_cmp_eq_f64_e64 s[0:1], 0, v[10:11]
	v_add_f64 v[14:15], v[0:1], v[2:3]
	v_add_f64 v[16:17], v[16:17], v[22:23]
	;; [unrolled: 1-line block ×4, first 2 shown]
	s_and_b64 s[0:1], vcc, s[0:1]
	s_and_saveexec_b64 s[4:5], s[0:1]
	s_xor_b64 s[0:1], exec, s[4:5]
	s_cbranch_execz .LBB283_27
; %bb.26:
	v_lshlrev_b32_e32 v12, 1, v12
	v_mul_f64 v[8:9], v[16:17], -v[6:7]
	v_mul_f64 v[10:11], v[4:5], v[16:17]
	v_ashrrev_i32_e32 v13, 31, v12
	v_fmac_f64_e32 v[8:9], v[4:5], v[14:15]
	v_fmac_f64_e32 v[10:11], v[6:7], v[14:15]
	s_waitcnt lgkmcnt(0)
	v_lshl_add_u64 v[12:13], v[12:13], 4, s[2:3]
	global_store_dwordx4 v[12:13], v[8:11], off
                                        ; implicit-def: $vgpr14_vgpr15
                                        ; implicit-def: $vgpr16_vgpr17
	s_nop 1
	v_mul_f64 v[8:9], v[2:3], -v[6:7]
	v_mul_f64 v[10:11], v[4:5], v[2:3]
	v_fmac_f64_e32 v[8:9], v[4:5], v[0:1]
	v_fmac_f64_e32 v[10:11], v[6:7], v[0:1]
	global_store_dwordx4 v[12:13], v[8:11], off offset:16
                                        ; implicit-def: $vgpr4_vgpr5
                                        ; implicit-def: $vgpr6_vgpr7
                                        ; implicit-def: $vgpr8_vgpr9
                                        ; implicit-def: $vgpr10_vgpr11
                                        ; implicit-def: $vgpr12
                                        ; implicit-def: $vgpr0_vgpr1
                                        ; implicit-def: $vgpr2_vgpr3
.LBB283_27:
	s_andn2_saveexec_b64 s[0:1], s[0:1]
	s_cbranch_execz .LBB283_29
; %bb.28:
	v_lshlrev_b32_e32 v12, 1, v12
	v_ashrrev_i32_e32 v13, 31, v12
	s_waitcnt lgkmcnt(0)
	v_lshl_add_u64 v[12:13], v[12:13], 4, s[2:3]
	global_load_dwordx4 v[18:21], v[12:13], off
	global_load_dwordx4 v[22:25], v[12:13], off offset:16
	v_mul_f64 v[26:27], v[16:17], -v[6:7]
	v_mul_f64 v[16:17], v[4:5], v[16:17]
	v_mul_f64 v[28:29], v[2:3], -v[6:7]
	v_mul_f64 v[2:3], v[4:5], v[2:3]
	v_fmac_f64_e32 v[26:27], v[4:5], v[14:15]
	v_fmac_f64_e32 v[16:17], v[6:7], v[14:15]
	;; [unrolled: 1-line block ×4, first 2 shown]
	s_waitcnt vmcnt(1)
	v_fmac_f64_e32 v[26:27], v[8:9], v[18:19]
	v_fmac_f64_e32 v[16:17], v[10:11], v[18:19]
	s_waitcnt vmcnt(0)
	v_fmac_f64_e32 v[28:29], v[8:9], v[22:23]
	v_fmac_f64_e32 v[2:3], v[10:11], v[22:23]
	v_fma_f64 v[14:15], -v[10:11], v[20:21], v[26:27]
	v_fmac_f64_e32 v[16:17], v[8:9], v[20:21]
	v_fma_f64 v[0:1], -v[10:11], v[24:25], v[28:29]
	v_fmac_f64_e32 v[2:3], v[8:9], v[24:25]
	global_store_dwordx4 v[12:13], v[14:17], off
	global_store_dwordx4 v[12:13], v[0:3], off offset:16
.LBB283_29:
	s_endpgm
	.section	.rodata,"a",@progbits
	.p2align	6, 0x0
	.amdhsa_kernel _ZN9rocsparseL19gebsrmvn_2xn_kernelILj128ELj13ELj4E21rocsparse_complex_numIdEEEvi20rocsparse_direction_NS_24const_host_device_scalarIT2_EEPKiS8_PKS5_SA_S6_PS5_21rocsparse_index_base_b
		.amdhsa_group_segment_fixed_size 2048
		.amdhsa_private_segment_fixed_size 0
		.amdhsa_kernarg_size 88
		.amdhsa_user_sgpr_count 4
		.amdhsa_user_sgpr_dispatch_ptr 1
		.amdhsa_user_sgpr_queue_ptr 0
		.amdhsa_user_sgpr_kernarg_segment_ptr 1
		.amdhsa_user_sgpr_dispatch_id 0
		.amdhsa_user_sgpr_kernarg_preload_length 0
		.amdhsa_user_sgpr_kernarg_preload_offset 0
		.amdhsa_user_sgpr_private_segment_size 0
		.amdhsa_uses_dynamic_stack 0
		.amdhsa_enable_private_segment 0
		.amdhsa_system_sgpr_workgroup_id_x 1
		.amdhsa_system_sgpr_workgroup_id_y 0
		.amdhsa_system_sgpr_workgroup_id_z 0
		.amdhsa_system_sgpr_workgroup_info 0
		.amdhsa_system_vgpr_workitem_id 2
		.amdhsa_next_free_vgpr 84
		.amdhsa_next_free_sgpr 20
		.amdhsa_accum_offset 84
		.amdhsa_reserve_vcc 1
		.amdhsa_float_round_mode_32 0
		.amdhsa_float_round_mode_16_64 0
		.amdhsa_float_denorm_mode_32 3
		.amdhsa_float_denorm_mode_16_64 3
		.amdhsa_dx10_clamp 1
		.amdhsa_ieee_mode 1
		.amdhsa_fp16_overflow 0
		.amdhsa_tg_split 0
		.amdhsa_exception_fp_ieee_invalid_op 0
		.amdhsa_exception_fp_denorm_src 0
		.amdhsa_exception_fp_ieee_div_zero 0
		.amdhsa_exception_fp_ieee_overflow 0
		.amdhsa_exception_fp_ieee_underflow 0
		.amdhsa_exception_fp_ieee_inexact 0
		.amdhsa_exception_int_div_zero 0
	.end_amdhsa_kernel
	.section	.text._ZN9rocsparseL19gebsrmvn_2xn_kernelILj128ELj13ELj4E21rocsparse_complex_numIdEEEvi20rocsparse_direction_NS_24const_host_device_scalarIT2_EEPKiS8_PKS5_SA_S6_PS5_21rocsparse_index_base_b,"axG",@progbits,_ZN9rocsparseL19gebsrmvn_2xn_kernelILj128ELj13ELj4E21rocsparse_complex_numIdEEEvi20rocsparse_direction_NS_24const_host_device_scalarIT2_EEPKiS8_PKS5_SA_S6_PS5_21rocsparse_index_base_b,comdat
.Lfunc_end283:
	.size	_ZN9rocsparseL19gebsrmvn_2xn_kernelILj128ELj13ELj4E21rocsparse_complex_numIdEEEvi20rocsparse_direction_NS_24const_host_device_scalarIT2_EEPKiS8_PKS5_SA_S6_PS5_21rocsparse_index_base_b, .Lfunc_end283-_ZN9rocsparseL19gebsrmvn_2xn_kernelILj128ELj13ELj4E21rocsparse_complex_numIdEEEvi20rocsparse_direction_NS_24const_host_device_scalarIT2_EEPKiS8_PKS5_SA_S6_PS5_21rocsparse_index_base_b
                                        ; -- End function
	.section	.AMDGPU.csdata,"",@progbits
; Kernel info:
; codeLenInByte = 3052
; NumSgprs: 26
; NumVgprs: 84
; NumAgprs: 0
; TotalNumVgprs: 84
; ScratchSize: 0
; MemoryBound: 0
; FloatMode: 240
; IeeeMode: 1
; LDSByteSize: 2048 bytes/workgroup (compile time only)
; SGPRBlocks: 3
; VGPRBlocks: 10
; NumSGPRsForWavesPerEU: 26
; NumVGPRsForWavesPerEU: 84
; AccumOffset: 84
; Occupancy: 5
; WaveLimiterHint : 1
; COMPUTE_PGM_RSRC2:SCRATCH_EN: 0
; COMPUTE_PGM_RSRC2:USER_SGPR: 4
; COMPUTE_PGM_RSRC2:TRAP_HANDLER: 0
; COMPUTE_PGM_RSRC2:TGID_X_EN: 1
; COMPUTE_PGM_RSRC2:TGID_Y_EN: 0
; COMPUTE_PGM_RSRC2:TGID_Z_EN: 0
; COMPUTE_PGM_RSRC2:TIDIG_COMP_CNT: 2
; COMPUTE_PGM_RSRC3_GFX90A:ACCUM_OFFSET: 20
; COMPUTE_PGM_RSRC3_GFX90A:TG_SPLIT: 0
	.section	.text._ZN9rocsparseL19gebsrmvn_2xn_kernelILj128ELj13ELj8E21rocsparse_complex_numIdEEEvi20rocsparse_direction_NS_24const_host_device_scalarIT2_EEPKiS8_PKS5_SA_S6_PS5_21rocsparse_index_base_b,"axG",@progbits,_ZN9rocsparseL19gebsrmvn_2xn_kernelILj128ELj13ELj8E21rocsparse_complex_numIdEEEvi20rocsparse_direction_NS_24const_host_device_scalarIT2_EEPKiS8_PKS5_SA_S6_PS5_21rocsparse_index_base_b,comdat
	.globl	_ZN9rocsparseL19gebsrmvn_2xn_kernelILj128ELj13ELj8E21rocsparse_complex_numIdEEEvi20rocsparse_direction_NS_24const_host_device_scalarIT2_EEPKiS8_PKS5_SA_S6_PS5_21rocsparse_index_base_b ; -- Begin function _ZN9rocsparseL19gebsrmvn_2xn_kernelILj128ELj13ELj8E21rocsparse_complex_numIdEEEvi20rocsparse_direction_NS_24const_host_device_scalarIT2_EEPKiS8_PKS5_SA_S6_PS5_21rocsparse_index_base_b
	.p2align	8
	.type	_ZN9rocsparseL19gebsrmvn_2xn_kernelILj128ELj13ELj8E21rocsparse_complex_numIdEEEvi20rocsparse_direction_NS_24const_host_device_scalarIT2_EEPKiS8_PKS5_SA_S6_PS5_21rocsparse_index_base_b,@function
_ZN9rocsparseL19gebsrmvn_2xn_kernelILj128ELj13ELj8E21rocsparse_complex_numIdEEEvi20rocsparse_direction_NS_24const_host_device_scalarIT2_EEPKiS8_PKS5_SA_S6_PS5_21rocsparse_index_base_b: ; @_ZN9rocsparseL19gebsrmvn_2xn_kernelILj128ELj13ELj8E21rocsparse_complex_numIdEEEvi20rocsparse_direction_NS_24const_host_device_scalarIT2_EEPKiS8_PKS5_SA_S6_PS5_21rocsparse_index_base_b
; %bb.0:
	s_load_dwordx2 s[16:17], s[2:3], 0x50
	s_load_dwordx4 s[12:15], s[2:3], 0x8
	s_load_dwordx4 s[8:11], s[2:3], 0x38
	s_load_dwordx2 s[18:19], s[0:1], 0x4
	s_mov_b64 s[6:7], src_shared_base
	s_waitcnt lgkmcnt(0)
	s_bitcmp1_b32 s17, 0
	s_cselect_b64 s[0:1], -1, 0
	s_and_b64 vcc, s[0:1], exec
	s_cselect_b32 s5, s7, s13
	s_lshr_b32 s6, s18, 16
	v_bfe_u32 v3, v0, 10, 10
	v_and_b32_e32 v2, 0x3ff, v0
	s_mul_i32 s6, s6, s19
	v_mul_u32_u24_e32 v3, s19, v3
	v_mad_u32_u24 v3, s6, v2, v3
	v_bfe_u32 v0, v0, 20, 10
	v_add_lshl_u32 v0, v3, v0, 3
	v_mov_b32_e32 v1, s12
	v_add_u32_e32 v3, 0x400, v0
	v_mov_b64_e32 v[4:5], s[12:13]
	v_mov_b64_e32 v[6:7], s[8:9]
	ds_write2st64_b64 v0, v[6:7], v[4:5] offset1:2
	v_cndmask_b32_e64 v4, v1, v3, s[0:1]
	v_mov_b32_e32 v5, s5
	flat_load_dwordx2 v[4:5], v[4:5]
	s_xor_b64 s[18:19], s[0:1], -1
	v_mov_b64_e32 v[6:7], s[14:15]
	s_cbranch_vccnz .LBB284_2
; %bb.1:
	v_mov_b64_e32 v[6:7], s[12:13]
	flat_load_dwordx2 v[6:7], v[6:7] offset:8
.LBB284_2:
	s_and_b64 s[12:13], s[0:1], exec
	s_cselect_b32 s5, s7, s9
	v_mov_b32_e32 v1, s8
	v_cndmask_b32_e64 v0, v1, v0, s[0:1]
	v_mov_b32_e32 v1, s5
	flat_load_dwordx2 v[8:9], v[0:1]
	s_andn2_b64 vcc, exec, s[18:19]
	v_mov_b64_e32 v[10:11], s[10:11]
	s_cbranch_vccnz .LBB284_4
; %bb.3:
	v_mov_b64_e32 v[0:1], s[8:9]
	flat_load_dwordx2 v[10:11], v[0:1] offset:8
.LBB284_4:
	s_waitcnt vmcnt(0) lgkmcnt(0)
	v_cmp_eq_f64_e32 vcc, 0, v[4:5]
	v_cmp_eq_f64_e64 s[0:1], 0, v[6:7]
	s_and_b64 s[8:9], vcc, s[0:1]
	s_mov_b64 s[0:1], -1
	s_and_saveexec_b64 s[6:7], s[8:9]
; %bb.5:
	v_cmp_neq_f64_e32 vcc, 1.0, v[8:9]
	v_cmp_neq_f64_e64 s[0:1], 0, v[10:11]
	s_or_b64 s[0:1], vcc, s[0:1]
	s_orn2_b64 s[0:1], s[0:1], exec
; %bb.6:
	s_or_b64 exec, exec, s[6:7]
	s_and_saveexec_b64 s[6:7], s[0:1]
	s_cbranch_execz .LBB284_29
; %bb.7:
	s_load_dwordx2 s[0:1], s[2:3], 0x0
	v_lshrrev_b32_e32 v0, 3, v2
	v_lshl_or_b32 v12, s4, 4, v0
	s_waitcnt lgkmcnt(0)
	v_cmp_gt_i32_e32 vcc, s0, v12
	s_and_b64 exec, exec, vcc
	s_cbranch_execz .LBB284_29
; %bb.8:
	s_load_dwordx8 s[4:11], s[2:3], 0x18
	v_ashrrev_i32_e32 v13, 31, v12
	s_cmp_lg_u32 s1, 0
	s_waitcnt lgkmcnt(0)
	v_lshl_add_u64 v[0:1], v[12:13], 2, s[4:5]
	global_load_dwordx2 v[0:1], v[0:1], off
	v_and_b32_e32 v13, 7, v2
	s_waitcnt vmcnt(0)
	v_subrev_u32_e32 v2, s16, v0
	v_subrev_u32_e32 v34, s16, v1
	v_add_u32_e32 v14, v2, v13
	v_cmp_lt_i32_e64 s[0:1], v14, v34
	s_cbranch_scc0 .LBB284_16
; %bb.9:
	v_mov_b64_e32 v[16:17], 0
	s_mov_b64 s[4:5], 0
	v_mov_b64_e32 v[22:23], v[16:17]
	v_mov_b64_e32 v[20:21], v[16:17]
	;; [unrolled: 1-line block ×3, first 2 shown]
	s_and_saveexec_b64 s[12:13], s[0:1]
	s_cbranch_execz .LBB284_18
; %bb.10:
	v_mul_lo_u32 v0, v0, 26
	v_mad_u32_u24 v0, v13, 26, v0
	s_mul_i32 s14, s16, 26
	v_mov_b64_e32 v[16:17], 0
	v_mul_lo_u32 v15, v14, 26
	v_subrev_u32_e32 v35, s14, v0
	s_mov_b64 s[14:15], 0
	v_mov_b32_e32 v1, 0
	v_mov_b32_e32 v2, v14
	v_mov_b64_e32 v[22:23], v[16:17]
	v_mov_b64_e32 v[20:21], v[16:17]
	;; [unrolled: 1-line block ×3, first 2 shown]
	s_branch .LBB284_12
.LBB284_11:                             ;   in Loop: Header=BB284_12 Depth=1
	v_add_u32_e32 v2, 8, v2
	v_cmp_ge_i32_e32 vcc, v2, v34
	v_add_u32_e32 v15, 0xd0, v15
	s_or_b64 s[14:15], vcc, s[14:15]
	v_add_u32_e32 v35, 0xd0, v35
	s_andn2_b64 exec, exec, s[14:15]
	s_cbranch_execz .LBB284_17
.LBB284_12:                             ; =>This Loop Header: Depth=1
                                        ;     Child Loop BB284_14 Depth 2
	v_ashrrev_i32_e32 v3, 31, v2
	v_lshl_add_u64 v[24:25], v[2:3], 2, s[6:7]
	global_load_dword v0, v[24:25], off
	s_mov_b32 s17, 0
	v_mov_b64_e32 v[26:27], v[16:17]
	v_mov_b64_e32 v[30:31], v[22:23]
	;; [unrolled: 1-line block ×4, first 2 shown]
	s_waitcnt vmcnt(0)
	v_subrev_u32_e32 v0, s16, v0
	v_mul_lo_u32 v24, v0, 13
	s_branch .LBB284_14
.LBB284_13:                             ;   in Loop: Header=BB284_12 Depth=1
                                        ; implicit-def: $vgpr28_vgpr29
                                        ; implicit-def: $vgpr32_vgpr33
                                        ; implicit-def: $vgpr30_vgpr31
                                        ; implicit-def: $vgpr26_vgpr27
                                        ; implicit-def: $sgpr17
                                        ; implicit-def: $vgpr24
	s_branch .LBB284_11
.LBB284_14:                             ;   Parent Loop BB284_12 Depth=1
                                        ; =>  This Inner Loop Header: Depth=2
	v_add_u32_e32 v0, s17, v35
	v_mov_b32_e32 v25, v1
	v_lshl_add_u64 v[16:17], v[0:1], 4, s[8:9]
	v_lshl_add_u64 v[18:19], v[24:25], 4, s[10:11]
	global_load_dwordx4 v[36:39], v[16:17], off
	global_load_dwordx4 v[40:43], v[18:19], off
	global_load_dwordx4 v[44:47], v[16:17], off offset:16
	s_cmp_eq_u32 s17, 24
	s_waitcnt vmcnt(1)
	v_fmac_f64_e32 v[26:27], v[38:39], v[40:41]
	s_waitcnt vmcnt(0)
	v_fmac_f64_e32 v[28:29], v[46:47], v[40:41]
	v_fmac_f64_e32 v[30:31], v[36:37], v[40:41]
	;; [unrolled: 1-line block ×3, first 2 shown]
	v_mov_b64_e32 v[16:17], v[26:27]
	v_mov_b64_e32 v[18:19], v[28:29]
	v_fma_f64 v[22:23], -v[38:39], v[42:43], v[30:31]
	v_fma_f64 v[20:21], -v[46:47], v[42:43], v[32:33]
	v_fmac_f64_e32 v[16:17], v[36:37], v[42:43]
	v_fmac_f64_e32 v[18:19], v[44:45], v[42:43]
	s_cbranch_scc1 .LBB284_13
; %bb.15:                               ;   in Loop: Header=BB284_14 Depth=2
	v_add_u32_e32 v3, s17, v15
	v_add_u32_e32 v0, 2, v3
	v_lshl_add_u64 v[26:27], v[0:1], 4, s[8:9]
	v_add_u32_e32 v0, 1, v24
	v_lshl_add_u64 v[32:33], v[0:1], 4, s[10:11]
	v_add_u32_e32 v0, 4, v3
	global_load_dwordx4 v[28:31], v[32:33], off
	global_load_dwordx4 v[36:39], v[26:27], off
	global_load_dwordx4 v[40:43], v[26:27], off offset:16
	v_lshl_add_u64 v[26:27], v[0:1], 4, s[8:9]
	v_add_u32_e32 v0, 2, v24
	v_lshl_add_u64 v[32:33], v[0:1], 4, s[10:11]
	v_add_u32_e32 v0, 6, v3
	global_load_dwordx4 v[44:47], v[32:33], off
	global_load_dwordx4 v[48:51], v[26:27], off
	global_load_dwordx4 v[52:55], v[26:27], off offset:16
	v_lshl_add_u64 v[26:27], v[0:1], 4, s[8:9]
	v_add_u32_e32 v0, 3, v24
	v_lshl_add_u64 v[32:33], v[0:1], 4, s[10:11]
	global_load_dwordx4 v[56:59], v[32:33], off
	global_load_dwordx4 v[60:63], v[26:27], off
	global_load_dwordx4 v[64:67], v[26:27], off offset:16
	s_add_i32 s17, s17, 8
	v_add_u32_e32 v24, 4, v24
	s_waitcnt vmcnt(7)
	v_fma_f64 v[32:33], v[36:37], v[28:29], v[22:23]
	v_fma_f64 v[26:27], v[38:39], v[28:29], v[16:17]
	s_waitcnt vmcnt(6)
	v_fma_f64 v[68:69], v[40:41], v[28:29], v[20:21]
	v_fma_f64 v[28:29], v[42:43], v[28:29], v[18:19]
	v_fma_f64 v[32:33], -v[38:39], v[30:31], v[32:33]
	v_fmac_f64_e32 v[26:27], v[36:37], v[30:31]
	v_fma_f64 v[36:37], -v[42:43], v[30:31], v[68:69]
	v_fmac_f64_e32 v[28:29], v[40:41], v[30:31]
	s_waitcnt vmcnt(4)
	v_fmac_f64_e32 v[32:33], v[48:49], v[44:45]
	v_fmac_f64_e32 v[26:27], v[50:51], v[44:45]
	s_waitcnt vmcnt(3)
	v_fmac_f64_e32 v[36:37], v[52:53], v[44:45]
	v_fmac_f64_e32 v[28:29], v[54:55], v[44:45]
	v_fma_f64 v[30:31], -v[50:51], v[46:47], v[32:33]
	v_fmac_f64_e32 v[26:27], v[48:49], v[46:47]
	v_fma_f64 v[32:33], -v[54:55], v[46:47], v[36:37]
	v_fmac_f64_e32 v[28:29], v[52:53], v[46:47]
	s_waitcnt vmcnt(1)
	v_fmac_f64_e32 v[30:31], v[60:61], v[56:57]
	v_fmac_f64_e32 v[26:27], v[62:63], v[56:57]
	s_waitcnt vmcnt(0)
	v_fmac_f64_e32 v[32:33], v[64:65], v[56:57]
	v_fmac_f64_e32 v[28:29], v[66:67], v[56:57]
	v_fma_f64 v[30:31], -v[62:63], v[58:59], v[30:31]
	v_fmac_f64_e32 v[26:27], v[60:61], v[58:59]
	v_fma_f64 v[32:33], -v[66:67], v[58:59], v[32:33]
	v_fmac_f64_e32 v[28:29], v[64:65], v[58:59]
	s_cbranch_execnz .LBB284_14
	s_branch .LBB284_11
.LBB284_16:
                                        ; implicit-def: $vgpr16_vgpr17
                                        ; implicit-def: $vgpr22_vgpr23
                                        ; implicit-def: $vgpr20_vgpr21
                                        ; implicit-def: $vgpr18_vgpr19
	s_branch .LBB284_19
.LBB284_17:
	s_or_b64 exec, exec, s[14:15]
.LBB284_18:
	s_or_b64 exec, exec, s[12:13]
	s_andn2_b64 vcc, exec, s[4:5]
	s_cbranch_vccnz .LBB284_24
.LBB284_19:
	v_mov_b64_e32 v[16:17], 0
	v_mov_b64_e32 v[22:23], v[16:17]
	;; [unrolled: 1-line block ×4, first 2 shown]
	s_and_saveexec_b64 s[4:5], s[0:1]
	s_cbranch_execz .LBB284_23
; %bb.20:
	v_mad_u64_u32 v[24:25], s[0:1], v14, 26, 25
	v_mov_b64_e32 v[16:17], 0
	s_mov_b64 s[0:1], 0
	v_mov_b32_e32 v27, 0
	v_mov_b64_e32 v[22:23], v[16:17]
	v_mov_b64_e32 v[20:21], v[16:17]
	;; [unrolled: 1-line block ×3, first 2 shown]
.LBB284_21:                             ; =>This Inner Loop Header: Depth=1
	v_ashrrev_i32_e32 v15, 31, v14
	v_subrev_u32_e32 v26, 25, v24
	v_add_u32_e32 v0, -12, v24
	v_mov_b32_e32 v1, v27
	v_mov_b32_e32 v25, v27
	v_lshl_add_u64 v[44:45], v[14:15], 2, s[6:7]
	v_lshl_add_u64 v[46:47], v[26:27], 4, s[8:9]
	v_lshl_add_u64 v[48:49], v[0:1], 4, s[8:9]
	v_lshl_add_u64 v[50:51], v[24:25], 4, s[8:9]
	global_load_dword v15, v[44:45], off
	global_load_dwordx4 v[30:33], v[46:47], off offset:16
	global_load_dwordx4 v[36:39], v[46:47], off
	global_load_dwordx4 v[40:43], v[48:49], off
	;; [unrolled: 1-line block ×3, first 2 shown]
	v_mov_b32_e32 v29, v27
	v_add_u32_e32 v14, 8, v14
	v_cmp_ge_i32_e32 vcc, v14, v34
	s_or_b64 s[0:1], vcc, s[0:1]
	s_waitcnt vmcnt(4)
	v_subrev_u32_e32 v15, s16, v15
	v_mul_lo_u32 v28, v15, 13
	v_lshl_add_u64 v[44:45], v[28:29], 4, s[10:11]
	global_load_dwordx4 v[44:47], v[44:45], off
	v_add_u32_e32 v26, 1, v28
	v_lshl_add_u64 v[48:49], v[26:27], 4, s[10:11]
	global_load_dwordx4 v[48:51], v[48:49], off
	v_add_u32_e32 v26, -11, v24
	v_lshl_add_u64 v[52:53], v[26:27], 4, s[8:9]
	global_load_dwordx4 v[52:55], v[52:53], off
	v_subrev_u32_e32 v26, 23, v24
	v_lshl_add_u64 v[56:57], v[26:27], 4, s[8:9]
	v_add_u32_e32 v26, 2, v28
	v_lshl_add_u64 v[60:61], v[26:27], 4, s[10:11]
	global_load_dwordx4 v[56:59], v[56:57], off
	v_add_u32_e32 v26, -10, v24
	global_load_dwordx4 v[60:63], v[60:61], off
	v_lshl_add_u64 v[64:65], v[26:27], 4, s[8:9]
	v_subrev_u32_e32 v26, 22, v24
	global_load_dwordx4 v[64:67], v[64:65], off
	v_lshl_add_u64 v[68:69], v[26:27], 4, s[8:9]
	global_load_dwordx4 v[68:71], v[68:69], off
	v_add_u32_e32 v26, 3, v28
	v_lshl_add_u64 v[72:73], v[26:27], 4, s[10:11]
	v_add_u32_e32 v26, -9, v24
	global_load_dwordx4 v[72:75], v[72:73], off
	v_lshl_add_u64 v[76:77], v[26:27], 4, s[8:9]
	v_subrev_u32_e32 v26, 21, v24
	s_waitcnt vmcnt(7)
	v_fmac_f64_e32 v[22:23], v[36:37], v[44:45]
	v_fmac_f64_e32 v[16:17], v[38:39], v[44:45]
	v_fma_f64 v[78:79], -v[38:39], v[46:47], v[22:23]
	v_fmac_f64_e32 v[16:17], v[36:37], v[46:47]
	global_load_dwordx4 v[36:39], v[76:77], off
	v_lshl_add_u64 v[22:23], v[26:27], 4, s[8:9]
	v_add_u32_e32 v26, 4, v28
	v_fmac_f64_e32 v[18:19], v[42:43], v[44:45]
	v_fmac_f64_e32 v[20:21], v[40:41], v[44:45]
	;; [unrolled: 1-line block ×3, first 2 shown]
	v_lshl_add_u64 v[40:41], v[26:27], 4, s[10:11]
	v_add_u32_e32 v26, -8, v24
	v_fma_f64 v[44:45], -v[42:43], v[46:47], v[20:21]
	global_load_dwordx4 v[20:23], v[22:23], off
	v_lshl_add_u64 v[46:47], v[26:27], 4, s[8:9]
	global_load_dwordx4 v[40:43], v[40:41], off
	v_subrev_u32_e32 v26, 20, v24
	s_waitcnt vmcnt(9)
	v_fmac_f64_e32 v[78:79], v[30:31], v[48:49]
	v_fmac_f64_e32 v[16:17], v[32:33], v[48:49]
	v_fma_f64 v[76:77], -v[32:33], v[50:51], v[78:79]
	v_fmac_f64_e32 v[16:17], v[30:31], v[50:51]
	global_load_dwordx4 v[30:33], v[46:47], off
	v_lshl_add_u64 v[46:47], v[26:27], 4, s[8:9]
	v_add_u32_e32 v26, 5, v28
	s_waitcnt vmcnt(9)
	v_fmac_f64_e32 v[44:45], v[52:53], v[48:49]
	v_fmac_f64_e32 v[18:19], v[54:55], v[48:49]
	v_lshl_add_u64 v[48:49], v[26:27], 4, s[10:11]
	v_fma_f64 v[78:79], -v[54:55], v[50:51], v[44:45]
	v_fmac_f64_e32 v[18:19], v[52:53], v[50:51]
	global_load_dwordx4 v[44:47], v[46:47], off
	v_add_u32_e32 v26, -7, v24
	global_load_dwordx4 v[48:51], v[48:49], off
	v_lshl_add_u64 v[52:53], v[26:27], 4, s[8:9]
	v_subrev_u32_e32 v26, 19, v24
	global_load_dwordx4 v[52:55], v[52:53], off
	s_waitcnt vmcnt(10)
	v_fmac_f64_e32 v[16:17], v[58:59], v[60:61]
	v_fmac_f64_e32 v[76:77], v[56:57], v[60:61]
	;; [unrolled: 1-line block ×3, first 2 shown]
	v_lshl_add_u64 v[56:57], v[26:27], 4, s[8:9]
	v_add_u32_e32 v26, 6, v28
	s_waitcnt vmcnt(9)
	v_fmac_f64_e32 v[78:79], v[64:65], v[60:61]
	v_fmac_f64_e32 v[18:19], v[66:67], v[60:61]
	v_lshl_add_u64 v[60:61], v[26:27], 4, s[10:11]
	v_add_u32_e32 v26, -6, v24
	v_fmac_f64_e32 v[18:19], v[64:65], v[62:63]
	v_lshl_add_u64 v[64:65], v[26:27], 4, s[8:9]
	v_fma_f64 v[76:77], -v[58:59], v[62:63], v[76:77]
	v_fma_f64 v[78:79], -v[66:67], v[62:63], v[78:79]
	global_load_dwordx4 v[60:63], v[60:61], off
	v_subrev_u32_e32 v26, 18, v24
	s_waitcnt vmcnt(8)
	v_fmac_f64_e32 v[16:17], v[70:71], v[72:73]
	global_load_dwordx4 v[64:67], v[64:65], off
	v_fmac_f64_e32 v[76:77], v[68:69], v[72:73]
	global_load_dwordx4 v[56:59], v[56:57], off
	v_fmac_f64_e32 v[16:17], v[68:69], v[74:75]
	v_lshl_add_u64 v[68:69], v[26:27], 4, s[8:9]
	v_add_u32_e32 v26, 7, v28
	v_fma_f64 v[76:77], -v[70:71], v[74:75], v[76:77]
	s_waitcnt vmcnt(9)
	v_fmac_f64_e32 v[78:79], v[36:37], v[72:73]
	v_fmac_f64_e32 v[18:19], v[38:39], v[72:73]
	v_fma_f64 v[72:73], -v[38:39], v[74:75], v[78:79]
	v_fmac_f64_e32 v[18:19], v[36:37], v[74:75]
	global_load_dwordx4 v[36:39], v[68:69], off
	v_lshl_add_u64 v[68:69], v[26:27], 4, s[10:11]
	v_add_u32_e32 v26, -5, v24
	global_load_dwordx4 v[68:71], v[68:69], off
	v_lshl_add_u64 v[74:75], v[26:27], 4, s[8:9]
	v_subrev_u32_e32 v26, 17, v24
	s_waitcnt vmcnt(9)
	v_fmac_f64_e32 v[76:77], v[20:21], v[40:41]
	v_fmac_f64_e32 v[16:17], v[22:23], v[40:41]
	v_fma_f64 v[76:77], -v[22:23], v[42:43], v[76:77]
	v_fmac_f64_e32 v[16:17], v[20:21], v[42:43]
	global_load_dwordx4 v[20:23], v[74:75], off
	v_lshl_add_u64 v[74:75], v[26:27], 4, s[8:9]
	v_add_u32_e32 v26, 8, v28
	s_waitcnt vmcnt(9)
	v_fmac_f64_e32 v[72:73], v[30:31], v[40:41]
	v_fmac_f64_e32 v[18:19], v[32:33], v[40:41]
	v_lshl_add_u64 v[40:41], v[26:27], 4, s[10:11]
	v_add_u32_e32 v26, -4, v24
	v_fma_f64 v[72:73], -v[32:33], v[42:43], v[72:73]
	v_fmac_f64_e32 v[18:19], v[30:31], v[42:43]
	global_load_dwordx4 v[30:33], v[74:75], off
	v_lshl_add_u64 v[74:75], v[26:27], 4, s[8:9]
	global_load_dwordx4 v[40:43], v[40:41], off
	s_waitcnt vmcnt(9)
	v_fmac_f64_e32 v[76:77], v[44:45], v[48:49]
	v_fmac_f64_e32 v[16:17], v[46:47], v[48:49]
	v_fma_f64 v[76:77], -v[46:47], v[50:51], v[76:77]
	v_fmac_f64_e32 v[16:17], v[44:45], v[50:51]
	global_load_dwordx4 v[44:47], v[74:75], off
	v_add_u32_e32 v26, -16, v24
	v_lshl_add_u64 v[74:75], v[26:27], 4, s[8:9]
	v_add_u32_e32 v26, 9, v28
	s_waitcnt vmcnt(9)
	v_fmac_f64_e32 v[18:19], v[54:55], v[48:49]
	v_fmac_f64_e32 v[72:73], v[52:53], v[48:49]
	v_fmac_f64_e32 v[18:19], v[52:53], v[50:51]
	v_lshl_add_u64 v[52:53], v[26:27], 4, s[10:11]
	v_add_u32_e32 v26, -3, v24
	v_fma_f64 v[72:73], -v[54:55], v[50:51], v[72:73]
	global_load_dwordx4 v[48:51], v[74:75], off
	v_lshl_add_u64 v[74:75], v[26:27], 4, s[8:9]
	v_add_u32_e32 v26, -15, v24
	v_lshl_add_u64 v[78:79], v[26:27], 4, s[8:9]
	v_add_u32_e32 v26, 10, v28
	global_load_dwordx4 v[52:55], v[52:53], off
	s_waitcnt vmcnt(9)
	v_fmac_f64_e32 v[18:19], v[66:67], v[60:61]
	v_fmac_f64_e32 v[72:73], v[64:65], v[60:61]
	s_waitcnt vmcnt(8)
	v_fmac_f64_e32 v[76:77], v[56:57], v[60:61]
	v_fmac_f64_e32 v[16:17], v[58:59], v[60:61]
	;; [unrolled: 1-line block ×3, first 2 shown]
	v_lshl_add_u64 v[64:65], v[26:27], 4, s[10:11]
	v_add_u32_e32 v26, -2, v24
	v_fma_f64 v[76:77], -v[58:59], v[62:63], v[76:77]
	v_fmac_f64_e32 v[16:17], v[56:57], v[62:63]
	global_load_dwordx4 v[56:59], v[74:75], off
	v_fma_f64 v[72:73], -v[66:67], v[62:63], v[72:73]
	global_load_dwordx4 v[60:63], v[78:79], off
	v_lshl_add_u64 v[74:75], v[26:27], 4, s[8:9]
	v_add_u32_e32 v26, -14, v24
	global_load_dwordx4 v[64:67], v[64:65], off
	v_lshl_add_u64 v[78:79], v[26:27], 4, s[8:9]
	v_add_u32_e32 v26, 11, v28
	s_waitcnt vmcnt(9)
	v_fmac_f64_e32 v[76:77], v[36:37], v[68:69]
	v_fmac_f64_e32 v[16:17], v[38:39], v[68:69]
	v_fma_f64 v[76:77], -v[38:39], v[70:71], v[76:77]
	v_fmac_f64_e32 v[16:17], v[36:37], v[70:71]
	global_load_dwordx4 v[36:39], v[74:75], off
	s_waitcnt vmcnt(9)
	v_fmac_f64_e32 v[72:73], v[20:21], v[68:69]
	v_fmac_f64_e32 v[18:19], v[22:23], v[68:69]
	v_lshl_add_u64 v[68:69], v[26:27], 4, s[10:11]
	v_add_u32_e32 v26, -1, v24
	v_fma_f64 v[80:81], -v[22:23], v[70:71], v[72:73]
	v_fmac_f64_e32 v[18:19], v[20:21], v[70:71]
	global_load_dwordx4 v[20:23], v[78:79], off
	v_lshl_add_u64 v[78:79], v[26:27], 4, s[8:9]
	v_add_u32_e32 v26, -13, v24
	v_lshl_add_u64 v[82:83], v[26:27], 4, s[8:9]
	v_add_u32_e32 v26, 12, v28
	global_load_dwordx4 v[68:71], v[68:69], off
	s_waitcnt vmcnt(9)
	v_fmac_f64_e32 v[16:17], v[32:33], v[40:41]
	v_fmac_f64_e32 v[76:77], v[30:31], v[40:41]
	;; [unrolled: 1-line block ×3, first 2 shown]
	global_load_dwordx4 v[28:31], v[78:79], off
	global_load_dwordx4 v[72:75], v[82:83], off
	s_waitcnt vmcnt(10)
	v_fmac_f64_e32 v[80:81], v[44:45], v[40:41]
	v_fmac_f64_e32 v[18:19], v[46:47], v[40:41]
	v_lshl_add_u64 v[40:41], v[26:27], 4, s[10:11]
	v_fma_f64 v[32:33], -v[32:33], v[42:43], v[76:77]
	v_fma_f64 v[46:47], -v[46:47], v[42:43], v[80:81]
	v_fmac_f64_e32 v[18:19], v[44:45], v[42:43]
	global_load_dwordx4 v[40:43], v[40:41], off
	v_add_u32_e32 v24, 0xd0, v24
	s_waitcnt vmcnt(9)
	v_fmac_f64_e32 v[32:33], v[48:49], v[52:53]
	v_fmac_f64_e32 v[16:17], v[50:51], v[52:53]
	v_fma_f64 v[32:33], -v[50:51], v[54:55], v[32:33]
	v_fmac_f64_e32 v[16:17], v[48:49], v[54:55]
	s_waitcnt vmcnt(8)
	v_fmac_f64_e32 v[46:47], v[56:57], v[52:53]
	v_fmac_f64_e32 v[18:19], v[58:59], v[52:53]
	v_fma_f64 v[44:45], -v[58:59], v[54:55], v[46:47]
	v_fmac_f64_e32 v[18:19], v[56:57], v[54:55]
	;; [unrolled: 5-line block ×4, first 2 shown]
	s_waitcnt vmcnt(3)
	v_fmac_f64_e32 v[32:33], v[20:21], v[68:69]
	v_fmac_f64_e32 v[16:17], v[22:23], v[68:69]
	v_fma_f64 v[22:23], -v[22:23], v[70:71], v[32:33]
	s_waitcnt vmcnt(2)
	v_fmac_f64_e32 v[38:39], v[28:29], v[68:69]
	v_fmac_f64_e32 v[18:19], v[30:31], v[68:69]
	;; [unrolled: 1-line block ×3, first 2 shown]
	v_fma_f64 v[20:21], -v[30:31], v[70:71], v[38:39]
	v_fmac_f64_e32 v[18:19], v[28:29], v[70:71]
	s_waitcnt vmcnt(0)
	v_fmac_f64_e32 v[22:23], v[72:73], v[40:41]
	v_fmac_f64_e32 v[16:17], v[74:75], v[40:41]
	v_fmac_f64_e32 v[20:21], v[0:1], v[40:41]
	v_fmac_f64_e32 v[18:19], v[2:3], v[40:41]
	v_fma_f64 v[22:23], -v[74:75], v[42:43], v[22:23]
	v_fmac_f64_e32 v[16:17], v[72:73], v[42:43]
	v_fma_f64 v[20:21], -v[2:3], v[42:43], v[20:21]
	v_fmac_f64_e32 v[18:19], v[0:1], v[42:43]
	s_andn2_b64 exec, exec, s[0:1]
	s_cbranch_execnz .LBB284_21
; %bb.22:
	s_or_b64 exec, exec, s[0:1]
.LBB284_23:
	s_or_b64 exec, exec, s[4:5]
.LBB284_24:
	v_mov_b32_dpp v14, v16 row_shr:1 row_mask:0xf bank_mask:0xf
	v_mov_b32_dpp v15, v17 row_shr:1 row_mask:0xf bank_mask:0xf
	v_add_f64 v[14:15], v[16:17], v[14:15]
	v_mov_b32_dpp v0, v22 row_shr:1 row_mask:0xf bank_mask:0xf
	v_mov_b32_dpp v1, v23 row_shr:1 row_mask:0xf bank_mask:0xf
	;; [unrolled: 1-line block ×4, first 2 shown]
	v_add_f64 v[16:17], v[14:15], v[16:17]
	v_mov_b32_dpp v14, v20 row_shr:1 row_mask:0xf bank_mask:0xf
	v_mov_b32_dpp v15, v21 row_shr:1 row_mask:0xf bank_mask:0xf
	v_add_f64 v[14:15], v[20:21], v[14:15]
	v_add_f64 v[0:1], v[22:23], v[0:1]
	v_mov_b32_dpp v22, v16 row_shr:4 row_mask:0xf bank_mask:0xe
	v_mov_b32_dpp v20, v14 row_shr:2 row_mask:0xf bank_mask:0xf
	;; [unrolled: 1-line block ×3, first 2 shown]
	v_add_f64 v[20:21], v[14:15], v[20:21]
	v_mov_b32_dpp v14, v18 row_shr:1 row_mask:0xf bank_mask:0xf
	v_mov_b32_dpp v15, v19 row_shr:1 row_mask:0xf bank_mask:0xf
	v_add_f64 v[14:15], v[18:19], v[14:15]
	v_mov_b32_dpp v2, v0 row_shr:2 row_mask:0xf bank_mask:0xf
	v_mov_b32_dpp v3, v1 row_shr:2 row_mask:0xf bank_mask:0xf
	;; [unrolled: 1-line block ×4, first 2 shown]
	v_add_f64 v[0:1], v[0:1], v[2:3]
	v_add_f64 v[18:19], v[14:15], v[18:19]
	v_mov_b32_dpp v23, v17 row_shr:4 row_mask:0xf bank_mask:0xe
	v_mov_b32_dpp v2, v0 row_shr:4 row_mask:0xf bank_mask:0xe
	;; [unrolled: 1-line block ×7, first 2 shown]
	v_cmp_eq_u32_e32 vcc, 7, v13
	s_and_b64 exec, exec, vcc
	s_cbranch_execz .LBB284_29
; %bb.25:
	s_load_dwordx2 s[2:3], s[2:3], 0x48
	v_cmp_eq_f64_e32 vcc, 0, v[8:9]
	v_cmp_eq_f64_e64 s[0:1], 0, v[10:11]
	v_add_f64 v[14:15], v[0:1], v[2:3]
	v_add_f64 v[16:17], v[16:17], v[22:23]
	;; [unrolled: 1-line block ×4, first 2 shown]
	s_and_b64 s[0:1], vcc, s[0:1]
	s_and_saveexec_b64 s[4:5], s[0:1]
	s_xor_b64 s[0:1], exec, s[4:5]
	s_cbranch_execz .LBB284_27
; %bb.26:
	v_lshlrev_b32_e32 v12, 1, v12
	v_mul_f64 v[8:9], v[16:17], -v[6:7]
	v_mul_f64 v[10:11], v[4:5], v[16:17]
	v_ashrrev_i32_e32 v13, 31, v12
	v_fmac_f64_e32 v[8:9], v[4:5], v[14:15]
	v_fmac_f64_e32 v[10:11], v[6:7], v[14:15]
	s_waitcnt lgkmcnt(0)
	v_lshl_add_u64 v[12:13], v[12:13], 4, s[2:3]
	global_store_dwordx4 v[12:13], v[8:11], off
                                        ; implicit-def: $vgpr14_vgpr15
                                        ; implicit-def: $vgpr16_vgpr17
	s_nop 1
	v_mul_f64 v[8:9], v[2:3], -v[6:7]
	v_mul_f64 v[10:11], v[4:5], v[2:3]
	v_fmac_f64_e32 v[8:9], v[4:5], v[0:1]
	v_fmac_f64_e32 v[10:11], v[6:7], v[0:1]
	global_store_dwordx4 v[12:13], v[8:11], off offset:16
                                        ; implicit-def: $vgpr4_vgpr5
                                        ; implicit-def: $vgpr6_vgpr7
                                        ; implicit-def: $vgpr8_vgpr9
                                        ; implicit-def: $vgpr10_vgpr11
                                        ; implicit-def: $vgpr12
                                        ; implicit-def: $vgpr0_vgpr1
                                        ; implicit-def: $vgpr2_vgpr3
.LBB284_27:
	s_andn2_saveexec_b64 s[0:1], s[0:1]
	s_cbranch_execz .LBB284_29
; %bb.28:
	v_lshlrev_b32_e32 v12, 1, v12
	v_ashrrev_i32_e32 v13, 31, v12
	s_waitcnt lgkmcnt(0)
	v_lshl_add_u64 v[12:13], v[12:13], 4, s[2:3]
	global_load_dwordx4 v[18:21], v[12:13], off
	global_load_dwordx4 v[22:25], v[12:13], off offset:16
	v_mul_f64 v[26:27], v[16:17], -v[6:7]
	v_mul_f64 v[16:17], v[4:5], v[16:17]
	v_mul_f64 v[28:29], v[2:3], -v[6:7]
	v_mul_f64 v[2:3], v[4:5], v[2:3]
	v_fmac_f64_e32 v[26:27], v[4:5], v[14:15]
	v_fmac_f64_e32 v[16:17], v[6:7], v[14:15]
	;; [unrolled: 1-line block ×4, first 2 shown]
	s_waitcnt vmcnt(1)
	v_fmac_f64_e32 v[26:27], v[8:9], v[18:19]
	v_fmac_f64_e32 v[16:17], v[10:11], v[18:19]
	s_waitcnt vmcnt(0)
	v_fmac_f64_e32 v[28:29], v[8:9], v[22:23]
	v_fmac_f64_e32 v[2:3], v[10:11], v[22:23]
	v_fma_f64 v[14:15], -v[10:11], v[20:21], v[26:27]
	v_fmac_f64_e32 v[16:17], v[8:9], v[20:21]
	v_fma_f64 v[0:1], -v[10:11], v[24:25], v[28:29]
	v_fmac_f64_e32 v[2:3], v[8:9], v[24:25]
	global_store_dwordx4 v[12:13], v[14:17], off
	global_store_dwordx4 v[12:13], v[0:3], off offset:16
.LBB284_29:
	s_endpgm
	.section	.rodata,"a",@progbits
	.p2align	6, 0x0
	.amdhsa_kernel _ZN9rocsparseL19gebsrmvn_2xn_kernelILj128ELj13ELj8E21rocsparse_complex_numIdEEEvi20rocsparse_direction_NS_24const_host_device_scalarIT2_EEPKiS8_PKS5_SA_S6_PS5_21rocsparse_index_base_b
		.amdhsa_group_segment_fixed_size 2048
		.amdhsa_private_segment_fixed_size 0
		.amdhsa_kernarg_size 88
		.amdhsa_user_sgpr_count 4
		.amdhsa_user_sgpr_dispatch_ptr 1
		.amdhsa_user_sgpr_queue_ptr 0
		.amdhsa_user_sgpr_kernarg_segment_ptr 1
		.amdhsa_user_sgpr_dispatch_id 0
		.amdhsa_user_sgpr_kernarg_preload_length 0
		.amdhsa_user_sgpr_kernarg_preload_offset 0
		.amdhsa_user_sgpr_private_segment_size 0
		.amdhsa_uses_dynamic_stack 0
		.amdhsa_enable_private_segment 0
		.amdhsa_system_sgpr_workgroup_id_x 1
		.amdhsa_system_sgpr_workgroup_id_y 0
		.amdhsa_system_sgpr_workgroup_id_z 0
		.amdhsa_system_sgpr_workgroup_info 0
		.amdhsa_system_vgpr_workitem_id 2
		.amdhsa_next_free_vgpr 84
		.amdhsa_next_free_sgpr 20
		.amdhsa_accum_offset 84
		.amdhsa_reserve_vcc 1
		.amdhsa_float_round_mode_32 0
		.amdhsa_float_round_mode_16_64 0
		.amdhsa_float_denorm_mode_32 3
		.amdhsa_float_denorm_mode_16_64 3
		.amdhsa_dx10_clamp 1
		.amdhsa_ieee_mode 1
		.amdhsa_fp16_overflow 0
		.amdhsa_tg_split 0
		.amdhsa_exception_fp_ieee_invalid_op 0
		.amdhsa_exception_fp_denorm_src 0
		.amdhsa_exception_fp_ieee_div_zero 0
		.amdhsa_exception_fp_ieee_overflow 0
		.amdhsa_exception_fp_ieee_underflow 0
		.amdhsa_exception_fp_ieee_inexact 0
		.amdhsa_exception_int_div_zero 0
	.end_amdhsa_kernel
	.section	.text._ZN9rocsparseL19gebsrmvn_2xn_kernelILj128ELj13ELj8E21rocsparse_complex_numIdEEEvi20rocsparse_direction_NS_24const_host_device_scalarIT2_EEPKiS8_PKS5_SA_S6_PS5_21rocsparse_index_base_b,"axG",@progbits,_ZN9rocsparseL19gebsrmvn_2xn_kernelILj128ELj13ELj8E21rocsparse_complex_numIdEEEvi20rocsparse_direction_NS_24const_host_device_scalarIT2_EEPKiS8_PKS5_SA_S6_PS5_21rocsparse_index_base_b,comdat
.Lfunc_end284:
	.size	_ZN9rocsparseL19gebsrmvn_2xn_kernelILj128ELj13ELj8E21rocsparse_complex_numIdEEEvi20rocsparse_direction_NS_24const_host_device_scalarIT2_EEPKiS8_PKS5_SA_S6_PS5_21rocsparse_index_base_b, .Lfunc_end284-_ZN9rocsparseL19gebsrmvn_2xn_kernelILj128ELj13ELj8E21rocsparse_complex_numIdEEEvi20rocsparse_direction_NS_24const_host_device_scalarIT2_EEPKiS8_PKS5_SA_S6_PS5_21rocsparse_index_base_b
                                        ; -- End function
	.section	.AMDGPU.csdata,"",@progbits
; Kernel info:
; codeLenInByte = 3148
; NumSgprs: 26
; NumVgprs: 84
; NumAgprs: 0
; TotalNumVgprs: 84
; ScratchSize: 0
; MemoryBound: 0
; FloatMode: 240
; IeeeMode: 1
; LDSByteSize: 2048 bytes/workgroup (compile time only)
; SGPRBlocks: 3
; VGPRBlocks: 10
; NumSGPRsForWavesPerEU: 26
; NumVGPRsForWavesPerEU: 84
; AccumOffset: 84
; Occupancy: 5
; WaveLimiterHint : 1
; COMPUTE_PGM_RSRC2:SCRATCH_EN: 0
; COMPUTE_PGM_RSRC2:USER_SGPR: 4
; COMPUTE_PGM_RSRC2:TRAP_HANDLER: 0
; COMPUTE_PGM_RSRC2:TGID_X_EN: 1
; COMPUTE_PGM_RSRC2:TGID_Y_EN: 0
; COMPUTE_PGM_RSRC2:TGID_Z_EN: 0
; COMPUTE_PGM_RSRC2:TIDIG_COMP_CNT: 2
; COMPUTE_PGM_RSRC3_GFX90A:ACCUM_OFFSET: 20
; COMPUTE_PGM_RSRC3_GFX90A:TG_SPLIT: 0
	.section	.text._ZN9rocsparseL19gebsrmvn_2xn_kernelILj128ELj13ELj16E21rocsparse_complex_numIdEEEvi20rocsparse_direction_NS_24const_host_device_scalarIT2_EEPKiS8_PKS5_SA_S6_PS5_21rocsparse_index_base_b,"axG",@progbits,_ZN9rocsparseL19gebsrmvn_2xn_kernelILj128ELj13ELj16E21rocsparse_complex_numIdEEEvi20rocsparse_direction_NS_24const_host_device_scalarIT2_EEPKiS8_PKS5_SA_S6_PS5_21rocsparse_index_base_b,comdat
	.globl	_ZN9rocsparseL19gebsrmvn_2xn_kernelILj128ELj13ELj16E21rocsparse_complex_numIdEEEvi20rocsparse_direction_NS_24const_host_device_scalarIT2_EEPKiS8_PKS5_SA_S6_PS5_21rocsparse_index_base_b ; -- Begin function _ZN9rocsparseL19gebsrmvn_2xn_kernelILj128ELj13ELj16E21rocsparse_complex_numIdEEEvi20rocsparse_direction_NS_24const_host_device_scalarIT2_EEPKiS8_PKS5_SA_S6_PS5_21rocsparse_index_base_b
	.p2align	8
	.type	_ZN9rocsparseL19gebsrmvn_2xn_kernelILj128ELj13ELj16E21rocsparse_complex_numIdEEEvi20rocsparse_direction_NS_24const_host_device_scalarIT2_EEPKiS8_PKS5_SA_S6_PS5_21rocsparse_index_base_b,@function
_ZN9rocsparseL19gebsrmvn_2xn_kernelILj128ELj13ELj16E21rocsparse_complex_numIdEEEvi20rocsparse_direction_NS_24const_host_device_scalarIT2_EEPKiS8_PKS5_SA_S6_PS5_21rocsparse_index_base_b: ; @_ZN9rocsparseL19gebsrmvn_2xn_kernelILj128ELj13ELj16E21rocsparse_complex_numIdEEEvi20rocsparse_direction_NS_24const_host_device_scalarIT2_EEPKiS8_PKS5_SA_S6_PS5_21rocsparse_index_base_b
; %bb.0:
	s_load_dwordx2 s[16:17], s[2:3], 0x50
	s_load_dwordx4 s[12:15], s[2:3], 0x8
	s_load_dwordx4 s[8:11], s[2:3], 0x38
	s_load_dwordx2 s[18:19], s[0:1], 0x4
	s_mov_b64 s[6:7], src_shared_base
	s_waitcnt lgkmcnt(0)
	s_bitcmp1_b32 s17, 0
	s_cselect_b64 s[0:1], -1, 0
	s_and_b64 vcc, s[0:1], exec
	s_cselect_b32 s5, s7, s13
	s_lshr_b32 s6, s18, 16
	v_bfe_u32 v3, v0, 10, 10
	v_and_b32_e32 v2, 0x3ff, v0
	s_mul_i32 s6, s6, s19
	v_mul_u32_u24_e32 v3, s19, v3
	v_mad_u32_u24 v3, s6, v2, v3
	v_bfe_u32 v0, v0, 20, 10
	v_add_lshl_u32 v0, v3, v0, 3
	v_mov_b32_e32 v1, s12
	v_add_u32_e32 v3, 0x400, v0
	v_mov_b64_e32 v[4:5], s[12:13]
	v_mov_b64_e32 v[6:7], s[8:9]
	ds_write2st64_b64 v0, v[6:7], v[4:5] offset1:2
	v_cndmask_b32_e64 v4, v1, v3, s[0:1]
	v_mov_b32_e32 v5, s5
	flat_load_dwordx2 v[4:5], v[4:5]
	s_xor_b64 s[18:19], s[0:1], -1
	v_mov_b64_e32 v[6:7], s[14:15]
	s_cbranch_vccnz .LBB285_2
; %bb.1:
	v_mov_b64_e32 v[6:7], s[12:13]
	flat_load_dwordx2 v[6:7], v[6:7] offset:8
.LBB285_2:
	s_and_b64 s[12:13], s[0:1], exec
	s_cselect_b32 s5, s7, s9
	v_mov_b32_e32 v1, s8
	v_cndmask_b32_e64 v0, v1, v0, s[0:1]
	v_mov_b32_e32 v1, s5
	flat_load_dwordx2 v[8:9], v[0:1]
	s_andn2_b64 vcc, exec, s[18:19]
	v_mov_b64_e32 v[10:11], s[10:11]
	s_cbranch_vccnz .LBB285_4
; %bb.3:
	v_mov_b64_e32 v[0:1], s[8:9]
	flat_load_dwordx2 v[10:11], v[0:1] offset:8
.LBB285_4:
	s_waitcnt vmcnt(0) lgkmcnt(0)
	v_cmp_eq_f64_e32 vcc, 0, v[4:5]
	v_cmp_eq_f64_e64 s[0:1], 0, v[6:7]
	s_and_b64 s[8:9], vcc, s[0:1]
	s_mov_b64 s[0:1], -1
	s_and_saveexec_b64 s[6:7], s[8:9]
; %bb.5:
	v_cmp_neq_f64_e32 vcc, 1.0, v[8:9]
	v_cmp_neq_f64_e64 s[0:1], 0, v[10:11]
	s_or_b64 s[0:1], vcc, s[0:1]
	s_orn2_b64 s[0:1], s[0:1], exec
; %bb.6:
	s_or_b64 exec, exec, s[6:7]
	s_and_saveexec_b64 s[6:7], s[0:1]
	s_cbranch_execz .LBB285_29
; %bb.7:
	s_load_dwordx2 s[0:1], s[2:3], 0x0
	v_lshrrev_b32_e32 v0, 4, v2
	v_lshl_or_b32 v12, s4, 3, v0
	s_waitcnt lgkmcnt(0)
	v_cmp_gt_i32_e32 vcc, s0, v12
	s_and_b64 exec, exec, vcc
	s_cbranch_execz .LBB285_29
; %bb.8:
	s_load_dwordx8 s[4:11], s[2:3], 0x18
	v_ashrrev_i32_e32 v13, 31, v12
	s_cmp_lg_u32 s1, 0
	s_waitcnt lgkmcnt(0)
	v_lshl_add_u64 v[0:1], v[12:13], 2, s[4:5]
	global_load_dwordx2 v[0:1], v[0:1], off
	v_and_b32_e32 v13, 15, v2
	s_waitcnt vmcnt(0)
	v_subrev_u32_e32 v2, s16, v0
	v_subrev_u32_e32 v34, s16, v1
	v_add_u32_e32 v14, v2, v13
	v_cmp_lt_i32_e64 s[0:1], v14, v34
	s_cbranch_scc0 .LBB285_16
; %bb.9:
	v_mov_b64_e32 v[18:19], 0
	s_mov_b64 s[4:5], 0
	v_mov_b64_e32 v[22:23], v[18:19]
	v_mov_b64_e32 v[20:21], v[18:19]
	;; [unrolled: 1-line block ×3, first 2 shown]
	s_and_saveexec_b64 s[12:13], s[0:1]
	s_cbranch_execz .LBB285_18
; %bb.10:
	v_mul_lo_u32 v0, v0, 26
	v_mad_u32_u24 v0, v13, 26, v0
	s_mul_i32 s14, s16, 26
	v_mov_b64_e32 v[18:19], 0
	v_mul_lo_u32 v15, v14, 26
	v_subrev_u32_e32 v35, s14, v0
	s_mov_b64 s[14:15], 0
	v_mov_b32_e32 v1, 0
	v_mov_b32_e32 v2, v14
	v_mov_b64_e32 v[22:23], v[18:19]
	v_mov_b64_e32 v[20:21], v[18:19]
	;; [unrolled: 1-line block ×3, first 2 shown]
	s_branch .LBB285_12
.LBB285_11:                             ;   in Loop: Header=BB285_12 Depth=1
	v_add_u32_e32 v2, 16, v2
	v_cmp_ge_i32_e32 vcc, v2, v34
	v_add_u32_e32 v15, 0x1a0, v15
	s_or_b64 s[14:15], vcc, s[14:15]
	v_add_u32_e32 v35, 0x1a0, v35
	s_andn2_b64 exec, exec, s[14:15]
	s_cbranch_execz .LBB285_17
.LBB285_12:                             ; =>This Loop Header: Depth=1
                                        ;     Child Loop BB285_14 Depth 2
	v_ashrrev_i32_e32 v3, 31, v2
	v_lshl_add_u64 v[24:25], v[2:3], 2, s[6:7]
	global_load_dword v0, v[24:25], off
	s_mov_b32 s17, 0
	v_mov_b64_e32 v[26:27], v[18:19]
	v_mov_b64_e32 v[30:31], v[22:23]
	;; [unrolled: 1-line block ×4, first 2 shown]
	s_waitcnt vmcnt(0)
	v_subrev_u32_e32 v0, s16, v0
	v_mul_lo_u32 v24, v0, 13
	s_branch .LBB285_14
.LBB285_13:                             ;   in Loop: Header=BB285_12 Depth=1
                                        ; implicit-def: $vgpr28_vgpr29
                                        ; implicit-def: $vgpr32_vgpr33
                                        ; implicit-def: $vgpr30_vgpr31
                                        ; implicit-def: $vgpr26_vgpr27
                                        ; implicit-def: $sgpr17
                                        ; implicit-def: $vgpr24
	s_branch .LBB285_11
.LBB285_14:                             ;   Parent Loop BB285_12 Depth=1
                                        ; =>  This Inner Loop Header: Depth=2
	v_add_u32_e32 v0, s17, v35
	v_mov_b32_e32 v25, v1
	v_lshl_add_u64 v[16:17], v[0:1], 4, s[8:9]
	v_lshl_add_u64 v[18:19], v[24:25], 4, s[10:11]
	global_load_dwordx4 v[36:39], v[16:17], off
	global_load_dwordx4 v[40:43], v[18:19], off
	global_load_dwordx4 v[44:47], v[16:17], off offset:16
	s_cmp_eq_u32 s17, 24
	s_waitcnt vmcnt(1)
	v_fmac_f64_e32 v[26:27], v[38:39], v[40:41]
	s_waitcnt vmcnt(0)
	v_fmac_f64_e32 v[28:29], v[46:47], v[40:41]
	v_fmac_f64_e32 v[30:31], v[36:37], v[40:41]
	;; [unrolled: 1-line block ×3, first 2 shown]
	v_mov_b64_e32 v[18:19], v[26:27]
	v_mov_b64_e32 v[16:17], v[28:29]
	v_fma_f64 v[22:23], -v[38:39], v[42:43], v[30:31]
	v_fma_f64 v[20:21], -v[46:47], v[42:43], v[32:33]
	v_fmac_f64_e32 v[18:19], v[36:37], v[42:43]
	v_fmac_f64_e32 v[16:17], v[44:45], v[42:43]
	s_cbranch_scc1 .LBB285_13
; %bb.15:                               ;   in Loop: Header=BB285_14 Depth=2
	v_add_u32_e32 v3, s17, v15
	v_add_u32_e32 v0, 2, v3
	v_lshl_add_u64 v[26:27], v[0:1], 4, s[8:9]
	v_add_u32_e32 v0, 1, v24
	v_lshl_add_u64 v[32:33], v[0:1], 4, s[10:11]
	v_add_u32_e32 v0, 4, v3
	global_load_dwordx4 v[28:31], v[32:33], off
	global_load_dwordx4 v[36:39], v[26:27], off
	global_load_dwordx4 v[40:43], v[26:27], off offset:16
	v_lshl_add_u64 v[26:27], v[0:1], 4, s[8:9]
	v_add_u32_e32 v0, 2, v24
	v_lshl_add_u64 v[32:33], v[0:1], 4, s[10:11]
	v_add_u32_e32 v0, 6, v3
	global_load_dwordx4 v[44:47], v[32:33], off
	global_load_dwordx4 v[48:51], v[26:27], off
	global_load_dwordx4 v[52:55], v[26:27], off offset:16
	v_lshl_add_u64 v[26:27], v[0:1], 4, s[8:9]
	v_add_u32_e32 v0, 3, v24
	v_lshl_add_u64 v[32:33], v[0:1], 4, s[10:11]
	global_load_dwordx4 v[56:59], v[32:33], off
	global_load_dwordx4 v[60:63], v[26:27], off
	global_load_dwordx4 v[64:67], v[26:27], off offset:16
	s_add_i32 s17, s17, 8
	v_add_u32_e32 v24, 4, v24
	s_waitcnt vmcnt(7)
	v_fma_f64 v[32:33], v[36:37], v[28:29], v[22:23]
	v_fma_f64 v[26:27], v[38:39], v[28:29], v[18:19]
	s_waitcnt vmcnt(6)
	v_fma_f64 v[68:69], v[40:41], v[28:29], v[20:21]
	v_fma_f64 v[28:29], v[42:43], v[28:29], v[16:17]
	v_fma_f64 v[32:33], -v[38:39], v[30:31], v[32:33]
	v_fmac_f64_e32 v[26:27], v[36:37], v[30:31]
	v_fma_f64 v[36:37], -v[42:43], v[30:31], v[68:69]
	v_fmac_f64_e32 v[28:29], v[40:41], v[30:31]
	s_waitcnt vmcnt(4)
	v_fmac_f64_e32 v[32:33], v[48:49], v[44:45]
	v_fmac_f64_e32 v[26:27], v[50:51], v[44:45]
	s_waitcnt vmcnt(3)
	v_fmac_f64_e32 v[36:37], v[52:53], v[44:45]
	v_fmac_f64_e32 v[28:29], v[54:55], v[44:45]
	v_fma_f64 v[30:31], -v[50:51], v[46:47], v[32:33]
	v_fmac_f64_e32 v[26:27], v[48:49], v[46:47]
	v_fma_f64 v[32:33], -v[54:55], v[46:47], v[36:37]
	v_fmac_f64_e32 v[28:29], v[52:53], v[46:47]
	s_waitcnt vmcnt(1)
	v_fmac_f64_e32 v[30:31], v[60:61], v[56:57]
	v_fmac_f64_e32 v[26:27], v[62:63], v[56:57]
	s_waitcnt vmcnt(0)
	v_fmac_f64_e32 v[32:33], v[64:65], v[56:57]
	v_fmac_f64_e32 v[28:29], v[66:67], v[56:57]
	v_fma_f64 v[30:31], -v[62:63], v[58:59], v[30:31]
	v_fmac_f64_e32 v[26:27], v[60:61], v[58:59]
	v_fma_f64 v[32:33], -v[66:67], v[58:59], v[32:33]
	v_fmac_f64_e32 v[28:29], v[64:65], v[58:59]
	s_cbranch_execnz .LBB285_14
	s_branch .LBB285_11
.LBB285_16:
                                        ; implicit-def: $vgpr18_vgpr19
                                        ; implicit-def: $vgpr22_vgpr23
                                        ; implicit-def: $vgpr20_vgpr21
                                        ; implicit-def: $vgpr16_vgpr17
	s_branch .LBB285_19
.LBB285_17:
	s_or_b64 exec, exec, s[14:15]
.LBB285_18:
	s_or_b64 exec, exec, s[12:13]
	s_andn2_b64 vcc, exec, s[4:5]
	s_cbranch_vccnz .LBB285_24
.LBB285_19:
	v_mov_b64_e32 v[18:19], 0
	v_mov_b64_e32 v[22:23], v[18:19]
	;; [unrolled: 1-line block ×4, first 2 shown]
	s_and_saveexec_b64 s[4:5], s[0:1]
	s_cbranch_execz .LBB285_23
; %bb.20:
	v_mad_u64_u32 v[24:25], s[0:1], v14, 26, 25
	v_mov_b64_e32 v[18:19], 0
	s_mov_b64 s[0:1], 0
	v_mov_b32_e32 v27, 0
	v_mov_b64_e32 v[22:23], v[18:19]
	v_mov_b64_e32 v[20:21], v[18:19]
	;; [unrolled: 1-line block ×3, first 2 shown]
.LBB285_21:                             ; =>This Inner Loop Header: Depth=1
	v_ashrrev_i32_e32 v15, 31, v14
	v_subrev_u32_e32 v26, 25, v24
	v_add_u32_e32 v0, -12, v24
	v_mov_b32_e32 v1, v27
	v_mov_b32_e32 v25, v27
	v_lshl_add_u64 v[44:45], v[14:15], 2, s[6:7]
	v_lshl_add_u64 v[46:47], v[26:27], 4, s[8:9]
	;; [unrolled: 1-line block ×4, first 2 shown]
	global_load_dword v15, v[44:45], off
	global_load_dwordx4 v[30:33], v[46:47], off offset:16
	global_load_dwordx4 v[36:39], v[46:47], off
	global_load_dwordx4 v[40:43], v[48:49], off
	;; [unrolled: 1-line block ×3, first 2 shown]
	v_mov_b32_e32 v29, v27
	v_add_u32_e32 v14, 16, v14
	v_cmp_ge_i32_e32 vcc, v14, v34
	s_or_b64 s[0:1], vcc, s[0:1]
	s_waitcnt vmcnt(4)
	v_subrev_u32_e32 v15, s16, v15
	v_mul_lo_u32 v28, v15, 13
	v_lshl_add_u64 v[44:45], v[28:29], 4, s[10:11]
	global_load_dwordx4 v[44:47], v[44:45], off
	v_add_u32_e32 v26, 1, v28
	v_lshl_add_u64 v[48:49], v[26:27], 4, s[10:11]
	global_load_dwordx4 v[48:51], v[48:49], off
	v_add_u32_e32 v26, -11, v24
	v_lshl_add_u64 v[52:53], v[26:27], 4, s[8:9]
	global_load_dwordx4 v[52:55], v[52:53], off
	v_subrev_u32_e32 v26, 23, v24
	v_lshl_add_u64 v[56:57], v[26:27], 4, s[8:9]
	v_add_u32_e32 v26, 2, v28
	v_lshl_add_u64 v[60:61], v[26:27], 4, s[10:11]
	global_load_dwordx4 v[56:59], v[56:57], off
	v_add_u32_e32 v26, -10, v24
	global_load_dwordx4 v[60:63], v[60:61], off
	v_lshl_add_u64 v[64:65], v[26:27], 4, s[8:9]
	v_subrev_u32_e32 v26, 22, v24
	global_load_dwordx4 v[64:67], v[64:65], off
	v_lshl_add_u64 v[68:69], v[26:27], 4, s[8:9]
	global_load_dwordx4 v[68:71], v[68:69], off
	v_add_u32_e32 v26, 3, v28
	v_lshl_add_u64 v[72:73], v[26:27], 4, s[10:11]
	v_add_u32_e32 v26, -9, v24
	global_load_dwordx4 v[72:75], v[72:73], off
	v_lshl_add_u64 v[76:77], v[26:27], 4, s[8:9]
	v_subrev_u32_e32 v26, 21, v24
	s_waitcnt vmcnt(7)
	v_fmac_f64_e32 v[22:23], v[36:37], v[44:45]
	v_fmac_f64_e32 v[18:19], v[38:39], v[44:45]
	v_fma_f64 v[78:79], -v[38:39], v[46:47], v[22:23]
	v_fmac_f64_e32 v[18:19], v[36:37], v[46:47]
	global_load_dwordx4 v[36:39], v[76:77], off
	v_lshl_add_u64 v[22:23], v[26:27], 4, s[8:9]
	v_add_u32_e32 v26, 4, v28
	v_fmac_f64_e32 v[16:17], v[42:43], v[44:45]
	v_fmac_f64_e32 v[20:21], v[40:41], v[44:45]
	;; [unrolled: 1-line block ×3, first 2 shown]
	v_lshl_add_u64 v[40:41], v[26:27], 4, s[10:11]
	v_add_u32_e32 v26, -8, v24
	v_fma_f64 v[44:45], -v[42:43], v[46:47], v[20:21]
	global_load_dwordx4 v[20:23], v[22:23], off
	v_lshl_add_u64 v[46:47], v[26:27], 4, s[8:9]
	global_load_dwordx4 v[40:43], v[40:41], off
	v_subrev_u32_e32 v26, 20, v24
	s_waitcnt vmcnt(9)
	v_fmac_f64_e32 v[78:79], v[30:31], v[48:49]
	v_fmac_f64_e32 v[18:19], v[32:33], v[48:49]
	v_fma_f64 v[76:77], -v[32:33], v[50:51], v[78:79]
	v_fmac_f64_e32 v[18:19], v[30:31], v[50:51]
	global_load_dwordx4 v[30:33], v[46:47], off
	v_lshl_add_u64 v[46:47], v[26:27], 4, s[8:9]
	v_add_u32_e32 v26, 5, v28
	s_waitcnt vmcnt(9)
	v_fmac_f64_e32 v[44:45], v[52:53], v[48:49]
	v_fmac_f64_e32 v[16:17], v[54:55], v[48:49]
	v_lshl_add_u64 v[48:49], v[26:27], 4, s[10:11]
	v_fma_f64 v[78:79], -v[54:55], v[50:51], v[44:45]
	v_fmac_f64_e32 v[16:17], v[52:53], v[50:51]
	global_load_dwordx4 v[44:47], v[46:47], off
	v_add_u32_e32 v26, -7, v24
	global_load_dwordx4 v[48:51], v[48:49], off
	v_lshl_add_u64 v[52:53], v[26:27], 4, s[8:9]
	v_subrev_u32_e32 v26, 19, v24
	global_load_dwordx4 v[52:55], v[52:53], off
	s_waitcnt vmcnt(10)
	v_fmac_f64_e32 v[18:19], v[58:59], v[60:61]
	v_fmac_f64_e32 v[76:77], v[56:57], v[60:61]
	;; [unrolled: 1-line block ×3, first 2 shown]
	v_lshl_add_u64 v[56:57], v[26:27], 4, s[8:9]
	v_add_u32_e32 v26, 6, v28
	s_waitcnt vmcnt(9)
	v_fmac_f64_e32 v[78:79], v[64:65], v[60:61]
	v_fmac_f64_e32 v[16:17], v[66:67], v[60:61]
	v_lshl_add_u64 v[60:61], v[26:27], 4, s[10:11]
	v_add_u32_e32 v26, -6, v24
	v_fmac_f64_e32 v[16:17], v[64:65], v[62:63]
	v_lshl_add_u64 v[64:65], v[26:27], 4, s[8:9]
	v_fma_f64 v[76:77], -v[58:59], v[62:63], v[76:77]
	v_fma_f64 v[78:79], -v[66:67], v[62:63], v[78:79]
	global_load_dwordx4 v[60:63], v[60:61], off
	v_subrev_u32_e32 v26, 18, v24
	s_waitcnt vmcnt(8)
	v_fmac_f64_e32 v[18:19], v[70:71], v[72:73]
	global_load_dwordx4 v[64:67], v[64:65], off
	v_fmac_f64_e32 v[76:77], v[68:69], v[72:73]
	global_load_dwordx4 v[56:59], v[56:57], off
	v_fmac_f64_e32 v[18:19], v[68:69], v[74:75]
	v_lshl_add_u64 v[68:69], v[26:27], 4, s[8:9]
	v_add_u32_e32 v26, 7, v28
	v_fma_f64 v[76:77], -v[70:71], v[74:75], v[76:77]
	s_waitcnt vmcnt(9)
	v_fmac_f64_e32 v[78:79], v[36:37], v[72:73]
	v_fmac_f64_e32 v[16:17], v[38:39], v[72:73]
	v_fma_f64 v[72:73], -v[38:39], v[74:75], v[78:79]
	v_fmac_f64_e32 v[16:17], v[36:37], v[74:75]
	global_load_dwordx4 v[36:39], v[68:69], off
	v_lshl_add_u64 v[68:69], v[26:27], 4, s[10:11]
	v_add_u32_e32 v26, -5, v24
	global_load_dwordx4 v[68:71], v[68:69], off
	v_lshl_add_u64 v[74:75], v[26:27], 4, s[8:9]
	v_subrev_u32_e32 v26, 17, v24
	s_waitcnt vmcnt(9)
	v_fmac_f64_e32 v[76:77], v[20:21], v[40:41]
	v_fmac_f64_e32 v[18:19], v[22:23], v[40:41]
	v_fma_f64 v[76:77], -v[22:23], v[42:43], v[76:77]
	v_fmac_f64_e32 v[18:19], v[20:21], v[42:43]
	global_load_dwordx4 v[20:23], v[74:75], off
	v_lshl_add_u64 v[74:75], v[26:27], 4, s[8:9]
	v_add_u32_e32 v26, 8, v28
	s_waitcnt vmcnt(9)
	v_fmac_f64_e32 v[72:73], v[30:31], v[40:41]
	v_fmac_f64_e32 v[16:17], v[32:33], v[40:41]
	v_lshl_add_u64 v[40:41], v[26:27], 4, s[10:11]
	v_add_u32_e32 v26, -4, v24
	v_fma_f64 v[72:73], -v[32:33], v[42:43], v[72:73]
	v_fmac_f64_e32 v[16:17], v[30:31], v[42:43]
	global_load_dwordx4 v[30:33], v[74:75], off
	v_lshl_add_u64 v[74:75], v[26:27], 4, s[8:9]
	global_load_dwordx4 v[40:43], v[40:41], off
	s_waitcnt vmcnt(9)
	v_fmac_f64_e32 v[76:77], v[44:45], v[48:49]
	v_fmac_f64_e32 v[18:19], v[46:47], v[48:49]
	v_fma_f64 v[76:77], -v[46:47], v[50:51], v[76:77]
	v_fmac_f64_e32 v[18:19], v[44:45], v[50:51]
	global_load_dwordx4 v[44:47], v[74:75], off
	v_add_u32_e32 v26, -16, v24
	v_lshl_add_u64 v[74:75], v[26:27], 4, s[8:9]
	v_add_u32_e32 v26, 9, v28
	s_waitcnt vmcnt(9)
	v_fmac_f64_e32 v[16:17], v[54:55], v[48:49]
	v_fmac_f64_e32 v[72:73], v[52:53], v[48:49]
	;; [unrolled: 1-line block ×3, first 2 shown]
	v_lshl_add_u64 v[52:53], v[26:27], 4, s[10:11]
	v_add_u32_e32 v26, -3, v24
	v_fma_f64 v[72:73], -v[54:55], v[50:51], v[72:73]
	global_load_dwordx4 v[48:51], v[74:75], off
	v_lshl_add_u64 v[74:75], v[26:27], 4, s[8:9]
	v_add_u32_e32 v26, -15, v24
	v_lshl_add_u64 v[78:79], v[26:27], 4, s[8:9]
	v_add_u32_e32 v26, 10, v28
	global_load_dwordx4 v[52:55], v[52:53], off
	s_waitcnt vmcnt(9)
	v_fmac_f64_e32 v[16:17], v[66:67], v[60:61]
	v_fmac_f64_e32 v[72:73], v[64:65], v[60:61]
	s_waitcnt vmcnt(8)
	v_fmac_f64_e32 v[76:77], v[56:57], v[60:61]
	v_fmac_f64_e32 v[18:19], v[58:59], v[60:61]
	;; [unrolled: 1-line block ×3, first 2 shown]
	v_lshl_add_u64 v[64:65], v[26:27], 4, s[10:11]
	v_add_u32_e32 v26, -2, v24
	v_fma_f64 v[76:77], -v[58:59], v[62:63], v[76:77]
	v_fmac_f64_e32 v[18:19], v[56:57], v[62:63]
	global_load_dwordx4 v[56:59], v[74:75], off
	v_fma_f64 v[72:73], -v[66:67], v[62:63], v[72:73]
	global_load_dwordx4 v[60:63], v[78:79], off
	v_lshl_add_u64 v[74:75], v[26:27], 4, s[8:9]
	v_add_u32_e32 v26, -14, v24
	global_load_dwordx4 v[64:67], v[64:65], off
	v_lshl_add_u64 v[78:79], v[26:27], 4, s[8:9]
	v_add_u32_e32 v26, 11, v28
	s_waitcnt vmcnt(9)
	v_fmac_f64_e32 v[76:77], v[36:37], v[68:69]
	v_fmac_f64_e32 v[18:19], v[38:39], v[68:69]
	v_fma_f64 v[76:77], -v[38:39], v[70:71], v[76:77]
	v_fmac_f64_e32 v[18:19], v[36:37], v[70:71]
	global_load_dwordx4 v[36:39], v[74:75], off
	s_waitcnt vmcnt(9)
	v_fmac_f64_e32 v[72:73], v[20:21], v[68:69]
	v_fmac_f64_e32 v[16:17], v[22:23], v[68:69]
	v_lshl_add_u64 v[68:69], v[26:27], 4, s[10:11]
	v_add_u32_e32 v26, -1, v24
	v_fma_f64 v[80:81], -v[22:23], v[70:71], v[72:73]
	v_fmac_f64_e32 v[16:17], v[20:21], v[70:71]
	global_load_dwordx4 v[20:23], v[78:79], off
	v_lshl_add_u64 v[78:79], v[26:27], 4, s[8:9]
	v_add_u32_e32 v26, -13, v24
	v_lshl_add_u64 v[82:83], v[26:27], 4, s[8:9]
	v_add_u32_e32 v26, 12, v28
	global_load_dwordx4 v[68:71], v[68:69], off
	s_waitcnt vmcnt(9)
	v_fmac_f64_e32 v[18:19], v[32:33], v[40:41]
	v_fmac_f64_e32 v[76:77], v[30:31], v[40:41]
	;; [unrolled: 1-line block ×3, first 2 shown]
	global_load_dwordx4 v[28:31], v[78:79], off
	global_load_dwordx4 v[72:75], v[82:83], off
	s_waitcnt vmcnt(10)
	v_fmac_f64_e32 v[80:81], v[44:45], v[40:41]
	v_fmac_f64_e32 v[16:17], v[46:47], v[40:41]
	v_lshl_add_u64 v[40:41], v[26:27], 4, s[10:11]
	v_fma_f64 v[32:33], -v[32:33], v[42:43], v[76:77]
	v_fma_f64 v[46:47], -v[46:47], v[42:43], v[80:81]
	v_fmac_f64_e32 v[16:17], v[44:45], v[42:43]
	global_load_dwordx4 v[40:43], v[40:41], off
	v_add_u32_e32 v24, 0x1a0, v24
	s_waitcnt vmcnt(9)
	v_fmac_f64_e32 v[32:33], v[48:49], v[52:53]
	v_fmac_f64_e32 v[18:19], v[50:51], v[52:53]
	v_fma_f64 v[32:33], -v[50:51], v[54:55], v[32:33]
	v_fmac_f64_e32 v[18:19], v[48:49], v[54:55]
	s_waitcnt vmcnt(8)
	v_fmac_f64_e32 v[46:47], v[56:57], v[52:53]
	v_fmac_f64_e32 v[16:17], v[58:59], v[52:53]
	v_fma_f64 v[44:45], -v[58:59], v[54:55], v[46:47]
	v_fmac_f64_e32 v[16:17], v[56:57], v[54:55]
	;; [unrolled: 5-line block ×4, first 2 shown]
	s_waitcnt vmcnt(3)
	v_fmac_f64_e32 v[32:33], v[20:21], v[68:69]
	v_fmac_f64_e32 v[18:19], v[22:23], v[68:69]
	v_fma_f64 v[22:23], -v[22:23], v[70:71], v[32:33]
	s_waitcnt vmcnt(2)
	v_fmac_f64_e32 v[38:39], v[28:29], v[68:69]
	v_fmac_f64_e32 v[16:17], v[30:31], v[68:69]
	;; [unrolled: 1-line block ×3, first 2 shown]
	v_fma_f64 v[20:21], -v[30:31], v[70:71], v[38:39]
	v_fmac_f64_e32 v[16:17], v[28:29], v[70:71]
	s_waitcnt vmcnt(0)
	v_fmac_f64_e32 v[22:23], v[72:73], v[40:41]
	v_fmac_f64_e32 v[18:19], v[74:75], v[40:41]
	;; [unrolled: 1-line block ×4, first 2 shown]
	v_fma_f64 v[22:23], -v[74:75], v[42:43], v[22:23]
	v_fmac_f64_e32 v[18:19], v[72:73], v[42:43]
	v_fma_f64 v[20:21], -v[2:3], v[42:43], v[20:21]
	v_fmac_f64_e32 v[16:17], v[0:1], v[42:43]
	s_andn2_b64 exec, exec, s[0:1]
	s_cbranch_execnz .LBB285_21
; %bb.22:
	s_or_b64 exec, exec, s[0:1]
.LBB285_23:
	s_or_b64 exec, exec, s[4:5]
.LBB285_24:
	v_mov_b32_dpp v14, v18 row_shr:1 row_mask:0xf bank_mask:0xf
	v_mov_b32_dpp v15, v19 row_shr:1 row_mask:0xf bank_mask:0xf
	v_add_f64 v[14:15], v[18:19], v[14:15]
	v_mov_b32_dpp v0, v22 row_shr:1 row_mask:0xf bank_mask:0xf
	v_mov_b32_dpp v1, v23 row_shr:1 row_mask:0xf bank_mask:0xf
	v_mov_b32_dpp v18, v14 row_shr:2 row_mask:0xf bank_mask:0xf
	v_mov_b32_dpp v19, v15 row_shr:2 row_mask:0xf bank_mask:0xf
	v_add_f64 v[14:15], v[14:15], v[18:19]
	v_add_f64 v[0:1], v[22:23], v[0:1]
	v_cmp_eq_u32_e32 vcc, 15, v13
	v_mov_b32_dpp v18, v14 row_shr:4 row_mask:0xf bank_mask:0xe
	v_mov_b32_dpp v19, v15 row_shr:4 row_mask:0xf bank_mask:0xe
	v_add_f64 v[18:19], v[14:15], v[18:19]
	v_mov_b32_dpp v14, v20 row_shr:1 row_mask:0xf bank_mask:0xf
	v_mov_b32_dpp v15, v21 row_shr:1 row_mask:0xf bank_mask:0xf
	v_add_f64 v[14:15], v[20:21], v[14:15]
	v_mov_b32_dpp v2, v0 row_shr:2 row_mask:0xf bank_mask:0xf
	v_mov_b32_dpp v3, v1 row_shr:2 row_mask:0xf bank_mask:0xf
	;; [unrolled: 1-line block ×4, first 2 shown]
	v_add_f64 v[14:15], v[14:15], v[20:21]
	v_add_f64 v[0:1], v[0:1], v[2:3]
	v_mov_b32_dpp v22, v18 row_shr:8 row_mask:0xf bank_mask:0xc
	v_mov_b32_dpp v20, v14 row_shr:4 row_mask:0xf bank_mask:0xe
	;; [unrolled: 1-line block ×3, first 2 shown]
	v_add_f64 v[20:21], v[14:15], v[20:21]
	v_mov_b32_dpp v14, v16 row_shr:1 row_mask:0xf bank_mask:0xf
	v_mov_b32_dpp v15, v17 row_shr:1 row_mask:0xf bank_mask:0xf
	v_add_f64 v[14:15], v[16:17], v[14:15]
	v_mov_b32_dpp v2, v0 row_shr:4 row_mask:0xf bank_mask:0xe
	v_mov_b32_dpp v3, v1 row_shr:4 row_mask:0xf bank_mask:0xe
	;; [unrolled: 1-line block ×4, first 2 shown]
	v_add_f64 v[14:15], v[14:15], v[16:17]
	v_add_f64 v[0:1], v[0:1], v[2:3]
	v_mov_b32_dpp v23, v19 row_shr:8 row_mask:0xf bank_mask:0xc
	v_mov_b32_dpp v16, v14 row_shr:4 row_mask:0xf bank_mask:0xe
	;; [unrolled: 1-line block ×3, first 2 shown]
	v_add_f64 v[26:27], v[14:15], v[16:17]
	v_mov_b32_dpp v2, v0 row_shr:8 row_mask:0xf bank_mask:0xc
	v_mov_b32_dpp v3, v1 row_shr:8 row_mask:0xf bank_mask:0xc
	;; [unrolled: 1-line block ×6, first 2 shown]
	s_and_b64 exec, exec, vcc
	s_cbranch_execz .LBB285_29
; %bb.25:
	s_load_dwordx2 s[2:3], s[2:3], 0x48
	v_cmp_eq_f64_e32 vcc, 0, v[8:9]
	v_cmp_eq_f64_e64 s[0:1], 0, v[10:11]
	v_add_f64 v[14:15], v[0:1], v[2:3]
	v_add_f64 v[16:17], v[18:19], v[22:23]
	;; [unrolled: 1-line block ×4, first 2 shown]
	s_and_b64 s[0:1], vcc, s[0:1]
	s_and_saveexec_b64 s[4:5], s[0:1]
	s_xor_b64 s[0:1], exec, s[4:5]
	s_cbranch_execz .LBB285_27
; %bb.26:
	v_lshlrev_b32_e32 v12, 1, v12
	v_mul_f64 v[8:9], v[16:17], -v[6:7]
	v_mul_f64 v[10:11], v[4:5], v[16:17]
	v_ashrrev_i32_e32 v13, 31, v12
	v_fmac_f64_e32 v[8:9], v[4:5], v[14:15]
	v_fmac_f64_e32 v[10:11], v[6:7], v[14:15]
	s_waitcnt lgkmcnt(0)
	v_lshl_add_u64 v[12:13], v[12:13], 4, s[2:3]
	global_store_dwordx4 v[12:13], v[8:11], off
                                        ; implicit-def: $vgpr14_vgpr15
                                        ; implicit-def: $vgpr16_vgpr17
	s_nop 1
	v_mul_f64 v[8:9], v[2:3], -v[6:7]
	v_mul_f64 v[10:11], v[4:5], v[2:3]
	v_fmac_f64_e32 v[8:9], v[4:5], v[0:1]
	v_fmac_f64_e32 v[10:11], v[6:7], v[0:1]
	global_store_dwordx4 v[12:13], v[8:11], off offset:16
                                        ; implicit-def: $vgpr4_vgpr5
                                        ; implicit-def: $vgpr6_vgpr7
                                        ; implicit-def: $vgpr8_vgpr9
                                        ; implicit-def: $vgpr10_vgpr11
                                        ; implicit-def: $vgpr12
                                        ; implicit-def: $vgpr0_vgpr1
                                        ; implicit-def: $vgpr2_vgpr3
.LBB285_27:
	s_andn2_saveexec_b64 s[0:1], s[0:1]
	s_cbranch_execz .LBB285_29
; %bb.28:
	v_lshlrev_b32_e32 v12, 1, v12
	v_ashrrev_i32_e32 v13, 31, v12
	s_waitcnt lgkmcnt(0)
	v_lshl_add_u64 v[12:13], v[12:13], 4, s[2:3]
	global_load_dwordx4 v[18:21], v[12:13], off
	global_load_dwordx4 v[22:25], v[12:13], off offset:16
	v_mul_f64 v[26:27], v[16:17], -v[6:7]
	v_mul_f64 v[16:17], v[4:5], v[16:17]
	v_mul_f64 v[28:29], v[2:3], -v[6:7]
	v_mul_f64 v[2:3], v[4:5], v[2:3]
	v_fmac_f64_e32 v[26:27], v[4:5], v[14:15]
	v_fmac_f64_e32 v[16:17], v[6:7], v[14:15]
	;; [unrolled: 1-line block ×4, first 2 shown]
	s_waitcnt vmcnt(1)
	v_fmac_f64_e32 v[26:27], v[8:9], v[18:19]
	v_fmac_f64_e32 v[16:17], v[10:11], v[18:19]
	s_waitcnt vmcnt(0)
	v_fmac_f64_e32 v[28:29], v[8:9], v[22:23]
	v_fmac_f64_e32 v[2:3], v[10:11], v[22:23]
	v_fma_f64 v[14:15], -v[10:11], v[20:21], v[26:27]
	v_fmac_f64_e32 v[16:17], v[8:9], v[20:21]
	v_fma_f64 v[0:1], -v[10:11], v[24:25], v[28:29]
	v_fmac_f64_e32 v[2:3], v[8:9], v[24:25]
	global_store_dwordx4 v[12:13], v[14:17], off
	global_store_dwordx4 v[12:13], v[0:3], off offset:16
.LBB285_29:
	s_endpgm
	.section	.rodata,"a",@progbits
	.p2align	6, 0x0
	.amdhsa_kernel _ZN9rocsparseL19gebsrmvn_2xn_kernelILj128ELj13ELj16E21rocsparse_complex_numIdEEEvi20rocsparse_direction_NS_24const_host_device_scalarIT2_EEPKiS8_PKS5_SA_S6_PS5_21rocsparse_index_base_b
		.amdhsa_group_segment_fixed_size 2048
		.amdhsa_private_segment_fixed_size 0
		.amdhsa_kernarg_size 88
		.amdhsa_user_sgpr_count 4
		.amdhsa_user_sgpr_dispatch_ptr 1
		.amdhsa_user_sgpr_queue_ptr 0
		.amdhsa_user_sgpr_kernarg_segment_ptr 1
		.amdhsa_user_sgpr_dispatch_id 0
		.amdhsa_user_sgpr_kernarg_preload_length 0
		.amdhsa_user_sgpr_kernarg_preload_offset 0
		.amdhsa_user_sgpr_private_segment_size 0
		.amdhsa_uses_dynamic_stack 0
		.amdhsa_enable_private_segment 0
		.amdhsa_system_sgpr_workgroup_id_x 1
		.amdhsa_system_sgpr_workgroup_id_y 0
		.amdhsa_system_sgpr_workgroup_id_z 0
		.amdhsa_system_sgpr_workgroup_info 0
		.amdhsa_system_vgpr_workitem_id 2
		.amdhsa_next_free_vgpr 84
		.amdhsa_next_free_sgpr 20
		.amdhsa_accum_offset 84
		.amdhsa_reserve_vcc 1
		.amdhsa_float_round_mode_32 0
		.amdhsa_float_round_mode_16_64 0
		.amdhsa_float_denorm_mode_32 3
		.amdhsa_float_denorm_mode_16_64 3
		.amdhsa_dx10_clamp 1
		.amdhsa_ieee_mode 1
		.amdhsa_fp16_overflow 0
		.amdhsa_tg_split 0
		.amdhsa_exception_fp_ieee_invalid_op 0
		.amdhsa_exception_fp_denorm_src 0
		.amdhsa_exception_fp_ieee_div_zero 0
		.amdhsa_exception_fp_ieee_overflow 0
		.amdhsa_exception_fp_ieee_underflow 0
		.amdhsa_exception_fp_ieee_inexact 0
		.amdhsa_exception_int_div_zero 0
	.end_amdhsa_kernel
	.section	.text._ZN9rocsparseL19gebsrmvn_2xn_kernelILj128ELj13ELj16E21rocsparse_complex_numIdEEEvi20rocsparse_direction_NS_24const_host_device_scalarIT2_EEPKiS8_PKS5_SA_S6_PS5_21rocsparse_index_base_b,"axG",@progbits,_ZN9rocsparseL19gebsrmvn_2xn_kernelILj128ELj13ELj16E21rocsparse_complex_numIdEEEvi20rocsparse_direction_NS_24const_host_device_scalarIT2_EEPKiS8_PKS5_SA_S6_PS5_21rocsparse_index_base_b,comdat
.Lfunc_end285:
	.size	_ZN9rocsparseL19gebsrmvn_2xn_kernelILj128ELj13ELj16E21rocsparse_complex_numIdEEEvi20rocsparse_direction_NS_24const_host_device_scalarIT2_EEPKiS8_PKS5_SA_S6_PS5_21rocsparse_index_base_b, .Lfunc_end285-_ZN9rocsparseL19gebsrmvn_2xn_kernelILj128ELj13ELj16E21rocsparse_complex_numIdEEEvi20rocsparse_direction_NS_24const_host_device_scalarIT2_EEPKiS8_PKS5_SA_S6_PS5_21rocsparse_index_base_b
                                        ; -- End function
	.section	.AMDGPU.csdata,"",@progbits
; Kernel info:
; codeLenInByte = 3244
; NumSgprs: 26
; NumVgprs: 84
; NumAgprs: 0
; TotalNumVgprs: 84
; ScratchSize: 0
; MemoryBound: 0
; FloatMode: 240
; IeeeMode: 1
; LDSByteSize: 2048 bytes/workgroup (compile time only)
; SGPRBlocks: 3
; VGPRBlocks: 10
; NumSGPRsForWavesPerEU: 26
; NumVGPRsForWavesPerEU: 84
; AccumOffset: 84
; Occupancy: 5
; WaveLimiterHint : 1
; COMPUTE_PGM_RSRC2:SCRATCH_EN: 0
; COMPUTE_PGM_RSRC2:USER_SGPR: 4
; COMPUTE_PGM_RSRC2:TRAP_HANDLER: 0
; COMPUTE_PGM_RSRC2:TGID_X_EN: 1
; COMPUTE_PGM_RSRC2:TGID_Y_EN: 0
; COMPUTE_PGM_RSRC2:TGID_Z_EN: 0
; COMPUTE_PGM_RSRC2:TIDIG_COMP_CNT: 2
; COMPUTE_PGM_RSRC3_GFX90A:ACCUM_OFFSET: 20
; COMPUTE_PGM_RSRC3_GFX90A:TG_SPLIT: 0
	.section	.text._ZN9rocsparseL19gebsrmvn_2xn_kernelILj128ELj13ELj32E21rocsparse_complex_numIdEEEvi20rocsparse_direction_NS_24const_host_device_scalarIT2_EEPKiS8_PKS5_SA_S6_PS5_21rocsparse_index_base_b,"axG",@progbits,_ZN9rocsparseL19gebsrmvn_2xn_kernelILj128ELj13ELj32E21rocsparse_complex_numIdEEEvi20rocsparse_direction_NS_24const_host_device_scalarIT2_EEPKiS8_PKS5_SA_S6_PS5_21rocsparse_index_base_b,comdat
	.globl	_ZN9rocsparseL19gebsrmvn_2xn_kernelILj128ELj13ELj32E21rocsparse_complex_numIdEEEvi20rocsparse_direction_NS_24const_host_device_scalarIT2_EEPKiS8_PKS5_SA_S6_PS5_21rocsparse_index_base_b ; -- Begin function _ZN9rocsparseL19gebsrmvn_2xn_kernelILj128ELj13ELj32E21rocsparse_complex_numIdEEEvi20rocsparse_direction_NS_24const_host_device_scalarIT2_EEPKiS8_PKS5_SA_S6_PS5_21rocsparse_index_base_b
	.p2align	8
	.type	_ZN9rocsparseL19gebsrmvn_2xn_kernelILj128ELj13ELj32E21rocsparse_complex_numIdEEEvi20rocsparse_direction_NS_24const_host_device_scalarIT2_EEPKiS8_PKS5_SA_S6_PS5_21rocsparse_index_base_b,@function
_ZN9rocsparseL19gebsrmvn_2xn_kernelILj128ELj13ELj32E21rocsparse_complex_numIdEEEvi20rocsparse_direction_NS_24const_host_device_scalarIT2_EEPKiS8_PKS5_SA_S6_PS5_21rocsparse_index_base_b: ; @_ZN9rocsparseL19gebsrmvn_2xn_kernelILj128ELj13ELj32E21rocsparse_complex_numIdEEEvi20rocsparse_direction_NS_24const_host_device_scalarIT2_EEPKiS8_PKS5_SA_S6_PS5_21rocsparse_index_base_b
; %bb.0:
	s_load_dwordx2 s[16:17], s[2:3], 0x50
	s_load_dwordx4 s[12:15], s[2:3], 0x8
	s_load_dwordx4 s[8:11], s[2:3], 0x38
	s_load_dwordx2 s[18:19], s[0:1], 0x4
	s_mov_b64 s[6:7], src_shared_base
	s_waitcnt lgkmcnt(0)
	s_bitcmp1_b32 s17, 0
	s_cselect_b64 s[0:1], -1, 0
	s_and_b64 vcc, s[0:1], exec
	s_cselect_b32 s5, s7, s13
	s_lshr_b32 s6, s18, 16
	v_bfe_u32 v3, v0, 10, 10
	v_and_b32_e32 v2, 0x3ff, v0
	s_mul_i32 s6, s6, s19
	v_mul_u32_u24_e32 v3, s19, v3
	v_mad_u32_u24 v3, s6, v2, v3
	v_bfe_u32 v0, v0, 20, 10
	v_add_lshl_u32 v0, v3, v0, 3
	v_mov_b32_e32 v1, s12
	v_add_u32_e32 v3, 0x400, v0
	v_mov_b64_e32 v[4:5], s[12:13]
	v_mov_b64_e32 v[6:7], s[8:9]
	ds_write2st64_b64 v0, v[6:7], v[4:5] offset1:2
	v_cndmask_b32_e64 v4, v1, v3, s[0:1]
	v_mov_b32_e32 v5, s5
	flat_load_dwordx2 v[4:5], v[4:5]
	s_xor_b64 s[18:19], s[0:1], -1
	v_mov_b64_e32 v[6:7], s[14:15]
	s_cbranch_vccnz .LBB286_2
; %bb.1:
	v_mov_b64_e32 v[6:7], s[12:13]
	flat_load_dwordx2 v[6:7], v[6:7] offset:8
.LBB286_2:
	s_and_b64 s[12:13], s[0:1], exec
	s_cselect_b32 s5, s7, s9
	v_mov_b32_e32 v1, s8
	v_cndmask_b32_e64 v0, v1, v0, s[0:1]
	v_mov_b32_e32 v1, s5
	flat_load_dwordx2 v[8:9], v[0:1]
	s_andn2_b64 vcc, exec, s[18:19]
	v_mov_b64_e32 v[10:11], s[10:11]
	s_cbranch_vccnz .LBB286_4
; %bb.3:
	v_mov_b64_e32 v[0:1], s[8:9]
	flat_load_dwordx2 v[10:11], v[0:1] offset:8
.LBB286_4:
	s_waitcnt vmcnt(0) lgkmcnt(0)
	v_cmp_eq_f64_e32 vcc, 0, v[4:5]
	v_cmp_eq_f64_e64 s[0:1], 0, v[6:7]
	s_and_b64 s[8:9], vcc, s[0:1]
	s_mov_b64 s[0:1], -1
	s_and_saveexec_b64 s[6:7], s[8:9]
; %bb.5:
	v_cmp_neq_f64_e32 vcc, 1.0, v[8:9]
	v_cmp_neq_f64_e64 s[0:1], 0, v[10:11]
	s_or_b64 s[0:1], vcc, s[0:1]
	s_orn2_b64 s[0:1], s[0:1], exec
; %bb.6:
	s_or_b64 exec, exec, s[6:7]
	s_and_saveexec_b64 s[6:7], s[0:1]
	s_cbranch_execz .LBB286_29
; %bb.7:
	s_load_dwordx2 s[0:1], s[2:3], 0x0
	v_lshrrev_b32_e32 v0, 5, v2
	v_lshl_or_b32 v12, s4, 2, v0
	s_waitcnt lgkmcnt(0)
	v_cmp_gt_i32_e32 vcc, s0, v12
	s_and_b64 exec, exec, vcc
	s_cbranch_execz .LBB286_29
; %bb.8:
	s_load_dwordx8 s[4:11], s[2:3], 0x18
	v_ashrrev_i32_e32 v13, 31, v12
	s_cmp_lg_u32 s1, 0
	s_waitcnt lgkmcnt(0)
	v_lshl_add_u64 v[0:1], v[12:13], 2, s[4:5]
	global_load_dwordx2 v[0:1], v[0:1], off
	v_and_b32_e32 v13, 31, v2
	s_waitcnt vmcnt(0)
	v_subrev_u32_e32 v2, s16, v0
	v_subrev_u32_e32 v34, s16, v1
	v_add_u32_e32 v14, v2, v13
	v_cmp_lt_i32_e64 s[0:1], v14, v34
	s_cbranch_scc0 .LBB286_16
; %bb.9:
	v_mov_b64_e32 v[18:19], 0
	s_mov_b64 s[4:5], 0
	v_mov_b64_e32 v[22:23], v[18:19]
	v_mov_b64_e32 v[20:21], v[18:19]
	;; [unrolled: 1-line block ×3, first 2 shown]
	s_and_saveexec_b64 s[12:13], s[0:1]
	s_cbranch_execz .LBB286_18
; %bb.10:
	v_mul_lo_u32 v0, v0, 26
	v_mad_u32_u24 v0, v13, 26, v0
	s_mul_i32 s14, s16, 26
	v_mov_b64_e32 v[18:19], 0
	v_mul_lo_u32 v15, v14, 26
	v_subrev_u32_e32 v35, s14, v0
	s_mov_b64 s[14:15], 0
	v_mov_b32_e32 v1, 0
	v_mov_b32_e32 v2, v14
	v_mov_b64_e32 v[22:23], v[18:19]
	v_mov_b64_e32 v[20:21], v[18:19]
	v_mov_b64_e32 v[16:17], v[18:19]
	s_branch .LBB286_12
.LBB286_11:                             ;   in Loop: Header=BB286_12 Depth=1
	v_add_u32_e32 v2, 32, v2
	v_cmp_ge_i32_e32 vcc, v2, v34
	v_add_u32_e32 v15, 0x340, v15
	s_or_b64 s[14:15], vcc, s[14:15]
	v_add_u32_e32 v35, 0x340, v35
	s_andn2_b64 exec, exec, s[14:15]
	s_cbranch_execz .LBB286_17
.LBB286_12:                             ; =>This Loop Header: Depth=1
                                        ;     Child Loop BB286_14 Depth 2
	v_ashrrev_i32_e32 v3, 31, v2
	v_lshl_add_u64 v[24:25], v[2:3], 2, s[6:7]
	global_load_dword v0, v[24:25], off
	s_mov_b32 s17, 0
	v_mov_b64_e32 v[26:27], v[18:19]
	v_mov_b64_e32 v[30:31], v[22:23]
	;; [unrolled: 1-line block ×4, first 2 shown]
	s_waitcnt vmcnt(0)
	v_subrev_u32_e32 v0, s16, v0
	v_mul_lo_u32 v24, v0, 13
	s_branch .LBB286_14
.LBB286_13:                             ;   in Loop: Header=BB286_12 Depth=1
                                        ; implicit-def: $vgpr28_vgpr29
                                        ; implicit-def: $vgpr32_vgpr33
                                        ; implicit-def: $vgpr30_vgpr31
                                        ; implicit-def: $vgpr26_vgpr27
                                        ; implicit-def: $sgpr17
                                        ; implicit-def: $vgpr24
	s_branch .LBB286_11
.LBB286_14:                             ;   Parent Loop BB286_12 Depth=1
                                        ; =>  This Inner Loop Header: Depth=2
	v_add_u32_e32 v0, s17, v35
	v_mov_b32_e32 v25, v1
	v_lshl_add_u64 v[16:17], v[0:1], 4, s[8:9]
	v_lshl_add_u64 v[18:19], v[24:25], 4, s[10:11]
	global_load_dwordx4 v[36:39], v[16:17], off
	global_load_dwordx4 v[40:43], v[18:19], off
	global_load_dwordx4 v[44:47], v[16:17], off offset:16
	s_cmp_eq_u32 s17, 24
	s_waitcnt vmcnt(1)
	v_fmac_f64_e32 v[26:27], v[38:39], v[40:41]
	s_waitcnt vmcnt(0)
	v_fmac_f64_e32 v[28:29], v[46:47], v[40:41]
	v_fmac_f64_e32 v[30:31], v[36:37], v[40:41]
	;; [unrolled: 1-line block ×3, first 2 shown]
	v_mov_b64_e32 v[18:19], v[26:27]
	v_mov_b64_e32 v[16:17], v[28:29]
	v_fma_f64 v[22:23], -v[38:39], v[42:43], v[30:31]
	v_fma_f64 v[20:21], -v[46:47], v[42:43], v[32:33]
	v_fmac_f64_e32 v[18:19], v[36:37], v[42:43]
	v_fmac_f64_e32 v[16:17], v[44:45], v[42:43]
	s_cbranch_scc1 .LBB286_13
; %bb.15:                               ;   in Loop: Header=BB286_14 Depth=2
	v_add_u32_e32 v3, s17, v15
	v_add_u32_e32 v0, 2, v3
	v_lshl_add_u64 v[26:27], v[0:1], 4, s[8:9]
	v_add_u32_e32 v0, 1, v24
	v_lshl_add_u64 v[32:33], v[0:1], 4, s[10:11]
	v_add_u32_e32 v0, 4, v3
	global_load_dwordx4 v[28:31], v[32:33], off
	global_load_dwordx4 v[36:39], v[26:27], off
	global_load_dwordx4 v[40:43], v[26:27], off offset:16
	v_lshl_add_u64 v[26:27], v[0:1], 4, s[8:9]
	v_add_u32_e32 v0, 2, v24
	v_lshl_add_u64 v[32:33], v[0:1], 4, s[10:11]
	v_add_u32_e32 v0, 6, v3
	global_load_dwordx4 v[44:47], v[32:33], off
	global_load_dwordx4 v[48:51], v[26:27], off
	global_load_dwordx4 v[52:55], v[26:27], off offset:16
	v_lshl_add_u64 v[26:27], v[0:1], 4, s[8:9]
	v_add_u32_e32 v0, 3, v24
	v_lshl_add_u64 v[32:33], v[0:1], 4, s[10:11]
	global_load_dwordx4 v[56:59], v[32:33], off
	global_load_dwordx4 v[60:63], v[26:27], off
	global_load_dwordx4 v[64:67], v[26:27], off offset:16
	s_add_i32 s17, s17, 8
	v_add_u32_e32 v24, 4, v24
	s_waitcnt vmcnt(7)
	v_fma_f64 v[32:33], v[36:37], v[28:29], v[22:23]
	v_fma_f64 v[26:27], v[38:39], v[28:29], v[18:19]
	s_waitcnt vmcnt(6)
	v_fma_f64 v[68:69], v[40:41], v[28:29], v[20:21]
	v_fma_f64 v[28:29], v[42:43], v[28:29], v[16:17]
	v_fma_f64 v[32:33], -v[38:39], v[30:31], v[32:33]
	v_fmac_f64_e32 v[26:27], v[36:37], v[30:31]
	v_fma_f64 v[36:37], -v[42:43], v[30:31], v[68:69]
	v_fmac_f64_e32 v[28:29], v[40:41], v[30:31]
	s_waitcnt vmcnt(4)
	v_fmac_f64_e32 v[32:33], v[48:49], v[44:45]
	v_fmac_f64_e32 v[26:27], v[50:51], v[44:45]
	s_waitcnt vmcnt(3)
	v_fmac_f64_e32 v[36:37], v[52:53], v[44:45]
	v_fmac_f64_e32 v[28:29], v[54:55], v[44:45]
	v_fma_f64 v[30:31], -v[50:51], v[46:47], v[32:33]
	v_fmac_f64_e32 v[26:27], v[48:49], v[46:47]
	v_fma_f64 v[32:33], -v[54:55], v[46:47], v[36:37]
	v_fmac_f64_e32 v[28:29], v[52:53], v[46:47]
	s_waitcnt vmcnt(1)
	v_fmac_f64_e32 v[30:31], v[60:61], v[56:57]
	v_fmac_f64_e32 v[26:27], v[62:63], v[56:57]
	s_waitcnt vmcnt(0)
	v_fmac_f64_e32 v[32:33], v[64:65], v[56:57]
	v_fmac_f64_e32 v[28:29], v[66:67], v[56:57]
	v_fma_f64 v[30:31], -v[62:63], v[58:59], v[30:31]
	v_fmac_f64_e32 v[26:27], v[60:61], v[58:59]
	v_fma_f64 v[32:33], -v[66:67], v[58:59], v[32:33]
	v_fmac_f64_e32 v[28:29], v[64:65], v[58:59]
	s_cbranch_execnz .LBB286_14
	s_branch .LBB286_11
.LBB286_16:
                                        ; implicit-def: $vgpr18_vgpr19
                                        ; implicit-def: $vgpr22_vgpr23
                                        ; implicit-def: $vgpr20_vgpr21
                                        ; implicit-def: $vgpr16_vgpr17
	s_branch .LBB286_19
.LBB286_17:
	s_or_b64 exec, exec, s[14:15]
.LBB286_18:
	s_or_b64 exec, exec, s[12:13]
	s_andn2_b64 vcc, exec, s[4:5]
	s_cbranch_vccnz .LBB286_24
.LBB286_19:
	v_mov_b64_e32 v[18:19], 0
	v_mov_b64_e32 v[22:23], v[18:19]
	;; [unrolled: 1-line block ×4, first 2 shown]
	s_and_saveexec_b64 s[4:5], s[0:1]
	s_cbranch_execz .LBB286_23
; %bb.20:
	v_mad_u64_u32 v[24:25], s[0:1], v14, 26, 25
	v_mov_b64_e32 v[18:19], 0
	s_mov_b64 s[0:1], 0
	v_mov_b32_e32 v27, 0
	v_mov_b64_e32 v[22:23], v[18:19]
	v_mov_b64_e32 v[20:21], v[18:19]
	v_mov_b64_e32 v[16:17], v[18:19]
.LBB286_21:                             ; =>This Inner Loop Header: Depth=1
	v_ashrrev_i32_e32 v15, 31, v14
	v_subrev_u32_e32 v26, 25, v24
	v_add_u32_e32 v0, -12, v24
	v_mov_b32_e32 v1, v27
	v_mov_b32_e32 v25, v27
	v_lshl_add_u64 v[44:45], v[14:15], 2, s[6:7]
	v_lshl_add_u64 v[46:47], v[26:27], 4, s[8:9]
	;; [unrolled: 1-line block ×4, first 2 shown]
	global_load_dword v15, v[44:45], off
	global_load_dwordx4 v[30:33], v[46:47], off offset:16
	global_load_dwordx4 v[36:39], v[46:47], off
	global_load_dwordx4 v[40:43], v[48:49], off
	;; [unrolled: 1-line block ×3, first 2 shown]
	v_mov_b32_e32 v29, v27
	v_add_u32_e32 v14, 32, v14
	v_cmp_ge_i32_e32 vcc, v14, v34
	s_or_b64 s[0:1], vcc, s[0:1]
	s_waitcnt vmcnt(4)
	v_subrev_u32_e32 v15, s16, v15
	v_mul_lo_u32 v28, v15, 13
	v_lshl_add_u64 v[44:45], v[28:29], 4, s[10:11]
	global_load_dwordx4 v[44:47], v[44:45], off
	v_add_u32_e32 v26, 1, v28
	v_lshl_add_u64 v[48:49], v[26:27], 4, s[10:11]
	global_load_dwordx4 v[48:51], v[48:49], off
	v_add_u32_e32 v26, -11, v24
	v_lshl_add_u64 v[52:53], v[26:27], 4, s[8:9]
	global_load_dwordx4 v[52:55], v[52:53], off
	v_subrev_u32_e32 v26, 23, v24
	v_lshl_add_u64 v[56:57], v[26:27], 4, s[8:9]
	v_add_u32_e32 v26, 2, v28
	v_lshl_add_u64 v[60:61], v[26:27], 4, s[10:11]
	global_load_dwordx4 v[56:59], v[56:57], off
	v_add_u32_e32 v26, -10, v24
	global_load_dwordx4 v[60:63], v[60:61], off
	v_lshl_add_u64 v[64:65], v[26:27], 4, s[8:9]
	v_subrev_u32_e32 v26, 22, v24
	global_load_dwordx4 v[64:67], v[64:65], off
	v_lshl_add_u64 v[68:69], v[26:27], 4, s[8:9]
	global_load_dwordx4 v[68:71], v[68:69], off
	v_add_u32_e32 v26, 3, v28
	v_lshl_add_u64 v[72:73], v[26:27], 4, s[10:11]
	v_add_u32_e32 v26, -9, v24
	global_load_dwordx4 v[72:75], v[72:73], off
	v_lshl_add_u64 v[76:77], v[26:27], 4, s[8:9]
	v_subrev_u32_e32 v26, 21, v24
	s_waitcnt vmcnt(7)
	v_fmac_f64_e32 v[22:23], v[36:37], v[44:45]
	v_fmac_f64_e32 v[18:19], v[38:39], v[44:45]
	v_fma_f64 v[78:79], -v[38:39], v[46:47], v[22:23]
	v_fmac_f64_e32 v[18:19], v[36:37], v[46:47]
	global_load_dwordx4 v[36:39], v[76:77], off
	v_lshl_add_u64 v[22:23], v[26:27], 4, s[8:9]
	v_add_u32_e32 v26, 4, v28
	v_fmac_f64_e32 v[16:17], v[42:43], v[44:45]
	v_fmac_f64_e32 v[20:21], v[40:41], v[44:45]
	;; [unrolled: 1-line block ×3, first 2 shown]
	v_lshl_add_u64 v[40:41], v[26:27], 4, s[10:11]
	v_add_u32_e32 v26, -8, v24
	v_fma_f64 v[44:45], -v[42:43], v[46:47], v[20:21]
	global_load_dwordx4 v[20:23], v[22:23], off
	v_lshl_add_u64 v[46:47], v[26:27], 4, s[8:9]
	global_load_dwordx4 v[40:43], v[40:41], off
	v_subrev_u32_e32 v26, 20, v24
	s_waitcnt vmcnt(9)
	v_fmac_f64_e32 v[78:79], v[30:31], v[48:49]
	v_fmac_f64_e32 v[18:19], v[32:33], v[48:49]
	v_fma_f64 v[76:77], -v[32:33], v[50:51], v[78:79]
	v_fmac_f64_e32 v[18:19], v[30:31], v[50:51]
	global_load_dwordx4 v[30:33], v[46:47], off
	v_lshl_add_u64 v[46:47], v[26:27], 4, s[8:9]
	v_add_u32_e32 v26, 5, v28
	s_waitcnt vmcnt(9)
	v_fmac_f64_e32 v[44:45], v[52:53], v[48:49]
	v_fmac_f64_e32 v[16:17], v[54:55], v[48:49]
	v_lshl_add_u64 v[48:49], v[26:27], 4, s[10:11]
	v_fma_f64 v[78:79], -v[54:55], v[50:51], v[44:45]
	v_fmac_f64_e32 v[16:17], v[52:53], v[50:51]
	global_load_dwordx4 v[44:47], v[46:47], off
	v_add_u32_e32 v26, -7, v24
	global_load_dwordx4 v[48:51], v[48:49], off
	v_lshl_add_u64 v[52:53], v[26:27], 4, s[8:9]
	v_subrev_u32_e32 v26, 19, v24
	global_load_dwordx4 v[52:55], v[52:53], off
	s_waitcnt vmcnt(10)
	v_fmac_f64_e32 v[18:19], v[58:59], v[60:61]
	v_fmac_f64_e32 v[76:77], v[56:57], v[60:61]
	;; [unrolled: 1-line block ×3, first 2 shown]
	v_lshl_add_u64 v[56:57], v[26:27], 4, s[8:9]
	v_add_u32_e32 v26, 6, v28
	s_waitcnt vmcnt(9)
	v_fmac_f64_e32 v[78:79], v[64:65], v[60:61]
	v_fmac_f64_e32 v[16:17], v[66:67], v[60:61]
	v_lshl_add_u64 v[60:61], v[26:27], 4, s[10:11]
	v_add_u32_e32 v26, -6, v24
	v_fmac_f64_e32 v[16:17], v[64:65], v[62:63]
	v_lshl_add_u64 v[64:65], v[26:27], 4, s[8:9]
	v_fma_f64 v[76:77], -v[58:59], v[62:63], v[76:77]
	v_fma_f64 v[78:79], -v[66:67], v[62:63], v[78:79]
	global_load_dwordx4 v[60:63], v[60:61], off
	v_subrev_u32_e32 v26, 18, v24
	s_waitcnt vmcnt(8)
	v_fmac_f64_e32 v[18:19], v[70:71], v[72:73]
	global_load_dwordx4 v[64:67], v[64:65], off
	v_fmac_f64_e32 v[76:77], v[68:69], v[72:73]
	global_load_dwordx4 v[56:59], v[56:57], off
	v_fmac_f64_e32 v[18:19], v[68:69], v[74:75]
	v_lshl_add_u64 v[68:69], v[26:27], 4, s[8:9]
	v_add_u32_e32 v26, 7, v28
	v_fma_f64 v[76:77], -v[70:71], v[74:75], v[76:77]
	s_waitcnt vmcnt(9)
	v_fmac_f64_e32 v[78:79], v[36:37], v[72:73]
	v_fmac_f64_e32 v[16:17], v[38:39], v[72:73]
	v_fma_f64 v[72:73], -v[38:39], v[74:75], v[78:79]
	v_fmac_f64_e32 v[16:17], v[36:37], v[74:75]
	global_load_dwordx4 v[36:39], v[68:69], off
	v_lshl_add_u64 v[68:69], v[26:27], 4, s[10:11]
	v_add_u32_e32 v26, -5, v24
	global_load_dwordx4 v[68:71], v[68:69], off
	v_lshl_add_u64 v[74:75], v[26:27], 4, s[8:9]
	v_subrev_u32_e32 v26, 17, v24
	s_waitcnt vmcnt(9)
	v_fmac_f64_e32 v[76:77], v[20:21], v[40:41]
	v_fmac_f64_e32 v[18:19], v[22:23], v[40:41]
	v_fma_f64 v[76:77], -v[22:23], v[42:43], v[76:77]
	v_fmac_f64_e32 v[18:19], v[20:21], v[42:43]
	global_load_dwordx4 v[20:23], v[74:75], off
	v_lshl_add_u64 v[74:75], v[26:27], 4, s[8:9]
	v_add_u32_e32 v26, 8, v28
	s_waitcnt vmcnt(9)
	v_fmac_f64_e32 v[72:73], v[30:31], v[40:41]
	v_fmac_f64_e32 v[16:17], v[32:33], v[40:41]
	v_lshl_add_u64 v[40:41], v[26:27], 4, s[10:11]
	v_add_u32_e32 v26, -4, v24
	v_fma_f64 v[72:73], -v[32:33], v[42:43], v[72:73]
	v_fmac_f64_e32 v[16:17], v[30:31], v[42:43]
	global_load_dwordx4 v[30:33], v[74:75], off
	v_lshl_add_u64 v[74:75], v[26:27], 4, s[8:9]
	global_load_dwordx4 v[40:43], v[40:41], off
	s_waitcnt vmcnt(9)
	v_fmac_f64_e32 v[76:77], v[44:45], v[48:49]
	v_fmac_f64_e32 v[18:19], v[46:47], v[48:49]
	v_fma_f64 v[76:77], -v[46:47], v[50:51], v[76:77]
	v_fmac_f64_e32 v[18:19], v[44:45], v[50:51]
	global_load_dwordx4 v[44:47], v[74:75], off
	v_add_u32_e32 v26, -16, v24
	v_lshl_add_u64 v[74:75], v[26:27], 4, s[8:9]
	v_add_u32_e32 v26, 9, v28
	s_waitcnt vmcnt(9)
	v_fmac_f64_e32 v[16:17], v[54:55], v[48:49]
	v_fmac_f64_e32 v[72:73], v[52:53], v[48:49]
	;; [unrolled: 1-line block ×3, first 2 shown]
	v_lshl_add_u64 v[52:53], v[26:27], 4, s[10:11]
	v_add_u32_e32 v26, -3, v24
	v_fma_f64 v[72:73], -v[54:55], v[50:51], v[72:73]
	global_load_dwordx4 v[48:51], v[74:75], off
	v_lshl_add_u64 v[74:75], v[26:27], 4, s[8:9]
	v_add_u32_e32 v26, -15, v24
	v_lshl_add_u64 v[78:79], v[26:27], 4, s[8:9]
	v_add_u32_e32 v26, 10, v28
	global_load_dwordx4 v[52:55], v[52:53], off
	s_waitcnt vmcnt(9)
	v_fmac_f64_e32 v[16:17], v[66:67], v[60:61]
	v_fmac_f64_e32 v[72:73], v[64:65], v[60:61]
	s_waitcnt vmcnt(8)
	v_fmac_f64_e32 v[76:77], v[56:57], v[60:61]
	v_fmac_f64_e32 v[18:19], v[58:59], v[60:61]
	v_fmac_f64_e32 v[16:17], v[64:65], v[62:63]
	v_lshl_add_u64 v[64:65], v[26:27], 4, s[10:11]
	v_add_u32_e32 v26, -2, v24
	v_fma_f64 v[76:77], -v[58:59], v[62:63], v[76:77]
	v_fmac_f64_e32 v[18:19], v[56:57], v[62:63]
	global_load_dwordx4 v[56:59], v[74:75], off
	v_fma_f64 v[72:73], -v[66:67], v[62:63], v[72:73]
	global_load_dwordx4 v[60:63], v[78:79], off
	v_lshl_add_u64 v[74:75], v[26:27], 4, s[8:9]
	v_add_u32_e32 v26, -14, v24
	global_load_dwordx4 v[64:67], v[64:65], off
	v_lshl_add_u64 v[78:79], v[26:27], 4, s[8:9]
	v_add_u32_e32 v26, 11, v28
	s_waitcnt vmcnt(9)
	v_fmac_f64_e32 v[76:77], v[36:37], v[68:69]
	v_fmac_f64_e32 v[18:19], v[38:39], v[68:69]
	v_fma_f64 v[76:77], -v[38:39], v[70:71], v[76:77]
	v_fmac_f64_e32 v[18:19], v[36:37], v[70:71]
	global_load_dwordx4 v[36:39], v[74:75], off
	s_waitcnt vmcnt(9)
	v_fmac_f64_e32 v[72:73], v[20:21], v[68:69]
	v_fmac_f64_e32 v[16:17], v[22:23], v[68:69]
	v_lshl_add_u64 v[68:69], v[26:27], 4, s[10:11]
	v_add_u32_e32 v26, -1, v24
	v_fma_f64 v[80:81], -v[22:23], v[70:71], v[72:73]
	v_fmac_f64_e32 v[16:17], v[20:21], v[70:71]
	global_load_dwordx4 v[20:23], v[78:79], off
	v_lshl_add_u64 v[78:79], v[26:27], 4, s[8:9]
	v_add_u32_e32 v26, -13, v24
	v_lshl_add_u64 v[82:83], v[26:27], 4, s[8:9]
	v_add_u32_e32 v26, 12, v28
	global_load_dwordx4 v[68:71], v[68:69], off
	s_waitcnt vmcnt(9)
	v_fmac_f64_e32 v[18:19], v[32:33], v[40:41]
	v_fmac_f64_e32 v[76:77], v[30:31], v[40:41]
	;; [unrolled: 1-line block ×3, first 2 shown]
	global_load_dwordx4 v[28:31], v[78:79], off
	global_load_dwordx4 v[72:75], v[82:83], off
	s_waitcnt vmcnt(10)
	v_fmac_f64_e32 v[80:81], v[44:45], v[40:41]
	v_fmac_f64_e32 v[16:17], v[46:47], v[40:41]
	v_lshl_add_u64 v[40:41], v[26:27], 4, s[10:11]
	v_fma_f64 v[32:33], -v[32:33], v[42:43], v[76:77]
	v_fma_f64 v[46:47], -v[46:47], v[42:43], v[80:81]
	v_fmac_f64_e32 v[16:17], v[44:45], v[42:43]
	global_load_dwordx4 v[40:43], v[40:41], off
	v_add_u32_e32 v24, 0x340, v24
	s_waitcnt vmcnt(9)
	v_fmac_f64_e32 v[32:33], v[48:49], v[52:53]
	v_fmac_f64_e32 v[18:19], v[50:51], v[52:53]
	v_fma_f64 v[32:33], -v[50:51], v[54:55], v[32:33]
	v_fmac_f64_e32 v[18:19], v[48:49], v[54:55]
	s_waitcnt vmcnt(8)
	v_fmac_f64_e32 v[46:47], v[56:57], v[52:53]
	v_fmac_f64_e32 v[16:17], v[58:59], v[52:53]
	v_fma_f64 v[44:45], -v[58:59], v[54:55], v[46:47]
	v_fmac_f64_e32 v[16:17], v[56:57], v[54:55]
	;; [unrolled: 5-line block ×4, first 2 shown]
	s_waitcnt vmcnt(3)
	v_fmac_f64_e32 v[32:33], v[20:21], v[68:69]
	v_fmac_f64_e32 v[18:19], v[22:23], v[68:69]
	v_fma_f64 v[22:23], -v[22:23], v[70:71], v[32:33]
	s_waitcnt vmcnt(2)
	v_fmac_f64_e32 v[38:39], v[28:29], v[68:69]
	v_fmac_f64_e32 v[16:17], v[30:31], v[68:69]
	;; [unrolled: 1-line block ×3, first 2 shown]
	v_fma_f64 v[20:21], -v[30:31], v[70:71], v[38:39]
	v_fmac_f64_e32 v[16:17], v[28:29], v[70:71]
	s_waitcnt vmcnt(0)
	v_fmac_f64_e32 v[22:23], v[72:73], v[40:41]
	v_fmac_f64_e32 v[18:19], v[74:75], v[40:41]
	;; [unrolled: 1-line block ×4, first 2 shown]
	v_fma_f64 v[22:23], -v[74:75], v[42:43], v[22:23]
	v_fmac_f64_e32 v[18:19], v[72:73], v[42:43]
	v_fma_f64 v[20:21], -v[2:3], v[42:43], v[20:21]
	v_fmac_f64_e32 v[16:17], v[0:1], v[42:43]
	s_andn2_b64 exec, exec, s[0:1]
	s_cbranch_execnz .LBB286_21
; %bb.22:
	s_or_b64 exec, exec, s[0:1]
.LBB286_23:
	s_or_b64 exec, exec, s[4:5]
.LBB286_24:
	v_mov_b32_dpp v14, v18 row_shr:1 row_mask:0xf bank_mask:0xf
	v_mov_b32_dpp v15, v19 row_shr:1 row_mask:0xf bank_mask:0xf
	v_add_f64 v[14:15], v[18:19], v[14:15]
	v_mov_b32_dpp v0, v22 row_shr:1 row_mask:0xf bank_mask:0xf
	v_mov_b32_dpp v1, v23 row_shr:1 row_mask:0xf bank_mask:0xf
	;; [unrolled: 1-line block ×4, first 2 shown]
	v_add_f64 v[14:15], v[14:15], v[18:19]
	v_add_f64 v[0:1], v[22:23], v[0:1]
	v_cmp_eq_u32_e32 vcc, 31, v13
	v_mov_b32_dpp v18, v14 row_shr:4 row_mask:0xf bank_mask:0xe
	v_mov_b32_dpp v19, v15 row_shr:4 row_mask:0xf bank_mask:0xe
	v_add_f64 v[14:15], v[14:15], v[18:19]
	v_mov_b32_dpp v2, v0 row_shr:2 row_mask:0xf bank_mask:0xf
	v_mov_b32_dpp v3, v1 row_shr:2 row_mask:0xf bank_mask:0xf
	v_mov_b32_dpp v18, v14 row_shr:8 row_mask:0xf bank_mask:0xc
	v_mov_b32_dpp v19, v15 row_shr:8 row_mask:0xf bank_mask:0xc
	v_add_f64 v[18:19], v[14:15], v[18:19]
	v_mov_b32_dpp v14, v20 row_shr:1 row_mask:0xf bank_mask:0xf
	v_mov_b32_dpp v15, v21 row_shr:1 row_mask:0xf bank_mask:0xf
	v_add_f64 v[14:15], v[20:21], v[14:15]
	v_add_f64 v[0:1], v[0:1], v[2:3]
	v_mov_b32_dpp v22, v18 row_bcast:15 row_mask:0xa bank_mask:0xf
	v_mov_b32_dpp v20, v14 row_shr:2 row_mask:0xf bank_mask:0xf
	v_mov_b32_dpp v21, v15 row_shr:2 row_mask:0xf bank_mask:0xf
	v_add_f64 v[14:15], v[14:15], v[20:21]
	v_mov_b32_dpp v2, v0 row_shr:4 row_mask:0xf bank_mask:0xe
	v_mov_b32_dpp v3, v1 row_shr:4 row_mask:0xf bank_mask:0xe
	;; [unrolled: 1-line block ×4, first 2 shown]
	v_add_f64 v[14:15], v[14:15], v[20:21]
	v_add_f64 v[0:1], v[0:1], v[2:3]
	v_mov_b32_dpp v23, v19 row_bcast:15 row_mask:0xa bank_mask:0xf
	v_mov_b32_dpp v20, v14 row_shr:8 row_mask:0xf bank_mask:0xc
	v_mov_b32_dpp v21, v15 row_shr:8 row_mask:0xf bank_mask:0xc
	v_add_f64 v[20:21], v[14:15], v[20:21]
	v_mov_b32_dpp v14, v16 row_shr:1 row_mask:0xf bank_mask:0xf
	v_mov_b32_dpp v15, v17 row_shr:1 row_mask:0xf bank_mask:0xf
	v_add_f64 v[14:15], v[16:17], v[14:15]
	v_mov_b32_dpp v2, v0 row_shr:8 row_mask:0xf bank_mask:0xc
	v_mov_b32_dpp v3, v1 row_shr:8 row_mask:0xf bank_mask:0xc
	;; [unrolled: 1-line block ×4, first 2 shown]
	v_add_f64 v[14:15], v[14:15], v[16:17]
	v_add_f64 v[0:1], v[0:1], v[2:3]
	v_mov_b32_dpp v24, v20 row_bcast:15 row_mask:0xa bank_mask:0xf
	v_mov_b32_dpp v16, v14 row_shr:4 row_mask:0xf bank_mask:0xe
	v_mov_b32_dpp v17, v15 row_shr:4 row_mask:0xf bank_mask:0xe
	v_add_f64 v[14:15], v[14:15], v[16:17]
	v_mov_b32_dpp v2, v0 row_bcast:15 row_mask:0xa bank_mask:0xf
	v_mov_b32_dpp v3, v1 row_bcast:15 row_mask:0xa bank_mask:0xf
	v_mov_b32_dpp v16, v14 row_shr:8 row_mask:0xf bank_mask:0xc
	v_mov_b32_dpp v17, v15 row_shr:8 row_mask:0xf bank_mask:0xc
	v_add_f64 v[26:27], v[14:15], v[16:17]
	v_mov_b32_dpp v25, v21 row_bcast:15 row_mask:0xa bank_mask:0xf
	s_nop 0
	v_mov_b32_dpp v28, v26 row_bcast:15 row_mask:0xa bank_mask:0xf
	v_mov_b32_dpp v29, v27 row_bcast:15 row_mask:0xa bank_mask:0xf
	s_and_b64 exec, exec, vcc
	s_cbranch_execz .LBB286_29
; %bb.25:
	s_load_dwordx2 s[2:3], s[2:3], 0x48
	v_cmp_eq_f64_e32 vcc, 0, v[8:9]
	v_cmp_eq_f64_e64 s[0:1], 0, v[10:11]
	v_add_f64 v[14:15], v[0:1], v[2:3]
	v_add_f64 v[16:17], v[18:19], v[22:23]
	;; [unrolled: 1-line block ×4, first 2 shown]
	s_and_b64 s[0:1], vcc, s[0:1]
	s_and_saveexec_b64 s[4:5], s[0:1]
	s_xor_b64 s[0:1], exec, s[4:5]
	s_cbranch_execz .LBB286_27
; %bb.26:
	v_lshlrev_b32_e32 v12, 1, v12
	v_mul_f64 v[8:9], v[16:17], -v[6:7]
	v_mul_f64 v[10:11], v[4:5], v[16:17]
	v_ashrrev_i32_e32 v13, 31, v12
	v_fmac_f64_e32 v[8:9], v[4:5], v[14:15]
	v_fmac_f64_e32 v[10:11], v[6:7], v[14:15]
	s_waitcnt lgkmcnt(0)
	v_lshl_add_u64 v[12:13], v[12:13], 4, s[2:3]
	global_store_dwordx4 v[12:13], v[8:11], off
                                        ; implicit-def: $vgpr14_vgpr15
                                        ; implicit-def: $vgpr16_vgpr17
	s_nop 1
	v_mul_f64 v[8:9], v[2:3], -v[6:7]
	v_mul_f64 v[10:11], v[4:5], v[2:3]
	v_fmac_f64_e32 v[8:9], v[4:5], v[0:1]
	v_fmac_f64_e32 v[10:11], v[6:7], v[0:1]
	global_store_dwordx4 v[12:13], v[8:11], off offset:16
                                        ; implicit-def: $vgpr4_vgpr5
                                        ; implicit-def: $vgpr6_vgpr7
                                        ; implicit-def: $vgpr8_vgpr9
                                        ; implicit-def: $vgpr10_vgpr11
                                        ; implicit-def: $vgpr12
                                        ; implicit-def: $vgpr0_vgpr1
                                        ; implicit-def: $vgpr2_vgpr3
.LBB286_27:
	s_andn2_saveexec_b64 s[0:1], s[0:1]
	s_cbranch_execz .LBB286_29
; %bb.28:
	v_lshlrev_b32_e32 v12, 1, v12
	v_ashrrev_i32_e32 v13, 31, v12
	s_waitcnt lgkmcnt(0)
	v_lshl_add_u64 v[12:13], v[12:13], 4, s[2:3]
	global_load_dwordx4 v[18:21], v[12:13], off
	global_load_dwordx4 v[22:25], v[12:13], off offset:16
	v_mul_f64 v[26:27], v[16:17], -v[6:7]
	v_mul_f64 v[16:17], v[4:5], v[16:17]
	v_mul_f64 v[28:29], v[2:3], -v[6:7]
	v_mul_f64 v[2:3], v[4:5], v[2:3]
	v_fmac_f64_e32 v[26:27], v[4:5], v[14:15]
	v_fmac_f64_e32 v[16:17], v[6:7], v[14:15]
	;; [unrolled: 1-line block ×4, first 2 shown]
	s_waitcnt vmcnt(1)
	v_fmac_f64_e32 v[26:27], v[8:9], v[18:19]
	v_fmac_f64_e32 v[16:17], v[10:11], v[18:19]
	s_waitcnt vmcnt(0)
	v_fmac_f64_e32 v[28:29], v[8:9], v[22:23]
	v_fmac_f64_e32 v[2:3], v[10:11], v[22:23]
	v_fma_f64 v[14:15], -v[10:11], v[20:21], v[26:27]
	v_fmac_f64_e32 v[16:17], v[8:9], v[20:21]
	v_fma_f64 v[0:1], -v[10:11], v[24:25], v[28:29]
	v_fmac_f64_e32 v[2:3], v[8:9], v[24:25]
	global_store_dwordx4 v[12:13], v[14:17], off
	global_store_dwordx4 v[12:13], v[0:3], off offset:16
.LBB286_29:
	s_endpgm
	.section	.rodata,"a",@progbits
	.p2align	6, 0x0
	.amdhsa_kernel _ZN9rocsparseL19gebsrmvn_2xn_kernelILj128ELj13ELj32E21rocsparse_complex_numIdEEEvi20rocsparse_direction_NS_24const_host_device_scalarIT2_EEPKiS8_PKS5_SA_S6_PS5_21rocsparse_index_base_b
		.amdhsa_group_segment_fixed_size 2048
		.amdhsa_private_segment_fixed_size 0
		.amdhsa_kernarg_size 88
		.amdhsa_user_sgpr_count 4
		.amdhsa_user_sgpr_dispatch_ptr 1
		.amdhsa_user_sgpr_queue_ptr 0
		.amdhsa_user_sgpr_kernarg_segment_ptr 1
		.amdhsa_user_sgpr_dispatch_id 0
		.amdhsa_user_sgpr_kernarg_preload_length 0
		.amdhsa_user_sgpr_kernarg_preload_offset 0
		.amdhsa_user_sgpr_private_segment_size 0
		.amdhsa_uses_dynamic_stack 0
		.amdhsa_enable_private_segment 0
		.amdhsa_system_sgpr_workgroup_id_x 1
		.amdhsa_system_sgpr_workgroup_id_y 0
		.amdhsa_system_sgpr_workgroup_id_z 0
		.amdhsa_system_sgpr_workgroup_info 0
		.amdhsa_system_vgpr_workitem_id 2
		.amdhsa_next_free_vgpr 84
		.amdhsa_next_free_sgpr 20
		.amdhsa_accum_offset 84
		.amdhsa_reserve_vcc 1
		.amdhsa_float_round_mode_32 0
		.amdhsa_float_round_mode_16_64 0
		.amdhsa_float_denorm_mode_32 3
		.amdhsa_float_denorm_mode_16_64 3
		.amdhsa_dx10_clamp 1
		.amdhsa_ieee_mode 1
		.amdhsa_fp16_overflow 0
		.amdhsa_tg_split 0
		.amdhsa_exception_fp_ieee_invalid_op 0
		.amdhsa_exception_fp_denorm_src 0
		.amdhsa_exception_fp_ieee_div_zero 0
		.amdhsa_exception_fp_ieee_overflow 0
		.amdhsa_exception_fp_ieee_underflow 0
		.amdhsa_exception_fp_ieee_inexact 0
		.amdhsa_exception_int_div_zero 0
	.end_amdhsa_kernel
	.section	.text._ZN9rocsparseL19gebsrmvn_2xn_kernelILj128ELj13ELj32E21rocsparse_complex_numIdEEEvi20rocsparse_direction_NS_24const_host_device_scalarIT2_EEPKiS8_PKS5_SA_S6_PS5_21rocsparse_index_base_b,"axG",@progbits,_ZN9rocsparseL19gebsrmvn_2xn_kernelILj128ELj13ELj32E21rocsparse_complex_numIdEEEvi20rocsparse_direction_NS_24const_host_device_scalarIT2_EEPKiS8_PKS5_SA_S6_PS5_21rocsparse_index_base_b,comdat
.Lfunc_end286:
	.size	_ZN9rocsparseL19gebsrmvn_2xn_kernelILj128ELj13ELj32E21rocsparse_complex_numIdEEEvi20rocsparse_direction_NS_24const_host_device_scalarIT2_EEPKiS8_PKS5_SA_S6_PS5_21rocsparse_index_base_b, .Lfunc_end286-_ZN9rocsparseL19gebsrmvn_2xn_kernelILj128ELj13ELj32E21rocsparse_complex_numIdEEEvi20rocsparse_direction_NS_24const_host_device_scalarIT2_EEPKiS8_PKS5_SA_S6_PS5_21rocsparse_index_base_b
                                        ; -- End function
	.section	.AMDGPU.csdata,"",@progbits
; Kernel info:
; codeLenInByte = 3344
; NumSgprs: 26
; NumVgprs: 84
; NumAgprs: 0
; TotalNumVgprs: 84
; ScratchSize: 0
; MemoryBound: 0
; FloatMode: 240
; IeeeMode: 1
; LDSByteSize: 2048 bytes/workgroup (compile time only)
; SGPRBlocks: 3
; VGPRBlocks: 10
; NumSGPRsForWavesPerEU: 26
; NumVGPRsForWavesPerEU: 84
; AccumOffset: 84
; Occupancy: 5
; WaveLimiterHint : 1
; COMPUTE_PGM_RSRC2:SCRATCH_EN: 0
; COMPUTE_PGM_RSRC2:USER_SGPR: 4
; COMPUTE_PGM_RSRC2:TRAP_HANDLER: 0
; COMPUTE_PGM_RSRC2:TGID_X_EN: 1
; COMPUTE_PGM_RSRC2:TGID_Y_EN: 0
; COMPUTE_PGM_RSRC2:TGID_Z_EN: 0
; COMPUTE_PGM_RSRC2:TIDIG_COMP_CNT: 2
; COMPUTE_PGM_RSRC3_GFX90A:ACCUM_OFFSET: 20
; COMPUTE_PGM_RSRC3_GFX90A:TG_SPLIT: 0
	.section	.text._ZN9rocsparseL19gebsrmvn_2xn_kernelILj128ELj13ELj64E21rocsparse_complex_numIdEEEvi20rocsparse_direction_NS_24const_host_device_scalarIT2_EEPKiS8_PKS5_SA_S6_PS5_21rocsparse_index_base_b,"axG",@progbits,_ZN9rocsparseL19gebsrmvn_2xn_kernelILj128ELj13ELj64E21rocsparse_complex_numIdEEEvi20rocsparse_direction_NS_24const_host_device_scalarIT2_EEPKiS8_PKS5_SA_S6_PS5_21rocsparse_index_base_b,comdat
	.globl	_ZN9rocsparseL19gebsrmvn_2xn_kernelILj128ELj13ELj64E21rocsparse_complex_numIdEEEvi20rocsparse_direction_NS_24const_host_device_scalarIT2_EEPKiS8_PKS5_SA_S6_PS5_21rocsparse_index_base_b ; -- Begin function _ZN9rocsparseL19gebsrmvn_2xn_kernelILj128ELj13ELj64E21rocsparse_complex_numIdEEEvi20rocsparse_direction_NS_24const_host_device_scalarIT2_EEPKiS8_PKS5_SA_S6_PS5_21rocsparse_index_base_b
	.p2align	8
	.type	_ZN9rocsparseL19gebsrmvn_2xn_kernelILj128ELj13ELj64E21rocsparse_complex_numIdEEEvi20rocsparse_direction_NS_24const_host_device_scalarIT2_EEPKiS8_PKS5_SA_S6_PS5_21rocsparse_index_base_b,@function
_ZN9rocsparseL19gebsrmvn_2xn_kernelILj128ELj13ELj64E21rocsparse_complex_numIdEEEvi20rocsparse_direction_NS_24const_host_device_scalarIT2_EEPKiS8_PKS5_SA_S6_PS5_21rocsparse_index_base_b: ; @_ZN9rocsparseL19gebsrmvn_2xn_kernelILj128ELj13ELj64E21rocsparse_complex_numIdEEEvi20rocsparse_direction_NS_24const_host_device_scalarIT2_EEPKiS8_PKS5_SA_S6_PS5_21rocsparse_index_base_b
; %bb.0:
	s_load_dwordx2 s[16:17], s[2:3], 0x50
	s_load_dwordx4 s[12:15], s[2:3], 0x8
	s_load_dwordx4 s[8:11], s[2:3], 0x38
	s_load_dwordx2 s[18:19], s[0:1], 0x4
	s_mov_b64 s[6:7], src_shared_base
	s_waitcnt lgkmcnt(0)
	s_bitcmp1_b32 s17, 0
	s_cselect_b64 s[0:1], -1, 0
	s_and_b64 vcc, s[0:1], exec
	s_cselect_b32 s5, s7, s13
	s_lshr_b32 s6, s18, 16
	v_bfe_u32 v3, v0, 10, 10
	v_and_b32_e32 v2, 0x3ff, v0
	s_mul_i32 s6, s6, s19
	v_mul_u32_u24_e32 v3, s19, v3
	v_mad_u32_u24 v3, s6, v2, v3
	v_bfe_u32 v0, v0, 20, 10
	v_add_lshl_u32 v0, v3, v0, 3
	v_mov_b32_e32 v1, s12
	v_add_u32_e32 v3, 0x400, v0
	v_mov_b64_e32 v[4:5], s[12:13]
	v_mov_b64_e32 v[6:7], s[8:9]
	ds_write2st64_b64 v0, v[6:7], v[4:5] offset1:2
	v_cndmask_b32_e64 v4, v1, v3, s[0:1]
	v_mov_b32_e32 v5, s5
	flat_load_dwordx2 v[4:5], v[4:5]
	s_xor_b64 s[18:19], s[0:1], -1
	v_mov_b64_e32 v[6:7], s[14:15]
	s_cbranch_vccnz .LBB287_2
; %bb.1:
	v_mov_b64_e32 v[6:7], s[12:13]
	flat_load_dwordx2 v[6:7], v[6:7] offset:8
.LBB287_2:
	s_and_b64 s[12:13], s[0:1], exec
	s_cselect_b32 s5, s7, s9
	v_mov_b32_e32 v1, s8
	v_cndmask_b32_e64 v0, v1, v0, s[0:1]
	v_mov_b32_e32 v1, s5
	flat_load_dwordx2 v[8:9], v[0:1]
	s_andn2_b64 vcc, exec, s[18:19]
	v_mov_b64_e32 v[10:11], s[10:11]
	s_cbranch_vccnz .LBB287_4
; %bb.3:
	v_mov_b64_e32 v[0:1], s[8:9]
	flat_load_dwordx2 v[10:11], v[0:1] offset:8
.LBB287_4:
	s_waitcnt vmcnt(0) lgkmcnt(0)
	v_cmp_eq_f64_e32 vcc, 0, v[4:5]
	v_cmp_eq_f64_e64 s[0:1], 0, v[6:7]
	s_and_b64 s[8:9], vcc, s[0:1]
	s_mov_b64 s[0:1], -1
	s_and_saveexec_b64 s[6:7], s[8:9]
; %bb.5:
	v_cmp_neq_f64_e32 vcc, 1.0, v[8:9]
	v_cmp_neq_f64_e64 s[0:1], 0, v[10:11]
	s_or_b64 s[0:1], vcc, s[0:1]
	s_orn2_b64 s[0:1], s[0:1], exec
; %bb.6:
	s_or_b64 exec, exec, s[6:7]
	s_and_saveexec_b64 s[6:7], s[0:1]
	s_cbranch_execz .LBB287_29
; %bb.7:
	s_load_dwordx2 s[0:1], s[2:3], 0x0
	v_lshrrev_b32_e32 v0, 6, v2
	v_lshl_or_b32 v12, s4, 1, v0
	s_waitcnt lgkmcnt(0)
	v_cmp_gt_i32_e32 vcc, s0, v12
	s_and_b64 exec, exec, vcc
	s_cbranch_execz .LBB287_29
; %bb.8:
	s_load_dwordx8 s[4:11], s[2:3], 0x18
	v_ashrrev_i32_e32 v13, 31, v12
	s_cmp_lg_u32 s1, 0
	s_waitcnt lgkmcnt(0)
	v_lshl_add_u64 v[0:1], v[12:13], 2, s[4:5]
	global_load_dwordx2 v[0:1], v[0:1], off
	v_and_b32_e32 v13, 63, v2
	s_waitcnt vmcnt(0)
	v_subrev_u32_e32 v2, s16, v0
	v_subrev_u32_e32 v34, s16, v1
	v_add_u32_e32 v14, v2, v13
	v_cmp_lt_i32_e64 s[0:1], v14, v34
	s_cbranch_scc0 .LBB287_16
; %bb.9:
	v_mov_b64_e32 v[18:19], 0
	s_mov_b64 s[4:5], 0
	v_mov_b64_e32 v[22:23], v[18:19]
	v_mov_b64_e32 v[20:21], v[18:19]
	;; [unrolled: 1-line block ×3, first 2 shown]
	s_and_saveexec_b64 s[12:13], s[0:1]
	s_cbranch_execz .LBB287_18
; %bb.10:
	v_mul_lo_u32 v0, v0, 26
	v_mad_u32_u24 v0, v13, 26, v0
	s_mul_i32 s14, s16, 26
	v_mov_b64_e32 v[18:19], 0
	v_mul_lo_u32 v15, v14, 26
	v_subrev_u32_e32 v35, s14, v0
	s_mov_b64 s[14:15], 0
	v_mov_b32_e32 v1, 0
	v_mov_b32_e32 v2, v14
	v_mov_b64_e32 v[22:23], v[18:19]
	v_mov_b64_e32 v[20:21], v[18:19]
	;; [unrolled: 1-line block ×3, first 2 shown]
	s_branch .LBB287_12
.LBB287_11:                             ;   in Loop: Header=BB287_12 Depth=1
	v_add_u32_e32 v2, 64, v2
	v_cmp_ge_i32_e32 vcc, v2, v34
	v_add_u32_e32 v15, 0x680, v15
	s_or_b64 s[14:15], vcc, s[14:15]
	v_add_u32_e32 v35, 0x680, v35
	s_andn2_b64 exec, exec, s[14:15]
	s_cbranch_execz .LBB287_17
.LBB287_12:                             ; =>This Loop Header: Depth=1
                                        ;     Child Loop BB287_14 Depth 2
	v_ashrrev_i32_e32 v3, 31, v2
	v_lshl_add_u64 v[24:25], v[2:3], 2, s[6:7]
	global_load_dword v0, v[24:25], off
	s_mov_b32 s17, 0
	v_mov_b64_e32 v[26:27], v[18:19]
	v_mov_b64_e32 v[30:31], v[22:23]
	;; [unrolled: 1-line block ×4, first 2 shown]
	s_waitcnt vmcnt(0)
	v_subrev_u32_e32 v0, s16, v0
	v_mul_lo_u32 v24, v0, 13
	s_branch .LBB287_14
.LBB287_13:                             ;   in Loop: Header=BB287_12 Depth=1
                                        ; implicit-def: $vgpr28_vgpr29
                                        ; implicit-def: $vgpr32_vgpr33
                                        ; implicit-def: $vgpr30_vgpr31
                                        ; implicit-def: $vgpr26_vgpr27
                                        ; implicit-def: $sgpr17
                                        ; implicit-def: $vgpr24
	s_branch .LBB287_11
.LBB287_14:                             ;   Parent Loop BB287_12 Depth=1
                                        ; =>  This Inner Loop Header: Depth=2
	v_add_u32_e32 v0, s17, v35
	v_mov_b32_e32 v25, v1
	v_lshl_add_u64 v[16:17], v[0:1], 4, s[8:9]
	v_lshl_add_u64 v[18:19], v[24:25], 4, s[10:11]
	global_load_dwordx4 v[36:39], v[16:17], off
	global_load_dwordx4 v[40:43], v[18:19], off
	global_load_dwordx4 v[44:47], v[16:17], off offset:16
	s_cmp_eq_u32 s17, 24
	s_waitcnt vmcnt(1)
	v_fmac_f64_e32 v[26:27], v[38:39], v[40:41]
	s_waitcnt vmcnt(0)
	v_fmac_f64_e32 v[28:29], v[46:47], v[40:41]
	v_fmac_f64_e32 v[30:31], v[36:37], v[40:41]
	v_fmac_f64_e32 v[32:33], v[44:45], v[40:41]
	v_mov_b64_e32 v[18:19], v[26:27]
	v_mov_b64_e32 v[16:17], v[28:29]
	v_fma_f64 v[22:23], -v[38:39], v[42:43], v[30:31]
	v_fma_f64 v[20:21], -v[46:47], v[42:43], v[32:33]
	v_fmac_f64_e32 v[18:19], v[36:37], v[42:43]
	v_fmac_f64_e32 v[16:17], v[44:45], v[42:43]
	s_cbranch_scc1 .LBB287_13
; %bb.15:                               ;   in Loop: Header=BB287_14 Depth=2
	v_add_u32_e32 v3, s17, v15
	v_add_u32_e32 v0, 2, v3
	v_lshl_add_u64 v[26:27], v[0:1], 4, s[8:9]
	v_add_u32_e32 v0, 1, v24
	v_lshl_add_u64 v[32:33], v[0:1], 4, s[10:11]
	v_add_u32_e32 v0, 4, v3
	global_load_dwordx4 v[28:31], v[32:33], off
	global_load_dwordx4 v[36:39], v[26:27], off
	global_load_dwordx4 v[40:43], v[26:27], off offset:16
	v_lshl_add_u64 v[26:27], v[0:1], 4, s[8:9]
	v_add_u32_e32 v0, 2, v24
	v_lshl_add_u64 v[32:33], v[0:1], 4, s[10:11]
	v_add_u32_e32 v0, 6, v3
	global_load_dwordx4 v[44:47], v[32:33], off
	global_load_dwordx4 v[48:51], v[26:27], off
	global_load_dwordx4 v[52:55], v[26:27], off offset:16
	v_lshl_add_u64 v[26:27], v[0:1], 4, s[8:9]
	v_add_u32_e32 v0, 3, v24
	v_lshl_add_u64 v[32:33], v[0:1], 4, s[10:11]
	global_load_dwordx4 v[56:59], v[32:33], off
	global_load_dwordx4 v[60:63], v[26:27], off
	global_load_dwordx4 v[64:67], v[26:27], off offset:16
	s_add_i32 s17, s17, 8
	v_add_u32_e32 v24, 4, v24
	s_waitcnt vmcnt(7)
	v_fma_f64 v[32:33], v[36:37], v[28:29], v[22:23]
	v_fma_f64 v[26:27], v[38:39], v[28:29], v[18:19]
	s_waitcnt vmcnt(6)
	v_fma_f64 v[68:69], v[40:41], v[28:29], v[20:21]
	v_fma_f64 v[28:29], v[42:43], v[28:29], v[16:17]
	v_fma_f64 v[32:33], -v[38:39], v[30:31], v[32:33]
	v_fmac_f64_e32 v[26:27], v[36:37], v[30:31]
	v_fma_f64 v[36:37], -v[42:43], v[30:31], v[68:69]
	v_fmac_f64_e32 v[28:29], v[40:41], v[30:31]
	s_waitcnt vmcnt(4)
	v_fmac_f64_e32 v[32:33], v[48:49], v[44:45]
	v_fmac_f64_e32 v[26:27], v[50:51], v[44:45]
	s_waitcnt vmcnt(3)
	v_fmac_f64_e32 v[36:37], v[52:53], v[44:45]
	v_fmac_f64_e32 v[28:29], v[54:55], v[44:45]
	v_fma_f64 v[30:31], -v[50:51], v[46:47], v[32:33]
	v_fmac_f64_e32 v[26:27], v[48:49], v[46:47]
	v_fma_f64 v[32:33], -v[54:55], v[46:47], v[36:37]
	v_fmac_f64_e32 v[28:29], v[52:53], v[46:47]
	s_waitcnt vmcnt(1)
	v_fmac_f64_e32 v[30:31], v[60:61], v[56:57]
	v_fmac_f64_e32 v[26:27], v[62:63], v[56:57]
	s_waitcnt vmcnt(0)
	v_fmac_f64_e32 v[32:33], v[64:65], v[56:57]
	v_fmac_f64_e32 v[28:29], v[66:67], v[56:57]
	v_fma_f64 v[30:31], -v[62:63], v[58:59], v[30:31]
	v_fmac_f64_e32 v[26:27], v[60:61], v[58:59]
	v_fma_f64 v[32:33], -v[66:67], v[58:59], v[32:33]
	v_fmac_f64_e32 v[28:29], v[64:65], v[58:59]
	s_cbranch_execnz .LBB287_14
	s_branch .LBB287_11
.LBB287_16:
                                        ; implicit-def: $vgpr18_vgpr19
                                        ; implicit-def: $vgpr22_vgpr23
                                        ; implicit-def: $vgpr20_vgpr21
                                        ; implicit-def: $vgpr16_vgpr17
	s_branch .LBB287_19
.LBB287_17:
	s_or_b64 exec, exec, s[14:15]
.LBB287_18:
	s_or_b64 exec, exec, s[12:13]
	s_andn2_b64 vcc, exec, s[4:5]
	s_cbranch_vccnz .LBB287_24
.LBB287_19:
	v_mov_b64_e32 v[18:19], 0
	v_mov_b64_e32 v[22:23], v[18:19]
	;; [unrolled: 1-line block ×4, first 2 shown]
	s_and_saveexec_b64 s[4:5], s[0:1]
	s_cbranch_execz .LBB287_23
; %bb.20:
	v_mad_u64_u32 v[24:25], s[0:1], v14, 26, 25
	v_mov_b64_e32 v[18:19], 0
	s_mov_b64 s[0:1], 0
	v_mov_b32_e32 v27, 0
	v_mov_b64_e32 v[22:23], v[18:19]
	v_mov_b64_e32 v[20:21], v[18:19]
	;; [unrolled: 1-line block ×3, first 2 shown]
.LBB287_21:                             ; =>This Inner Loop Header: Depth=1
	v_ashrrev_i32_e32 v15, 31, v14
	v_subrev_u32_e32 v26, 25, v24
	v_add_u32_e32 v0, -12, v24
	v_mov_b32_e32 v1, v27
	v_mov_b32_e32 v25, v27
	v_lshl_add_u64 v[44:45], v[14:15], 2, s[6:7]
	v_lshl_add_u64 v[46:47], v[26:27], 4, s[8:9]
	v_lshl_add_u64 v[48:49], v[0:1], 4, s[8:9]
	v_lshl_add_u64 v[50:51], v[24:25], 4, s[8:9]
	global_load_dword v15, v[44:45], off
	global_load_dwordx4 v[30:33], v[46:47], off offset:16
	global_load_dwordx4 v[36:39], v[46:47], off
	global_load_dwordx4 v[40:43], v[48:49], off
	;; [unrolled: 1-line block ×3, first 2 shown]
	v_mov_b32_e32 v29, v27
	v_add_u32_e32 v14, 64, v14
	v_cmp_ge_i32_e32 vcc, v14, v34
	s_or_b64 s[0:1], vcc, s[0:1]
	s_waitcnt vmcnt(4)
	v_subrev_u32_e32 v15, s16, v15
	v_mul_lo_u32 v28, v15, 13
	v_lshl_add_u64 v[44:45], v[28:29], 4, s[10:11]
	global_load_dwordx4 v[44:47], v[44:45], off
	v_add_u32_e32 v26, 1, v28
	v_lshl_add_u64 v[48:49], v[26:27], 4, s[10:11]
	global_load_dwordx4 v[48:51], v[48:49], off
	v_add_u32_e32 v26, -11, v24
	v_lshl_add_u64 v[52:53], v[26:27], 4, s[8:9]
	global_load_dwordx4 v[52:55], v[52:53], off
	v_subrev_u32_e32 v26, 23, v24
	v_lshl_add_u64 v[56:57], v[26:27], 4, s[8:9]
	v_add_u32_e32 v26, 2, v28
	v_lshl_add_u64 v[60:61], v[26:27], 4, s[10:11]
	global_load_dwordx4 v[56:59], v[56:57], off
	v_add_u32_e32 v26, -10, v24
	global_load_dwordx4 v[60:63], v[60:61], off
	v_lshl_add_u64 v[64:65], v[26:27], 4, s[8:9]
	v_subrev_u32_e32 v26, 22, v24
	global_load_dwordx4 v[64:67], v[64:65], off
	v_lshl_add_u64 v[68:69], v[26:27], 4, s[8:9]
	global_load_dwordx4 v[68:71], v[68:69], off
	v_add_u32_e32 v26, 3, v28
	v_lshl_add_u64 v[72:73], v[26:27], 4, s[10:11]
	v_add_u32_e32 v26, -9, v24
	global_load_dwordx4 v[72:75], v[72:73], off
	v_lshl_add_u64 v[76:77], v[26:27], 4, s[8:9]
	v_subrev_u32_e32 v26, 21, v24
	s_waitcnt vmcnt(7)
	v_fmac_f64_e32 v[22:23], v[36:37], v[44:45]
	v_fmac_f64_e32 v[18:19], v[38:39], v[44:45]
	v_fma_f64 v[78:79], -v[38:39], v[46:47], v[22:23]
	v_fmac_f64_e32 v[18:19], v[36:37], v[46:47]
	global_load_dwordx4 v[36:39], v[76:77], off
	v_lshl_add_u64 v[22:23], v[26:27], 4, s[8:9]
	v_add_u32_e32 v26, 4, v28
	v_fmac_f64_e32 v[16:17], v[42:43], v[44:45]
	v_fmac_f64_e32 v[20:21], v[40:41], v[44:45]
	;; [unrolled: 1-line block ×3, first 2 shown]
	v_lshl_add_u64 v[40:41], v[26:27], 4, s[10:11]
	v_add_u32_e32 v26, -8, v24
	v_fma_f64 v[44:45], -v[42:43], v[46:47], v[20:21]
	global_load_dwordx4 v[20:23], v[22:23], off
	v_lshl_add_u64 v[46:47], v[26:27], 4, s[8:9]
	global_load_dwordx4 v[40:43], v[40:41], off
	v_subrev_u32_e32 v26, 20, v24
	s_waitcnt vmcnt(9)
	v_fmac_f64_e32 v[78:79], v[30:31], v[48:49]
	v_fmac_f64_e32 v[18:19], v[32:33], v[48:49]
	v_fma_f64 v[76:77], -v[32:33], v[50:51], v[78:79]
	v_fmac_f64_e32 v[18:19], v[30:31], v[50:51]
	global_load_dwordx4 v[30:33], v[46:47], off
	v_lshl_add_u64 v[46:47], v[26:27], 4, s[8:9]
	v_add_u32_e32 v26, 5, v28
	s_waitcnt vmcnt(9)
	v_fmac_f64_e32 v[44:45], v[52:53], v[48:49]
	v_fmac_f64_e32 v[16:17], v[54:55], v[48:49]
	v_lshl_add_u64 v[48:49], v[26:27], 4, s[10:11]
	v_fma_f64 v[78:79], -v[54:55], v[50:51], v[44:45]
	v_fmac_f64_e32 v[16:17], v[52:53], v[50:51]
	global_load_dwordx4 v[44:47], v[46:47], off
	v_add_u32_e32 v26, -7, v24
	global_load_dwordx4 v[48:51], v[48:49], off
	v_lshl_add_u64 v[52:53], v[26:27], 4, s[8:9]
	v_subrev_u32_e32 v26, 19, v24
	global_load_dwordx4 v[52:55], v[52:53], off
	s_waitcnt vmcnt(10)
	v_fmac_f64_e32 v[18:19], v[58:59], v[60:61]
	v_fmac_f64_e32 v[76:77], v[56:57], v[60:61]
	;; [unrolled: 1-line block ×3, first 2 shown]
	v_lshl_add_u64 v[56:57], v[26:27], 4, s[8:9]
	v_add_u32_e32 v26, 6, v28
	s_waitcnt vmcnt(9)
	v_fmac_f64_e32 v[78:79], v[64:65], v[60:61]
	v_fmac_f64_e32 v[16:17], v[66:67], v[60:61]
	v_lshl_add_u64 v[60:61], v[26:27], 4, s[10:11]
	v_add_u32_e32 v26, -6, v24
	v_fmac_f64_e32 v[16:17], v[64:65], v[62:63]
	v_lshl_add_u64 v[64:65], v[26:27], 4, s[8:9]
	v_fma_f64 v[76:77], -v[58:59], v[62:63], v[76:77]
	v_fma_f64 v[78:79], -v[66:67], v[62:63], v[78:79]
	global_load_dwordx4 v[60:63], v[60:61], off
	v_subrev_u32_e32 v26, 18, v24
	s_waitcnt vmcnt(8)
	v_fmac_f64_e32 v[18:19], v[70:71], v[72:73]
	global_load_dwordx4 v[64:67], v[64:65], off
	v_fmac_f64_e32 v[76:77], v[68:69], v[72:73]
	global_load_dwordx4 v[56:59], v[56:57], off
	v_fmac_f64_e32 v[18:19], v[68:69], v[74:75]
	v_lshl_add_u64 v[68:69], v[26:27], 4, s[8:9]
	v_add_u32_e32 v26, 7, v28
	v_fma_f64 v[76:77], -v[70:71], v[74:75], v[76:77]
	s_waitcnt vmcnt(9)
	v_fmac_f64_e32 v[78:79], v[36:37], v[72:73]
	v_fmac_f64_e32 v[16:17], v[38:39], v[72:73]
	v_fma_f64 v[72:73], -v[38:39], v[74:75], v[78:79]
	v_fmac_f64_e32 v[16:17], v[36:37], v[74:75]
	global_load_dwordx4 v[36:39], v[68:69], off
	v_lshl_add_u64 v[68:69], v[26:27], 4, s[10:11]
	v_add_u32_e32 v26, -5, v24
	global_load_dwordx4 v[68:71], v[68:69], off
	v_lshl_add_u64 v[74:75], v[26:27], 4, s[8:9]
	v_subrev_u32_e32 v26, 17, v24
	s_waitcnt vmcnt(9)
	v_fmac_f64_e32 v[76:77], v[20:21], v[40:41]
	v_fmac_f64_e32 v[18:19], v[22:23], v[40:41]
	v_fma_f64 v[76:77], -v[22:23], v[42:43], v[76:77]
	v_fmac_f64_e32 v[18:19], v[20:21], v[42:43]
	global_load_dwordx4 v[20:23], v[74:75], off
	v_lshl_add_u64 v[74:75], v[26:27], 4, s[8:9]
	v_add_u32_e32 v26, 8, v28
	s_waitcnt vmcnt(9)
	v_fmac_f64_e32 v[72:73], v[30:31], v[40:41]
	v_fmac_f64_e32 v[16:17], v[32:33], v[40:41]
	v_lshl_add_u64 v[40:41], v[26:27], 4, s[10:11]
	v_add_u32_e32 v26, -4, v24
	v_fma_f64 v[72:73], -v[32:33], v[42:43], v[72:73]
	v_fmac_f64_e32 v[16:17], v[30:31], v[42:43]
	global_load_dwordx4 v[30:33], v[74:75], off
	v_lshl_add_u64 v[74:75], v[26:27], 4, s[8:9]
	global_load_dwordx4 v[40:43], v[40:41], off
	s_waitcnt vmcnt(9)
	v_fmac_f64_e32 v[76:77], v[44:45], v[48:49]
	v_fmac_f64_e32 v[18:19], v[46:47], v[48:49]
	v_fma_f64 v[76:77], -v[46:47], v[50:51], v[76:77]
	v_fmac_f64_e32 v[18:19], v[44:45], v[50:51]
	global_load_dwordx4 v[44:47], v[74:75], off
	v_add_u32_e32 v26, -16, v24
	v_lshl_add_u64 v[74:75], v[26:27], 4, s[8:9]
	v_add_u32_e32 v26, 9, v28
	s_waitcnt vmcnt(9)
	v_fmac_f64_e32 v[16:17], v[54:55], v[48:49]
	v_fmac_f64_e32 v[72:73], v[52:53], v[48:49]
	;; [unrolled: 1-line block ×3, first 2 shown]
	v_lshl_add_u64 v[52:53], v[26:27], 4, s[10:11]
	v_add_u32_e32 v26, -3, v24
	v_fma_f64 v[72:73], -v[54:55], v[50:51], v[72:73]
	global_load_dwordx4 v[48:51], v[74:75], off
	v_lshl_add_u64 v[74:75], v[26:27], 4, s[8:9]
	v_add_u32_e32 v26, -15, v24
	v_lshl_add_u64 v[78:79], v[26:27], 4, s[8:9]
	v_add_u32_e32 v26, 10, v28
	global_load_dwordx4 v[52:55], v[52:53], off
	s_waitcnt vmcnt(9)
	v_fmac_f64_e32 v[16:17], v[66:67], v[60:61]
	v_fmac_f64_e32 v[72:73], v[64:65], v[60:61]
	s_waitcnt vmcnt(8)
	v_fmac_f64_e32 v[76:77], v[56:57], v[60:61]
	v_fmac_f64_e32 v[18:19], v[58:59], v[60:61]
	;; [unrolled: 1-line block ×3, first 2 shown]
	v_lshl_add_u64 v[64:65], v[26:27], 4, s[10:11]
	v_add_u32_e32 v26, -2, v24
	v_fma_f64 v[76:77], -v[58:59], v[62:63], v[76:77]
	v_fmac_f64_e32 v[18:19], v[56:57], v[62:63]
	global_load_dwordx4 v[56:59], v[74:75], off
	v_fma_f64 v[72:73], -v[66:67], v[62:63], v[72:73]
	global_load_dwordx4 v[60:63], v[78:79], off
	v_lshl_add_u64 v[74:75], v[26:27], 4, s[8:9]
	v_add_u32_e32 v26, -14, v24
	global_load_dwordx4 v[64:67], v[64:65], off
	v_lshl_add_u64 v[78:79], v[26:27], 4, s[8:9]
	v_add_u32_e32 v26, 11, v28
	s_waitcnt vmcnt(9)
	v_fmac_f64_e32 v[76:77], v[36:37], v[68:69]
	v_fmac_f64_e32 v[18:19], v[38:39], v[68:69]
	v_fma_f64 v[76:77], -v[38:39], v[70:71], v[76:77]
	v_fmac_f64_e32 v[18:19], v[36:37], v[70:71]
	global_load_dwordx4 v[36:39], v[74:75], off
	s_waitcnt vmcnt(9)
	v_fmac_f64_e32 v[72:73], v[20:21], v[68:69]
	v_fmac_f64_e32 v[16:17], v[22:23], v[68:69]
	v_lshl_add_u64 v[68:69], v[26:27], 4, s[10:11]
	v_add_u32_e32 v26, -1, v24
	v_fma_f64 v[80:81], -v[22:23], v[70:71], v[72:73]
	v_fmac_f64_e32 v[16:17], v[20:21], v[70:71]
	global_load_dwordx4 v[20:23], v[78:79], off
	v_lshl_add_u64 v[78:79], v[26:27], 4, s[8:9]
	v_add_u32_e32 v26, -13, v24
	v_lshl_add_u64 v[82:83], v[26:27], 4, s[8:9]
	v_add_u32_e32 v26, 12, v28
	global_load_dwordx4 v[68:71], v[68:69], off
	s_waitcnt vmcnt(9)
	v_fmac_f64_e32 v[18:19], v[32:33], v[40:41]
	v_fmac_f64_e32 v[76:77], v[30:31], v[40:41]
	;; [unrolled: 1-line block ×3, first 2 shown]
	global_load_dwordx4 v[28:31], v[78:79], off
	global_load_dwordx4 v[72:75], v[82:83], off
	s_waitcnt vmcnt(10)
	v_fmac_f64_e32 v[80:81], v[44:45], v[40:41]
	v_fmac_f64_e32 v[16:17], v[46:47], v[40:41]
	v_lshl_add_u64 v[40:41], v[26:27], 4, s[10:11]
	v_fma_f64 v[32:33], -v[32:33], v[42:43], v[76:77]
	v_fma_f64 v[46:47], -v[46:47], v[42:43], v[80:81]
	v_fmac_f64_e32 v[16:17], v[44:45], v[42:43]
	global_load_dwordx4 v[40:43], v[40:41], off
	v_add_u32_e32 v24, 0x680, v24
	s_waitcnt vmcnt(9)
	v_fmac_f64_e32 v[32:33], v[48:49], v[52:53]
	v_fmac_f64_e32 v[18:19], v[50:51], v[52:53]
	v_fma_f64 v[32:33], -v[50:51], v[54:55], v[32:33]
	v_fmac_f64_e32 v[18:19], v[48:49], v[54:55]
	s_waitcnt vmcnt(8)
	v_fmac_f64_e32 v[46:47], v[56:57], v[52:53]
	v_fmac_f64_e32 v[16:17], v[58:59], v[52:53]
	v_fma_f64 v[44:45], -v[58:59], v[54:55], v[46:47]
	v_fmac_f64_e32 v[16:17], v[56:57], v[54:55]
	;; [unrolled: 5-line block ×4, first 2 shown]
	s_waitcnt vmcnt(3)
	v_fmac_f64_e32 v[32:33], v[20:21], v[68:69]
	v_fmac_f64_e32 v[18:19], v[22:23], v[68:69]
	v_fma_f64 v[22:23], -v[22:23], v[70:71], v[32:33]
	s_waitcnt vmcnt(2)
	v_fmac_f64_e32 v[38:39], v[28:29], v[68:69]
	v_fmac_f64_e32 v[16:17], v[30:31], v[68:69]
	;; [unrolled: 1-line block ×3, first 2 shown]
	v_fma_f64 v[20:21], -v[30:31], v[70:71], v[38:39]
	v_fmac_f64_e32 v[16:17], v[28:29], v[70:71]
	s_waitcnt vmcnt(0)
	v_fmac_f64_e32 v[22:23], v[72:73], v[40:41]
	v_fmac_f64_e32 v[18:19], v[74:75], v[40:41]
	;; [unrolled: 1-line block ×4, first 2 shown]
	v_fma_f64 v[22:23], -v[74:75], v[42:43], v[22:23]
	v_fmac_f64_e32 v[18:19], v[72:73], v[42:43]
	v_fma_f64 v[20:21], -v[2:3], v[42:43], v[20:21]
	v_fmac_f64_e32 v[16:17], v[0:1], v[42:43]
	s_andn2_b64 exec, exec, s[0:1]
	s_cbranch_execnz .LBB287_21
; %bb.22:
	s_or_b64 exec, exec, s[0:1]
.LBB287_23:
	s_or_b64 exec, exec, s[4:5]
.LBB287_24:
	v_mov_b32_dpp v14, v18 row_shr:1 row_mask:0xf bank_mask:0xf
	v_mov_b32_dpp v15, v19 row_shr:1 row_mask:0xf bank_mask:0xf
	v_add_f64 v[14:15], v[18:19], v[14:15]
	v_mov_b32_dpp v0, v22 row_shr:1 row_mask:0xf bank_mask:0xf
	v_mov_b32_dpp v1, v23 row_shr:1 row_mask:0xf bank_mask:0xf
	;; [unrolled: 1-line block ×4, first 2 shown]
	v_add_f64 v[14:15], v[14:15], v[18:19]
	v_add_f64 v[0:1], v[22:23], v[0:1]
	v_cmp_eq_u32_e32 vcc, 63, v13
	v_mov_b32_dpp v18, v14 row_shr:4 row_mask:0xf bank_mask:0xe
	v_mov_b32_dpp v19, v15 row_shr:4 row_mask:0xf bank_mask:0xe
	v_add_f64 v[14:15], v[14:15], v[18:19]
	v_mov_b32_dpp v2, v0 row_shr:2 row_mask:0xf bank_mask:0xf
	v_mov_b32_dpp v3, v1 row_shr:2 row_mask:0xf bank_mask:0xf
	;; [unrolled: 1-line block ×4, first 2 shown]
	v_add_f64 v[14:15], v[14:15], v[18:19]
	v_add_f64 v[0:1], v[0:1], v[2:3]
	s_nop 0
	v_mov_b32_dpp v18, v14 row_bcast:15 row_mask:0xa bank_mask:0xf
	v_mov_b32_dpp v19, v15 row_bcast:15 row_mask:0xa bank_mask:0xf
	v_add_f64 v[18:19], v[14:15], v[18:19]
	v_mov_b32_dpp v14, v20 row_shr:1 row_mask:0xf bank_mask:0xf
	v_mov_b32_dpp v15, v21 row_shr:1 row_mask:0xf bank_mask:0xf
	v_add_f64 v[14:15], v[20:21], v[14:15]
	v_mov_b32_dpp v2, v0 row_shr:4 row_mask:0xf bank_mask:0xe
	v_mov_b32_dpp v3, v1 row_shr:4 row_mask:0xf bank_mask:0xe
	;; [unrolled: 1-line block ×4, first 2 shown]
	v_add_f64 v[14:15], v[14:15], v[20:21]
	v_add_f64 v[0:1], v[0:1], v[2:3]
	v_mov_b32_dpp v22, v18 row_bcast:31 row_mask:0xc bank_mask:0xf
	v_mov_b32_dpp v20, v14 row_shr:4 row_mask:0xf bank_mask:0xe
	v_mov_b32_dpp v21, v15 row_shr:4 row_mask:0xf bank_mask:0xe
	v_add_f64 v[14:15], v[14:15], v[20:21]
	v_mov_b32_dpp v2, v0 row_shr:8 row_mask:0xf bank_mask:0xc
	v_mov_b32_dpp v3, v1 row_shr:8 row_mask:0xf bank_mask:0xc
	;; [unrolled: 1-line block ×4, first 2 shown]
	v_add_f64 v[14:15], v[14:15], v[20:21]
	v_add_f64 v[0:1], v[0:1], v[2:3]
	v_mov_b32_dpp v23, v19 row_bcast:31 row_mask:0xc bank_mask:0xf
	v_mov_b32_dpp v20, v14 row_bcast:15 row_mask:0xa bank_mask:0xf
	;; [unrolled: 1-line block ×3, first 2 shown]
	v_add_f64 v[20:21], v[14:15], v[20:21]
	v_mov_b32_dpp v14, v16 row_shr:1 row_mask:0xf bank_mask:0xf
	v_mov_b32_dpp v15, v17 row_shr:1 row_mask:0xf bank_mask:0xf
	v_add_f64 v[14:15], v[16:17], v[14:15]
	v_mov_b32_dpp v2, v0 row_bcast:15 row_mask:0xa bank_mask:0xf
	v_mov_b32_dpp v3, v1 row_bcast:15 row_mask:0xa bank_mask:0xf
	v_mov_b32_dpp v16, v14 row_shr:2 row_mask:0xf bank_mask:0xf
	v_mov_b32_dpp v17, v15 row_shr:2 row_mask:0xf bank_mask:0xf
	v_add_f64 v[14:15], v[14:15], v[16:17]
	v_add_f64 v[0:1], v[0:1], v[2:3]
	v_mov_b32_dpp v24, v20 row_bcast:31 row_mask:0xc bank_mask:0xf
	v_mov_b32_dpp v16, v14 row_shr:4 row_mask:0xf bank_mask:0xe
	v_mov_b32_dpp v17, v15 row_shr:4 row_mask:0xf bank_mask:0xe
	v_add_f64 v[14:15], v[14:15], v[16:17]
	v_mov_b32_dpp v2, v0 row_bcast:31 row_mask:0xc bank_mask:0xf
	v_mov_b32_dpp v3, v1 row_bcast:31 row_mask:0xc bank_mask:0xf
	v_mov_b32_dpp v16, v14 row_shr:8 row_mask:0xf bank_mask:0xc
	v_mov_b32_dpp v17, v15 row_shr:8 row_mask:0xf bank_mask:0xc
	v_add_f64 v[14:15], v[14:15], v[16:17]
	v_mov_b32_dpp v25, v21 row_bcast:31 row_mask:0xc bank_mask:0xf
	s_nop 0
	v_mov_b32_dpp v16, v14 row_bcast:15 row_mask:0xa bank_mask:0xf
	v_mov_b32_dpp v17, v15 row_bcast:15 row_mask:0xa bank_mask:0xf
	v_add_f64 v[26:27], v[14:15], v[16:17]
	s_nop 1
	v_mov_b32_dpp v28, v26 row_bcast:31 row_mask:0xc bank_mask:0xf
	v_mov_b32_dpp v29, v27 row_bcast:31 row_mask:0xc bank_mask:0xf
	s_and_b64 exec, exec, vcc
	s_cbranch_execz .LBB287_29
; %bb.25:
	s_load_dwordx2 s[2:3], s[2:3], 0x48
	v_cmp_eq_f64_e32 vcc, 0, v[8:9]
	v_cmp_eq_f64_e64 s[0:1], 0, v[10:11]
	v_add_f64 v[14:15], v[0:1], v[2:3]
	v_add_f64 v[16:17], v[18:19], v[22:23]
	;; [unrolled: 1-line block ×4, first 2 shown]
	s_and_b64 s[0:1], vcc, s[0:1]
	s_and_saveexec_b64 s[4:5], s[0:1]
	s_xor_b64 s[0:1], exec, s[4:5]
	s_cbranch_execz .LBB287_27
; %bb.26:
	v_lshlrev_b32_e32 v12, 1, v12
	v_mul_f64 v[8:9], v[16:17], -v[6:7]
	v_mul_f64 v[10:11], v[4:5], v[16:17]
	v_ashrrev_i32_e32 v13, 31, v12
	v_fmac_f64_e32 v[8:9], v[4:5], v[14:15]
	v_fmac_f64_e32 v[10:11], v[6:7], v[14:15]
	s_waitcnt lgkmcnt(0)
	v_lshl_add_u64 v[12:13], v[12:13], 4, s[2:3]
	global_store_dwordx4 v[12:13], v[8:11], off
                                        ; implicit-def: $vgpr14_vgpr15
                                        ; implicit-def: $vgpr16_vgpr17
	s_nop 1
	v_mul_f64 v[8:9], v[2:3], -v[6:7]
	v_mul_f64 v[10:11], v[4:5], v[2:3]
	v_fmac_f64_e32 v[8:9], v[4:5], v[0:1]
	v_fmac_f64_e32 v[10:11], v[6:7], v[0:1]
	global_store_dwordx4 v[12:13], v[8:11], off offset:16
                                        ; implicit-def: $vgpr4_vgpr5
                                        ; implicit-def: $vgpr6_vgpr7
                                        ; implicit-def: $vgpr8_vgpr9
                                        ; implicit-def: $vgpr10_vgpr11
                                        ; implicit-def: $vgpr12
                                        ; implicit-def: $vgpr0_vgpr1
                                        ; implicit-def: $vgpr2_vgpr3
.LBB287_27:
	s_andn2_saveexec_b64 s[0:1], s[0:1]
	s_cbranch_execz .LBB287_29
; %bb.28:
	v_lshlrev_b32_e32 v12, 1, v12
	v_ashrrev_i32_e32 v13, 31, v12
	s_waitcnt lgkmcnt(0)
	v_lshl_add_u64 v[12:13], v[12:13], 4, s[2:3]
	global_load_dwordx4 v[18:21], v[12:13], off
	global_load_dwordx4 v[22:25], v[12:13], off offset:16
	v_mul_f64 v[26:27], v[16:17], -v[6:7]
	v_mul_f64 v[16:17], v[4:5], v[16:17]
	v_mul_f64 v[28:29], v[2:3], -v[6:7]
	v_mul_f64 v[2:3], v[4:5], v[2:3]
	v_fmac_f64_e32 v[26:27], v[4:5], v[14:15]
	v_fmac_f64_e32 v[16:17], v[6:7], v[14:15]
	;; [unrolled: 1-line block ×4, first 2 shown]
	s_waitcnt vmcnt(1)
	v_fmac_f64_e32 v[26:27], v[8:9], v[18:19]
	v_fmac_f64_e32 v[16:17], v[10:11], v[18:19]
	s_waitcnt vmcnt(0)
	v_fmac_f64_e32 v[28:29], v[8:9], v[22:23]
	v_fmac_f64_e32 v[2:3], v[10:11], v[22:23]
	v_fma_f64 v[14:15], -v[10:11], v[20:21], v[26:27]
	v_fmac_f64_e32 v[16:17], v[8:9], v[20:21]
	v_fma_f64 v[0:1], -v[10:11], v[24:25], v[28:29]
	v_fmac_f64_e32 v[2:3], v[8:9], v[24:25]
	global_store_dwordx4 v[12:13], v[14:17], off
	global_store_dwordx4 v[12:13], v[0:3], off offset:16
.LBB287_29:
	s_endpgm
	.section	.rodata,"a",@progbits
	.p2align	6, 0x0
	.amdhsa_kernel _ZN9rocsparseL19gebsrmvn_2xn_kernelILj128ELj13ELj64E21rocsparse_complex_numIdEEEvi20rocsparse_direction_NS_24const_host_device_scalarIT2_EEPKiS8_PKS5_SA_S6_PS5_21rocsparse_index_base_b
		.amdhsa_group_segment_fixed_size 2048
		.amdhsa_private_segment_fixed_size 0
		.amdhsa_kernarg_size 88
		.amdhsa_user_sgpr_count 4
		.amdhsa_user_sgpr_dispatch_ptr 1
		.amdhsa_user_sgpr_queue_ptr 0
		.amdhsa_user_sgpr_kernarg_segment_ptr 1
		.amdhsa_user_sgpr_dispatch_id 0
		.amdhsa_user_sgpr_kernarg_preload_length 0
		.amdhsa_user_sgpr_kernarg_preload_offset 0
		.amdhsa_user_sgpr_private_segment_size 0
		.amdhsa_uses_dynamic_stack 0
		.amdhsa_enable_private_segment 0
		.amdhsa_system_sgpr_workgroup_id_x 1
		.amdhsa_system_sgpr_workgroup_id_y 0
		.amdhsa_system_sgpr_workgroup_id_z 0
		.amdhsa_system_sgpr_workgroup_info 0
		.amdhsa_system_vgpr_workitem_id 2
		.amdhsa_next_free_vgpr 84
		.amdhsa_next_free_sgpr 20
		.amdhsa_accum_offset 84
		.amdhsa_reserve_vcc 1
		.amdhsa_float_round_mode_32 0
		.amdhsa_float_round_mode_16_64 0
		.amdhsa_float_denorm_mode_32 3
		.amdhsa_float_denorm_mode_16_64 3
		.amdhsa_dx10_clamp 1
		.amdhsa_ieee_mode 1
		.amdhsa_fp16_overflow 0
		.amdhsa_tg_split 0
		.amdhsa_exception_fp_ieee_invalid_op 0
		.amdhsa_exception_fp_denorm_src 0
		.amdhsa_exception_fp_ieee_div_zero 0
		.amdhsa_exception_fp_ieee_overflow 0
		.amdhsa_exception_fp_ieee_underflow 0
		.amdhsa_exception_fp_ieee_inexact 0
		.amdhsa_exception_int_div_zero 0
	.end_amdhsa_kernel
	.section	.text._ZN9rocsparseL19gebsrmvn_2xn_kernelILj128ELj13ELj64E21rocsparse_complex_numIdEEEvi20rocsparse_direction_NS_24const_host_device_scalarIT2_EEPKiS8_PKS5_SA_S6_PS5_21rocsparse_index_base_b,"axG",@progbits,_ZN9rocsparseL19gebsrmvn_2xn_kernelILj128ELj13ELj64E21rocsparse_complex_numIdEEEvi20rocsparse_direction_NS_24const_host_device_scalarIT2_EEPKiS8_PKS5_SA_S6_PS5_21rocsparse_index_base_b,comdat
.Lfunc_end287:
	.size	_ZN9rocsparseL19gebsrmvn_2xn_kernelILj128ELj13ELj64E21rocsparse_complex_numIdEEEvi20rocsparse_direction_NS_24const_host_device_scalarIT2_EEPKiS8_PKS5_SA_S6_PS5_21rocsparse_index_base_b, .Lfunc_end287-_ZN9rocsparseL19gebsrmvn_2xn_kernelILj128ELj13ELj64E21rocsparse_complex_numIdEEEvi20rocsparse_direction_NS_24const_host_device_scalarIT2_EEPKiS8_PKS5_SA_S6_PS5_21rocsparse_index_base_b
                                        ; -- End function
	.section	.AMDGPU.csdata,"",@progbits
; Kernel info:
; codeLenInByte = 3448
; NumSgprs: 26
; NumVgprs: 84
; NumAgprs: 0
; TotalNumVgprs: 84
; ScratchSize: 0
; MemoryBound: 0
; FloatMode: 240
; IeeeMode: 1
; LDSByteSize: 2048 bytes/workgroup (compile time only)
; SGPRBlocks: 3
; VGPRBlocks: 10
; NumSGPRsForWavesPerEU: 26
; NumVGPRsForWavesPerEU: 84
; AccumOffset: 84
; Occupancy: 5
; WaveLimiterHint : 1
; COMPUTE_PGM_RSRC2:SCRATCH_EN: 0
; COMPUTE_PGM_RSRC2:USER_SGPR: 4
; COMPUTE_PGM_RSRC2:TRAP_HANDLER: 0
; COMPUTE_PGM_RSRC2:TGID_X_EN: 1
; COMPUTE_PGM_RSRC2:TGID_Y_EN: 0
; COMPUTE_PGM_RSRC2:TGID_Z_EN: 0
; COMPUTE_PGM_RSRC2:TIDIG_COMP_CNT: 2
; COMPUTE_PGM_RSRC3_GFX90A:ACCUM_OFFSET: 20
; COMPUTE_PGM_RSRC3_GFX90A:TG_SPLIT: 0
	.section	.text._ZN9rocsparseL19gebsrmvn_2xn_kernelILj128ELj14ELj4E21rocsparse_complex_numIdEEEvi20rocsparse_direction_NS_24const_host_device_scalarIT2_EEPKiS8_PKS5_SA_S6_PS5_21rocsparse_index_base_b,"axG",@progbits,_ZN9rocsparseL19gebsrmvn_2xn_kernelILj128ELj14ELj4E21rocsparse_complex_numIdEEEvi20rocsparse_direction_NS_24const_host_device_scalarIT2_EEPKiS8_PKS5_SA_S6_PS5_21rocsparse_index_base_b,comdat
	.globl	_ZN9rocsparseL19gebsrmvn_2xn_kernelILj128ELj14ELj4E21rocsparse_complex_numIdEEEvi20rocsparse_direction_NS_24const_host_device_scalarIT2_EEPKiS8_PKS5_SA_S6_PS5_21rocsparse_index_base_b ; -- Begin function _ZN9rocsparseL19gebsrmvn_2xn_kernelILj128ELj14ELj4E21rocsparse_complex_numIdEEEvi20rocsparse_direction_NS_24const_host_device_scalarIT2_EEPKiS8_PKS5_SA_S6_PS5_21rocsparse_index_base_b
	.p2align	8
	.type	_ZN9rocsparseL19gebsrmvn_2xn_kernelILj128ELj14ELj4E21rocsparse_complex_numIdEEEvi20rocsparse_direction_NS_24const_host_device_scalarIT2_EEPKiS8_PKS5_SA_S6_PS5_21rocsparse_index_base_b,@function
_ZN9rocsparseL19gebsrmvn_2xn_kernelILj128ELj14ELj4E21rocsparse_complex_numIdEEEvi20rocsparse_direction_NS_24const_host_device_scalarIT2_EEPKiS8_PKS5_SA_S6_PS5_21rocsparse_index_base_b: ; @_ZN9rocsparseL19gebsrmvn_2xn_kernelILj128ELj14ELj4E21rocsparse_complex_numIdEEEvi20rocsparse_direction_NS_24const_host_device_scalarIT2_EEPKiS8_PKS5_SA_S6_PS5_21rocsparse_index_base_b
; %bb.0:
	s_load_dwordx2 s[16:17], s[2:3], 0x50
	s_load_dwordx4 s[12:15], s[2:3], 0x8
	s_load_dwordx4 s[8:11], s[2:3], 0x38
	s_load_dwordx2 s[18:19], s[0:1], 0x4
	s_mov_b64 s[6:7], src_shared_base
	s_waitcnt lgkmcnt(0)
	s_bitcmp1_b32 s17, 0
	s_cselect_b64 s[0:1], -1, 0
	s_and_b64 vcc, s[0:1], exec
	s_cselect_b32 s5, s7, s13
	s_lshr_b32 s6, s18, 16
	v_bfe_u32 v1, v0, 10, 10
	v_and_b32_e32 v10, 0x3ff, v0
	s_mul_i32 s6, s6, s19
	v_mul_u32_u24_e32 v1, s19, v1
	v_mad_u32_u24 v1, s6, v10, v1
	v_bfe_u32 v0, v0, 20, 10
	v_add_lshl_u32 v4, v1, v0, 3
	v_mov_b32_e32 v5, s12
	v_add_u32_e32 v6, 0x400, v4
	v_mov_b64_e32 v[0:1], s[12:13]
	v_mov_b64_e32 v[2:3], s[8:9]
	ds_write2st64_b64 v4, v[2:3], v[0:1] offset1:2
	v_cndmask_b32_e64 v0, v5, v6, s[0:1]
	v_mov_b32_e32 v1, s5
	flat_load_dwordx2 v[0:1], v[0:1]
	s_xor_b64 s[18:19], s[0:1], -1
	v_mov_b64_e32 v[2:3], s[14:15]
	s_cbranch_vccnz .LBB288_2
; %bb.1:
	v_mov_b64_e32 v[2:3], s[12:13]
	flat_load_dwordx2 v[2:3], v[2:3] offset:8
.LBB288_2:
	s_and_b64 s[12:13], s[0:1], exec
	s_cselect_b32 s5, s7, s9
	v_mov_b32_e32 v5, s8
	v_cndmask_b32_e64 v4, v5, v4, s[0:1]
	v_mov_b32_e32 v5, s5
	flat_load_dwordx2 v[4:5], v[4:5]
	s_andn2_b64 vcc, exec, s[18:19]
	v_mov_b64_e32 v[6:7], s[10:11]
	s_cbranch_vccnz .LBB288_4
; %bb.3:
	v_mov_b64_e32 v[6:7], s[8:9]
	flat_load_dwordx2 v[6:7], v[6:7] offset:8
.LBB288_4:
	s_waitcnt vmcnt(0) lgkmcnt(0)
	v_cmp_eq_f64_e32 vcc, 0, v[0:1]
	v_cmp_eq_f64_e64 s[0:1], 0, v[2:3]
	s_and_b64 s[8:9], vcc, s[0:1]
	s_mov_b64 s[0:1], -1
	s_and_saveexec_b64 s[6:7], s[8:9]
; %bb.5:
	v_cmp_neq_f64_e32 vcc, 1.0, v[4:5]
	v_cmp_neq_f64_e64 s[0:1], 0, v[6:7]
	s_or_b64 s[0:1], vcc, s[0:1]
	s_orn2_b64 s[0:1], s[0:1], exec
; %bb.6:
	s_or_b64 exec, exec, s[6:7]
	s_and_saveexec_b64 s[6:7], s[0:1]
	s_cbranch_execz .LBB288_29
; %bb.7:
	s_load_dwordx2 s[0:1], s[2:3], 0x0
	v_lshrrev_b32_e32 v8, 2, v10
	v_lshl_or_b32 v8, s4, 5, v8
	s_waitcnt lgkmcnt(0)
	v_cmp_gt_i32_e32 vcc, s0, v8
	s_and_b64 exec, exec, vcc
	s_cbranch_execz .LBB288_29
; %bb.8:
	s_load_dwordx8 s[4:11], s[2:3], 0x18
	v_ashrrev_i32_e32 v9, 31, v8
	s_cmp_lg_u32 s1, 0
	s_waitcnt lgkmcnt(0)
	v_lshl_add_u64 v[12:13], v[8:9], 2, s[4:5]
	global_load_dwordx2 v[20:21], v[12:13], off
	v_and_b32_e32 v9, 3, v10
	s_waitcnt vmcnt(0)
	v_subrev_u32_e32 v10, s16, v20
	v_subrev_u32_e32 v26, s16, v21
	v_add_u32_e32 v12, v10, v9
	v_cmp_lt_i32_e64 s[0:1], v12, v26
	s_cbranch_scc0 .LBB288_16
; %bb.9:
	v_mov_b64_e32 v[10:11], 0
	s_mov_b64 s[4:5], 0
	v_mov_b64_e32 v[18:19], v[10:11]
	v_mov_b64_e32 v[16:17], v[10:11]
	;; [unrolled: 1-line block ×3, first 2 shown]
	s_and_saveexec_b64 s[12:13], s[0:1]
	s_cbranch_execz .LBB288_15
; %bb.10:
	v_mov_b64_e32 v[10:11], 0
	v_mul_lo_u32 v13, v12, 28
	s_mov_b64 s[14:15], 0
	v_mov_b32_e32 v23, 0
	v_mov_b32_e32 v24, v12
	v_mov_b64_e32 v[18:19], v[10:11]
	v_mov_b64_e32 v[16:17], v[10:11]
	;; [unrolled: 1-line block ×3, first 2 shown]
.LBB288_11:                             ; =>This Loop Header: Depth=1
                                        ;     Child Loop BB288_12 Depth 2
	v_ashrrev_i32_e32 v25, 31, v24
	v_lshl_add_u64 v[28:29], v[24:25], 2, s[6:7]
	global_load_dword v21, v[28:29], off
	v_mov_b32_e32 v22, v13
	s_mov_b32 s17, 0
	s_waitcnt vmcnt(0)
	v_subrev_u32_e32 v21, s16, v21
	v_mul_lo_u32 v21, v21, 14
.LBB288_12:                             ;   Parent Loop BB288_11 Depth=1
                                        ; =>  This Inner Loop Header: Depth=2
	v_lshl_add_u64 v[52:53], v[22:23], 4, s[8:9]
	v_add_u32_e32 v40, s17, v21
	v_mov_b32_e32 v41, v23
	global_load_dwordx4 v[28:31], v[52:53], off offset:32
	global_load_dwordx4 v[32:35], v[52:53], off offset:16
	global_load_dwordx4 v[36:39], v[52:53], off
	v_lshl_add_u64 v[54:55], v[40:41], 4, s[10:11]
	global_load_dwordx4 v[40:43], v[54:55], off
	global_load_dwordx4 v[44:47], v[54:55], off offset:16
	global_load_dwordx4 v[48:51], v[52:53], off offset:48
	s_add_i32 s17, s17, 2
	v_add_u32_e32 v22, 4, v22
	s_cmp_eq_u32 s17, 14
	s_waitcnt vmcnt(2)
	v_fmac_f64_e32 v[16:17], v[32:33], v[40:41]
	v_fmac_f64_e32 v[18:19], v[36:37], v[40:41]
	;; [unrolled: 1-line block ×4, first 2 shown]
	v_fma_f64 v[18:19], -v[38:39], v[42:43], v[18:19]
	v_fmac_f64_e32 v[10:11], v[36:37], v[42:43]
	v_fma_f64 v[16:17], -v[34:35], v[42:43], v[16:17]
	v_fmac_f64_e32 v[14:15], v[32:33], v[42:43]
	s_waitcnt vmcnt(1)
	v_fmac_f64_e32 v[18:19], v[28:29], v[44:45]
	v_fmac_f64_e32 v[10:11], v[30:31], v[44:45]
	s_waitcnt vmcnt(0)
	v_fmac_f64_e32 v[16:17], v[48:49], v[44:45]
	v_fmac_f64_e32 v[14:15], v[50:51], v[44:45]
	v_fma_f64 v[18:19], -v[30:31], v[46:47], v[18:19]
	v_fmac_f64_e32 v[10:11], v[28:29], v[46:47]
	v_fma_f64 v[16:17], -v[50:51], v[46:47], v[16:17]
	v_fmac_f64_e32 v[14:15], v[48:49], v[46:47]
	s_cbranch_scc0 .LBB288_12
; %bb.13:                               ;   in Loop: Header=BB288_11 Depth=1
	v_add_u32_e32 v24, 4, v24
	v_cmp_ge_i32_e32 vcc, v24, v26
	s_or_b64 s[14:15], vcc, s[14:15]
	v_add_u32_e32 v13, 0x70, v13
	s_andn2_b64 exec, exec, s[14:15]
	s_cbranch_execnz .LBB288_11
; %bb.14:
	s_or_b64 exec, exec, s[14:15]
.LBB288_15:
	s_or_b64 exec, exec, s[12:13]
	s_andn2_b64 vcc, exec, s[4:5]
	s_cbranch_vccz .LBB288_17
	s_branch .LBB288_24
.LBB288_16:
                                        ; implicit-def: $vgpr10_vgpr11
                                        ; implicit-def: $vgpr18_vgpr19
                                        ; implicit-def: $vgpr16_vgpr17
                                        ; implicit-def: $vgpr14_vgpr15
.LBB288_17:
	v_mov_b64_e32 v[10:11], 0
	v_mov_b64_e32 v[18:19], v[10:11]
	;; [unrolled: 1-line block ×4, first 2 shown]
	s_and_saveexec_b64 s[4:5], s[0:1]
	s_cbranch_execz .LBB288_23
; %bb.18:
	v_mul_lo_u32 v10, v20, 28
	v_mad_u32_u24 v10, v9, 28, v10
	s_mul_i32 s0, s16, 28
	v_subrev_u32_e32 v23, s0, v10
	v_mov_b64_e32 v[10:11], 0
	v_mul_lo_u32 v22, v12, 28
	s_mov_b64 s[0:1], 0
	v_mov_b32_e32 v21, 0
	v_mov_b64_e32 v[18:19], v[10:11]
	v_mov_b64_e32 v[16:17], v[10:11]
	;; [unrolled: 1-line block ×3, first 2 shown]
.LBB288_19:                             ; =>This Loop Header: Depth=1
                                        ;     Child Loop BB288_20 Depth 2
	v_ashrrev_i32_e32 v13, 31, v12
	v_lshl_add_u64 v[24:25], v[12:13], 2, s[6:7]
	global_load_dword v13, v[24:25], off
	s_mov_b32 s12, 0
	s_waitcnt vmcnt(0)
	v_subrev_u32_e32 v13, s16, v13
	v_mul_lo_u32 v13, v13, 14
.LBB288_20:                             ;   Parent Loop BB288_19 Depth=1
                                        ; =>  This Inner Loop Header: Depth=2
	v_add_u32_e32 v20, s12, v23
	v_lshl_add_u64 v[24:25], v[20:21], 4, s[8:9]
	v_add_u32_e32 v20, s12, v13
	global_load_dwordx4 v[28:31], v[24:25], off offset:16
	global_load_dwordx4 v[32:35], v[24:25], off
	v_lshl_add_u64 v[24:25], v[20:21], 4, s[10:11]
	v_add3_u32 v20, v22, s12, 14
	global_load_dwordx4 v[36:39], v[24:25], off
	global_load_dwordx4 v[40:43], v[24:25], off offset:16
	v_lshl_add_u64 v[24:25], v[20:21], 4, s[8:9]
	global_load_dwordx4 v[44:47], v[24:25], off
	global_load_dwordx4 v[48:51], v[24:25], off offset:16
	s_add_i32 s12, s12, 2
	s_cmp_eq_u32 s12, 14
	s_waitcnt vmcnt(3)
	v_fmac_f64_e32 v[18:19], v[32:33], v[36:37]
	v_fmac_f64_e32 v[10:11], v[34:35], v[36:37]
	s_waitcnt vmcnt(1)
	v_fmac_f64_e32 v[16:17], v[44:45], v[36:37]
	v_fmac_f64_e32 v[14:15], v[46:47], v[36:37]
	v_fma_f64 v[18:19], -v[34:35], v[38:39], v[18:19]
	v_fmac_f64_e32 v[10:11], v[32:33], v[38:39]
	v_fma_f64 v[16:17], -v[46:47], v[38:39], v[16:17]
	v_fmac_f64_e32 v[14:15], v[44:45], v[38:39]
	v_fmac_f64_e32 v[18:19], v[28:29], v[40:41]
	;; [unrolled: 1-line block ×3, first 2 shown]
	s_waitcnt vmcnt(0)
	v_fmac_f64_e32 v[16:17], v[48:49], v[40:41]
	v_fmac_f64_e32 v[14:15], v[50:51], v[40:41]
	v_fma_f64 v[18:19], -v[30:31], v[42:43], v[18:19]
	v_fmac_f64_e32 v[10:11], v[28:29], v[42:43]
	v_fma_f64 v[16:17], -v[50:51], v[42:43], v[16:17]
	v_fmac_f64_e32 v[14:15], v[48:49], v[42:43]
	s_cbranch_scc0 .LBB288_20
; %bb.21:                               ;   in Loop: Header=BB288_19 Depth=1
	v_add_u32_e32 v12, 4, v12
	v_cmp_ge_i32_e32 vcc, v12, v26
	v_add_u32_e32 v22, 0x70, v22
	s_or_b64 s[0:1], vcc, s[0:1]
	v_add_u32_e32 v23, 0x70, v23
	s_andn2_b64 exec, exec, s[0:1]
	s_cbranch_execnz .LBB288_19
; %bb.22:
	s_or_b64 exec, exec, s[0:1]
.LBB288_23:
	s_or_b64 exec, exec, s[4:5]
.LBB288_24:
	v_mov_b32_dpp v22, v16 row_shr:1 row_mask:0xf bank_mask:0xf
	v_mov_b32_dpp v23, v17 row_shr:1 row_mask:0xf bank_mask:0xf
	;; [unrolled: 1-line block ×6, first 2 shown]
	v_add_f64 v[22:23], v[16:17], v[22:23]
	v_mov_b32_dpp v16, v14 row_shr:1 row_mask:0xf bank_mask:0xf
	v_mov_b32_dpp v17, v15 row_shr:1 row_mask:0xf bank_mask:0xf
	v_add_f64 v[12:13], v[18:19], v[12:13]
	v_add_f64 v[10:11], v[10:11], v[20:21]
	;; [unrolled: 1-line block ×3, first 2 shown]
	v_mov_b32_dpp v18, v12 row_shr:2 row_mask:0xf bank_mask:0xf
	v_mov_b32_dpp v19, v13 row_shr:2 row_mask:0xf bank_mask:0xf
	;; [unrolled: 1-line block ×8, first 2 shown]
	v_cmp_eq_u32_e32 vcc, 3, v9
	s_and_b64 exec, exec, vcc
	s_cbranch_execz .LBB288_29
; %bb.25:
	s_load_dwordx2 s[2:3], s[2:3], 0x48
	v_cmp_eq_f64_e32 vcc, 0, v[4:5]
	v_cmp_eq_f64_e64 s[0:1], 0, v[6:7]
	v_add_f64 v[14:15], v[12:13], v[18:19]
	v_add_f64 v[16:17], v[10:11], v[20:21]
	;; [unrolled: 1-line block ×4, first 2 shown]
	s_and_b64 s[0:1], vcc, s[0:1]
	s_and_saveexec_b64 s[4:5], s[0:1]
	s_xor_b64 s[0:1], exec, s[4:5]
	s_cbranch_execz .LBB288_27
; %bb.26:
	v_lshlrev_b32_e32 v8, 1, v8
	v_mul_f64 v[4:5], v[16:17], -v[2:3]
	v_mul_f64 v[6:7], v[0:1], v[16:17]
	v_ashrrev_i32_e32 v9, 31, v8
	v_fmac_f64_e32 v[4:5], v[0:1], v[14:15]
	v_fmac_f64_e32 v[6:7], v[2:3], v[14:15]
	s_waitcnt lgkmcnt(0)
	v_lshl_add_u64 v[8:9], v[8:9], 4, s[2:3]
	global_store_dwordx4 v[8:9], v[4:7], off
                                        ; implicit-def: $vgpr14_vgpr15
                                        ; implicit-def: $vgpr16_vgpr17
	s_nop 1
	v_mul_f64 v[4:5], v[12:13], -v[2:3]
	v_mul_f64 v[6:7], v[0:1], v[12:13]
	v_fmac_f64_e32 v[4:5], v[0:1], v[10:11]
	v_fmac_f64_e32 v[6:7], v[2:3], v[10:11]
	global_store_dwordx4 v[8:9], v[4:7], off offset:16
                                        ; implicit-def: $vgpr0_vgpr1
                                        ; implicit-def: $vgpr2_vgpr3
                                        ; implicit-def: $vgpr4_vgpr5
                                        ; implicit-def: $vgpr6_vgpr7
                                        ; implicit-def: $vgpr8
                                        ; implicit-def: $vgpr10_vgpr11
                                        ; implicit-def: $vgpr12_vgpr13
.LBB288_27:
	s_andn2_saveexec_b64 s[0:1], s[0:1]
	s_cbranch_execz .LBB288_29
; %bb.28:
	v_lshlrev_b32_e32 v8, 1, v8
	v_ashrrev_i32_e32 v9, 31, v8
	s_waitcnt lgkmcnt(0)
	v_lshl_add_u64 v[26:27], v[8:9], 4, s[2:3]
	global_load_dwordx4 v[18:21], v[26:27], off
	global_load_dwordx4 v[22:25], v[26:27], off offset:16
	v_mul_f64 v[28:29], v[16:17], -v[2:3]
	v_mul_f64 v[16:17], v[0:1], v[16:17]
	v_mul_f64 v[30:31], v[12:13], -v[2:3]
	v_mul_f64 v[8:9], v[0:1], v[12:13]
	v_fmac_f64_e32 v[28:29], v[0:1], v[14:15]
	v_fmac_f64_e32 v[16:17], v[2:3], v[14:15]
	;; [unrolled: 1-line block ×4, first 2 shown]
	s_waitcnt vmcnt(1)
	v_fmac_f64_e32 v[28:29], v[4:5], v[18:19]
	v_fmac_f64_e32 v[16:17], v[6:7], v[18:19]
	s_waitcnt vmcnt(0)
	v_fmac_f64_e32 v[30:31], v[4:5], v[22:23]
	v_fmac_f64_e32 v[8:9], v[6:7], v[22:23]
	v_fma_f64 v[14:15], -v[6:7], v[20:21], v[28:29]
	v_fmac_f64_e32 v[16:17], v[4:5], v[20:21]
	v_fma_f64 v[6:7], -v[6:7], v[24:25], v[30:31]
	v_fmac_f64_e32 v[8:9], v[4:5], v[24:25]
	global_store_dwordx4 v[26:27], v[14:17], off
	global_store_dwordx4 v[26:27], v[6:9], off offset:16
.LBB288_29:
	s_endpgm
	.section	.rodata,"a",@progbits
	.p2align	6, 0x0
	.amdhsa_kernel _ZN9rocsparseL19gebsrmvn_2xn_kernelILj128ELj14ELj4E21rocsparse_complex_numIdEEEvi20rocsparse_direction_NS_24const_host_device_scalarIT2_EEPKiS8_PKS5_SA_S6_PS5_21rocsparse_index_base_b
		.amdhsa_group_segment_fixed_size 2048
		.amdhsa_private_segment_fixed_size 0
		.amdhsa_kernarg_size 88
		.amdhsa_user_sgpr_count 4
		.amdhsa_user_sgpr_dispatch_ptr 1
		.amdhsa_user_sgpr_queue_ptr 0
		.amdhsa_user_sgpr_kernarg_segment_ptr 1
		.amdhsa_user_sgpr_dispatch_id 0
		.amdhsa_user_sgpr_kernarg_preload_length 0
		.amdhsa_user_sgpr_kernarg_preload_offset 0
		.amdhsa_user_sgpr_private_segment_size 0
		.amdhsa_uses_dynamic_stack 0
		.amdhsa_enable_private_segment 0
		.amdhsa_system_sgpr_workgroup_id_x 1
		.amdhsa_system_sgpr_workgroup_id_y 0
		.amdhsa_system_sgpr_workgroup_id_z 0
		.amdhsa_system_sgpr_workgroup_info 0
		.amdhsa_system_vgpr_workitem_id 2
		.amdhsa_next_free_vgpr 56
		.amdhsa_next_free_sgpr 20
		.amdhsa_accum_offset 56
		.amdhsa_reserve_vcc 1
		.amdhsa_float_round_mode_32 0
		.amdhsa_float_round_mode_16_64 0
		.amdhsa_float_denorm_mode_32 3
		.amdhsa_float_denorm_mode_16_64 3
		.amdhsa_dx10_clamp 1
		.amdhsa_ieee_mode 1
		.amdhsa_fp16_overflow 0
		.amdhsa_tg_split 0
		.amdhsa_exception_fp_ieee_invalid_op 0
		.amdhsa_exception_fp_denorm_src 0
		.amdhsa_exception_fp_ieee_div_zero 0
		.amdhsa_exception_fp_ieee_overflow 0
		.amdhsa_exception_fp_ieee_underflow 0
		.amdhsa_exception_fp_ieee_inexact 0
		.amdhsa_exception_int_div_zero 0
	.end_amdhsa_kernel
	.section	.text._ZN9rocsparseL19gebsrmvn_2xn_kernelILj128ELj14ELj4E21rocsparse_complex_numIdEEEvi20rocsparse_direction_NS_24const_host_device_scalarIT2_EEPKiS8_PKS5_SA_S6_PS5_21rocsparse_index_base_b,"axG",@progbits,_ZN9rocsparseL19gebsrmvn_2xn_kernelILj128ELj14ELj4E21rocsparse_complex_numIdEEEvi20rocsparse_direction_NS_24const_host_device_scalarIT2_EEPKiS8_PKS5_SA_S6_PS5_21rocsparse_index_base_b,comdat
.Lfunc_end288:
	.size	_ZN9rocsparseL19gebsrmvn_2xn_kernelILj128ELj14ELj4E21rocsparse_complex_numIdEEEvi20rocsparse_direction_NS_24const_host_device_scalarIT2_EEPKiS8_PKS5_SA_S6_PS5_21rocsparse_index_base_b, .Lfunc_end288-_ZN9rocsparseL19gebsrmvn_2xn_kernelILj128ELj14ELj4E21rocsparse_complex_numIdEEEvi20rocsparse_direction_NS_24const_host_device_scalarIT2_EEPKiS8_PKS5_SA_S6_PS5_21rocsparse_index_base_b
                                        ; -- End function
	.section	.AMDGPU.csdata,"",@progbits
; Kernel info:
; codeLenInByte = 1580
; NumSgprs: 26
; NumVgprs: 56
; NumAgprs: 0
; TotalNumVgprs: 56
; ScratchSize: 0
; MemoryBound: 0
; FloatMode: 240
; IeeeMode: 1
; LDSByteSize: 2048 bytes/workgroup (compile time only)
; SGPRBlocks: 3
; VGPRBlocks: 6
; NumSGPRsForWavesPerEU: 26
; NumVGPRsForWavesPerEU: 56
; AccumOffset: 56
; Occupancy: 8
; WaveLimiterHint : 1
; COMPUTE_PGM_RSRC2:SCRATCH_EN: 0
; COMPUTE_PGM_RSRC2:USER_SGPR: 4
; COMPUTE_PGM_RSRC2:TRAP_HANDLER: 0
; COMPUTE_PGM_RSRC2:TGID_X_EN: 1
; COMPUTE_PGM_RSRC2:TGID_Y_EN: 0
; COMPUTE_PGM_RSRC2:TGID_Z_EN: 0
; COMPUTE_PGM_RSRC2:TIDIG_COMP_CNT: 2
; COMPUTE_PGM_RSRC3_GFX90A:ACCUM_OFFSET: 13
; COMPUTE_PGM_RSRC3_GFX90A:TG_SPLIT: 0
	.section	.text._ZN9rocsparseL19gebsrmvn_2xn_kernelILj128ELj14ELj8E21rocsparse_complex_numIdEEEvi20rocsparse_direction_NS_24const_host_device_scalarIT2_EEPKiS8_PKS5_SA_S6_PS5_21rocsparse_index_base_b,"axG",@progbits,_ZN9rocsparseL19gebsrmvn_2xn_kernelILj128ELj14ELj8E21rocsparse_complex_numIdEEEvi20rocsparse_direction_NS_24const_host_device_scalarIT2_EEPKiS8_PKS5_SA_S6_PS5_21rocsparse_index_base_b,comdat
	.globl	_ZN9rocsparseL19gebsrmvn_2xn_kernelILj128ELj14ELj8E21rocsparse_complex_numIdEEEvi20rocsparse_direction_NS_24const_host_device_scalarIT2_EEPKiS8_PKS5_SA_S6_PS5_21rocsparse_index_base_b ; -- Begin function _ZN9rocsparseL19gebsrmvn_2xn_kernelILj128ELj14ELj8E21rocsparse_complex_numIdEEEvi20rocsparse_direction_NS_24const_host_device_scalarIT2_EEPKiS8_PKS5_SA_S6_PS5_21rocsparse_index_base_b
	.p2align	8
	.type	_ZN9rocsparseL19gebsrmvn_2xn_kernelILj128ELj14ELj8E21rocsparse_complex_numIdEEEvi20rocsparse_direction_NS_24const_host_device_scalarIT2_EEPKiS8_PKS5_SA_S6_PS5_21rocsparse_index_base_b,@function
_ZN9rocsparseL19gebsrmvn_2xn_kernelILj128ELj14ELj8E21rocsparse_complex_numIdEEEvi20rocsparse_direction_NS_24const_host_device_scalarIT2_EEPKiS8_PKS5_SA_S6_PS5_21rocsparse_index_base_b: ; @_ZN9rocsparseL19gebsrmvn_2xn_kernelILj128ELj14ELj8E21rocsparse_complex_numIdEEEvi20rocsparse_direction_NS_24const_host_device_scalarIT2_EEPKiS8_PKS5_SA_S6_PS5_21rocsparse_index_base_b
; %bb.0:
	s_load_dwordx2 s[16:17], s[2:3], 0x50
	s_load_dwordx4 s[12:15], s[2:3], 0x8
	s_load_dwordx4 s[8:11], s[2:3], 0x38
	s_load_dwordx2 s[18:19], s[0:1], 0x4
	s_mov_b64 s[6:7], src_shared_base
	s_waitcnt lgkmcnt(0)
	s_bitcmp1_b32 s17, 0
	s_cselect_b64 s[0:1], -1, 0
	s_and_b64 vcc, s[0:1], exec
	s_cselect_b32 s5, s7, s13
	s_lshr_b32 s6, s18, 16
	v_bfe_u32 v1, v0, 10, 10
	v_and_b32_e32 v10, 0x3ff, v0
	s_mul_i32 s6, s6, s19
	v_mul_u32_u24_e32 v1, s19, v1
	v_mad_u32_u24 v1, s6, v10, v1
	v_bfe_u32 v0, v0, 20, 10
	v_add_lshl_u32 v4, v1, v0, 3
	v_mov_b32_e32 v5, s12
	v_add_u32_e32 v6, 0x400, v4
	v_mov_b64_e32 v[0:1], s[12:13]
	v_mov_b64_e32 v[2:3], s[8:9]
	ds_write2st64_b64 v4, v[2:3], v[0:1] offset1:2
	v_cndmask_b32_e64 v0, v5, v6, s[0:1]
	v_mov_b32_e32 v1, s5
	flat_load_dwordx2 v[0:1], v[0:1]
	s_xor_b64 s[18:19], s[0:1], -1
	v_mov_b64_e32 v[2:3], s[14:15]
	s_cbranch_vccnz .LBB289_2
; %bb.1:
	v_mov_b64_e32 v[2:3], s[12:13]
	flat_load_dwordx2 v[2:3], v[2:3] offset:8
.LBB289_2:
	s_and_b64 s[12:13], s[0:1], exec
	s_cselect_b32 s5, s7, s9
	v_mov_b32_e32 v5, s8
	v_cndmask_b32_e64 v4, v5, v4, s[0:1]
	v_mov_b32_e32 v5, s5
	flat_load_dwordx2 v[4:5], v[4:5]
	s_andn2_b64 vcc, exec, s[18:19]
	v_mov_b64_e32 v[6:7], s[10:11]
	s_cbranch_vccnz .LBB289_4
; %bb.3:
	v_mov_b64_e32 v[6:7], s[8:9]
	flat_load_dwordx2 v[6:7], v[6:7] offset:8
.LBB289_4:
	s_waitcnt vmcnt(0) lgkmcnt(0)
	v_cmp_eq_f64_e32 vcc, 0, v[0:1]
	v_cmp_eq_f64_e64 s[0:1], 0, v[2:3]
	s_and_b64 s[8:9], vcc, s[0:1]
	s_mov_b64 s[0:1], -1
	s_and_saveexec_b64 s[6:7], s[8:9]
; %bb.5:
	v_cmp_neq_f64_e32 vcc, 1.0, v[4:5]
	v_cmp_neq_f64_e64 s[0:1], 0, v[6:7]
	s_or_b64 s[0:1], vcc, s[0:1]
	s_orn2_b64 s[0:1], s[0:1], exec
; %bb.6:
	s_or_b64 exec, exec, s[6:7]
	s_and_saveexec_b64 s[6:7], s[0:1]
	s_cbranch_execz .LBB289_29
; %bb.7:
	s_load_dwordx2 s[0:1], s[2:3], 0x0
	v_lshrrev_b32_e32 v8, 3, v10
	v_lshl_or_b32 v8, s4, 4, v8
	s_waitcnt lgkmcnt(0)
	v_cmp_gt_i32_e32 vcc, s0, v8
	s_and_b64 exec, exec, vcc
	s_cbranch_execz .LBB289_29
; %bb.8:
	s_load_dwordx8 s[4:11], s[2:3], 0x18
	v_ashrrev_i32_e32 v9, 31, v8
	s_cmp_lg_u32 s1, 0
	s_waitcnt lgkmcnt(0)
	v_lshl_add_u64 v[12:13], v[8:9], 2, s[4:5]
	global_load_dwordx2 v[20:21], v[12:13], off
	v_and_b32_e32 v9, 7, v10
	s_waitcnt vmcnt(0)
	v_subrev_u32_e32 v10, s16, v20
	v_subrev_u32_e32 v26, s16, v21
	v_add_u32_e32 v14, v10, v9
	v_cmp_lt_i32_e64 s[0:1], v14, v26
	s_cbranch_scc0 .LBB289_16
; %bb.9:
	v_mov_b64_e32 v[10:11], 0
	s_mov_b64 s[4:5], 0
	v_mov_b64_e32 v[18:19], v[10:11]
	v_mov_b64_e32 v[16:17], v[10:11]
	;; [unrolled: 1-line block ×3, first 2 shown]
	s_and_saveexec_b64 s[12:13], s[0:1]
	s_cbranch_execz .LBB289_15
; %bb.10:
	v_mov_b64_e32 v[10:11], 0
	v_mul_lo_u32 v15, v14, 28
	s_mov_b64 s[14:15], 0
	v_mov_b32_e32 v23, 0
	v_mov_b32_e32 v24, v14
	v_mov_b64_e32 v[18:19], v[10:11]
	v_mov_b64_e32 v[16:17], v[10:11]
	;; [unrolled: 1-line block ×3, first 2 shown]
.LBB289_11:                             ; =>This Loop Header: Depth=1
                                        ;     Child Loop BB289_12 Depth 2
	v_ashrrev_i32_e32 v25, 31, v24
	v_lshl_add_u64 v[28:29], v[24:25], 2, s[6:7]
	global_load_dword v21, v[28:29], off
	v_mov_b32_e32 v22, v15
	s_mov_b32 s17, 0
	s_waitcnt vmcnt(0)
	v_subrev_u32_e32 v21, s16, v21
	v_mul_lo_u32 v21, v21, 14
.LBB289_12:                             ;   Parent Loop BB289_11 Depth=1
                                        ; =>  This Inner Loop Header: Depth=2
	v_lshl_add_u64 v[52:53], v[22:23], 4, s[8:9]
	v_add_u32_e32 v40, s17, v21
	v_mov_b32_e32 v41, v23
	global_load_dwordx4 v[28:31], v[52:53], off offset:32
	global_load_dwordx4 v[32:35], v[52:53], off offset:16
	global_load_dwordx4 v[36:39], v[52:53], off
	v_lshl_add_u64 v[54:55], v[40:41], 4, s[10:11]
	global_load_dwordx4 v[40:43], v[54:55], off
	global_load_dwordx4 v[44:47], v[54:55], off offset:16
	global_load_dwordx4 v[48:51], v[52:53], off offset:48
	s_add_i32 s17, s17, 2
	v_add_u32_e32 v22, 4, v22
	s_cmp_eq_u32 s17, 14
	s_waitcnt vmcnt(2)
	v_fmac_f64_e32 v[16:17], v[32:33], v[40:41]
	v_fmac_f64_e32 v[18:19], v[36:37], v[40:41]
	;; [unrolled: 1-line block ×4, first 2 shown]
	v_fma_f64 v[18:19], -v[38:39], v[42:43], v[18:19]
	v_fmac_f64_e32 v[10:11], v[36:37], v[42:43]
	v_fma_f64 v[16:17], -v[34:35], v[42:43], v[16:17]
	v_fmac_f64_e32 v[12:13], v[32:33], v[42:43]
	s_waitcnt vmcnt(1)
	v_fmac_f64_e32 v[18:19], v[28:29], v[44:45]
	v_fmac_f64_e32 v[10:11], v[30:31], v[44:45]
	s_waitcnt vmcnt(0)
	v_fmac_f64_e32 v[16:17], v[48:49], v[44:45]
	v_fmac_f64_e32 v[12:13], v[50:51], v[44:45]
	v_fma_f64 v[18:19], -v[30:31], v[46:47], v[18:19]
	v_fmac_f64_e32 v[10:11], v[28:29], v[46:47]
	v_fma_f64 v[16:17], -v[50:51], v[46:47], v[16:17]
	v_fmac_f64_e32 v[12:13], v[48:49], v[46:47]
	s_cbranch_scc0 .LBB289_12
; %bb.13:                               ;   in Loop: Header=BB289_11 Depth=1
	v_add_u32_e32 v24, 8, v24
	v_cmp_ge_i32_e32 vcc, v24, v26
	s_or_b64 s[14:15], vcc, s[14:15]
	v_add_u32_e32 v15, 0xe0, v15
	s_andn2_b64 exec, exec, s[14:15]
	s_cbranch_execnz .LBB289_11
; %bb.14:
	s_or_b64 exec, exec, s[14:15]
.LBB289_15:
	s_or_b64 exec, exec, s[12:13]
	s_andn2_b64 vcc, exec, s[4:5]
	s_cbranch_vccz .LBB289_17
	s_branch .LBB289_24
.LBB289_16:
                                        ; implicit-def: $vgpr10_vgpr11
                                        ; implicit-def: $vgpr18_vgpr19
                                        ; implicit-def: $vgpr16_vgpr17
                                        ; implicit-def: $vgpr12_vgpr13
.LBB289_17:
	v_mov_b64_e32 v[10:11], 0
	v_mov_b64_e32 v[18:19], v[10:11]
	;; [unrolled: 1-line block ×4, first 2 shown]
	s_and_saveexec_b64 s[4:5], s[0:1]
	s_cbranch_execz .LBB289_23
; %bb.18:
	v_mul_lo_u32 v10, v20, 28
	v_mad_u32_u24 v10, v9, 28, v10
	s_mul_i32 s0, s16, 28
	v_subrev_u32_e32 v23, s0, v10
	v_mov_b64_e32 v[10:11], 0
	v_mul_lo_u32 v22, v14, 28
	s_mov_b64 s[0:1], 0
	v_mov_b32_e32 v21, 0
	v_mov_b64_e32 v[18:19], v[10:11]
	v_mov_b64_e32 v[16:17], v[10:11]
	;; [unrolled: 1-line block ×3, first 2 shown]
.LBB289_19:                             ; =>This Loop Header: Depth=1
                                        ;     Child Loop BB289_20 Depth 2
	v_ashrrev_i32_e32 v15, 31, v14
	v_lshl_add_u64 v[24:25], v[14:15], 2, s[6:7]
	global_load_dword v15, v[24:25], off
	s_mov_b32 s12, 0
	s_waitcnt vmcnt(0)
	v_subrev_u32_e32 v15, s16, v15
	v_mul_lo_u32 v15, v15, 14
.LBB289_20:                             ;   Parent Loop BB289_19 Depth=1
                                        ; =>  This Inner Loop Header: Depth=2
	v_add_u32_e32 v20, s12, v23
	v_lshl_add_u64 v[24:25], v[20:21], 4, s[8:9]
	v_add_u32_e32 v20, s12, v15
	global_load_dwordx4 v[28:31], v[24:25], off offset:16
	global_load_dwordx4 v[32:35], v[24:25], off
	v_lshl_add_u64 v[24:25], v[20:21], 4, s[10:11]
	v_add3_u32 v20, v22, s12, 14
	global_load_dwordx4 v[36:39], v[24:25], off
	global_load_dwordx4 v[40:43], v[24:25], off offset:16
	v_lshl_add_u64 v[24:25], v[20:21], 4, s[8:9]
	global_load_dwordx4 v[44:47], v[24:25], off
	global_load_dwordx4 v[48:51], v[24:25], off offset:16
	s_add_i32 s12, s12, 2
	s_cmp_eq_u32 s12, 14
	s_waitcnt vmcnt(3)
	v_fmac_f64_e32 v[18:19], v[32:33], v[36:37]
	v_fmac_f64_e32 v[10:11], v[34:35], v[36:37]
	s_waitcnt vmcnt(1)
	v_fmac_f64_e32 v[16:17], v[44:45], v[36:37]
	v_fmac_f64_e32 v[12:13], v[46:47], v[36:37]
	v_fma_f64 v[18:19], -v[34:35], v[38:39], v[18:19]
	v_fmac_f64_e32 v[10:11], v[32:33], v[38:39]
	v_fma_f64 v[16:17], -v[46:47], v[38:39], v[16:17]
	v_fmac_f64_e32 v[12:13], v[44:45], v[38:39]
	v_fmac_f64_e32 v[18:19], v[28:29], v[40:41]
	;; [unrolled: 1-line block ×3, first 2 shown]
	s_waitcnt vmcnt(0)
	v_fmac_f64_e32 v[16:17], v[48:49], v[40:41]
	v_fmac_f64_e32 v[12:13], v[50:51], v[40:41]
	v_fma_f64 v[18:19], -v[30:31], v[42:43], v[18:19]
	v_fmac_f64_e32 v[10:11], v[28:29], v[42:43]
	v_fma_f64 v[16:17], -v[50:51], v[42:43], v[16:17]
	v_fmac_f64_e32 v[12:13], v[48:49], v[42:43]
	s_cbranch_scc0 .LBB289_20
; %bb.21:                               ;   in Loop: Header=BB289_19 Depth=1
	v_add_u32_e32 v14, 8, v14
	v_cmp_ge_i32_e32 vcc, v14, v26
	v_add_u32_e32 v22, 0xe0, v22
	s_or_b64 s[0:1], vcc, s[0:1]
	v_add_u32_e32 v23, 0xe0, v23
	s_andn2_b64 exec, exec, s[0:1]
	s_cbranch_execnz .LBB289_19
; %bb.22:
	s_or_b64 exec, exec, s[0:1]
.LBB289_23:
	s_or_b64 exec, exec, s[4:5]
.LBB289_24:
	v_mov_b32_dpp v22, v16 row_shr:1 row_mask:0xf bank_mask:0xf
	v_mov_b32_dpp v23, v17 row_shr:1 row_mask:0xf bank_mask:0xf
	v_add_f64 v[16:17], v[16:17], v[22:23]
	v_mov_b32_dpp v14, v18 row_shr:1 row_mask:0xf bank_mask:0xf
	v_mov_b32_dpp v15, v19 row_shr:1 row_mask:0xf bank_mask:0xf
	;; [unrolled: 1-line block ×6, first 2 shown]
	v_add_f64 v[22:23], v[16:17], v[22:23]
	v_mov_b32_dpp v16, v12 row_shr:1 row_mask:0xf bank_mask:0xf
	v_mov_b32_dpp v17, v13 row_shr:1 row_mask:0xf bank_mask:0xf
	v_add_f64 v[14:15], v[18:19], v[14:15]
	v_add_f64 v[10:11], v[10:11], v[20:21]
	;; [unrolled: 1-line block ×3, first 2 shown]
	v_mov_b32_dpp v18, v14 row_shr:2 row_mask:0xf bank_mask:0xf
	v_mov_b32_dpp v19, v15 row_shr:2 row_mask:0xf bank_mask:0xf
	;; [unrolled: 1-line block ×6, first 2 shown]
	v_add_f64 v[14:15], v[14:15], v[18:19]
	v_add_f64 v[10:11], v[10:11], v[20:21]
	;; [unrolled: 1-line block ×3, first 2 shown]
	v_mov_b32_dpp v18, v14 row_shr:4 row_mask:0xf bank_mask:0xe
	v_mov_b32_dpp v19, v15 row_shr:4 row_mask:0xf bank_mask:0xe
	v_mov_b32_dpp v20, v10 row_shr:4 row_mask:0xf bank_mask:0xe
	v_mov_b32_dpp v21, v11 row_shr:4 row_mask:0xf bank_mask:0xe
	v_mov_b32_dpp v24, v22 row_shr:4 row_mask:0xf bank_mask:0xe
	v_mov_b32_dpp v25, v23 row_shr:4 row_mask:0xf bank_mask:0xe
	v_mov_b32_dpp v26, v12 row_shr:4 row_mask:0xf bank_mask:0xe
	v_mov_b32_dpp v27, v13 row_shr:4 row_mask:0xf bank_mask:0xe
	v_cmp_eq_u32_e32 vcc, 7, v9
	s_and_b64 exec, exec, vcc
	s_cbranch_execz .LBB289_29
; %bb.25:
	s_load_dwordx2 s[2:3], s[2:3], 0x48
	v_cmp_eq_f64_e32 vcc, 0, v[4:5]
	v_cmp_eq_f64_e64 s[0:1], 0, v[6:7]
	v_add_f64 v[14:15], v[14:15], v[18:19]
	v_add_f64 v[16:17], v[10:11], v[20:21]
	;; [unrolled: 1-line block ×4, first 2 shown]
	s_and_b64 s[0:1], vcc, s[0:1]
	s_and_saveexec_b64 s[4:5], s[0:1]
	s_xor_b64 s[0:1], exec, s[4:5]
	s_cbranch_execz .LBB289_27
; %bb.26:
	v_lshlrev_b32_e32 v8, 1, v8
	v_mul_f64 v[4:5], v[16:17], -v[2:3]
	v_mul_f64 v[6:7], v[0:1], v[16:17]
	v_ashrrev_i32_e32 v9, 31, v8
	v_fmac_f64_e32 v[4:5], v[0:1], v[14:15]
	v_fmac_f64_e32 v[6:7], v[2:3], v[14:15]
	s_waitcnt lgkmcnt(0)
	v_lshl_add_u64 v[8:9], v[8:9], 4, s[2:3]
	global_store_dwordx4 v[8:9], v[4:7], off
                                        ; implicit-def: $vgpr14_vgpr15
                                        ; implicit-def: $vgpr16_vgpr17
	s_nop 1
	v_mul_f64 v[4:5], v[12:13], -v[2:3]
	v_mul_f64 v[6:7], v[0:1], v[12:13]
	v_fmac_f64_e32 v[4:5], v[0:1], v[10:11]
	v_fmac_f64_e32 v[6:7], v[2:3], v[10:11]
	global_store_dwordx4 v[8:9], v[4:7], off offset:16
                                        ; implicit-def: $vgpr0_vgpr1
                                        ; implicit-def: $vgpr2_vgpr3
                                        ; implicit-def: $vgpr4_vgpr5
                                        ; implicit-def: $vgpr6_vgpr7
                                        ; implicit-def: $vgpr8
                                        ; implicit-def: $vgpr10_vgpr11
                                        ; implicit-def: $vgpr12_vgpr13
.LBB289_27:
	s_andn2_saveexec_b64 s[0:1], s[0:1]
	s_cbranch_execz .LBB289_29
; %bb.28:
	v_lshlrev_b32_e32 v8, 1, v8
	v_ashrrev_i32_e32 v9, 31, v8
	s_waitcnt lgkmcnt(0)
	v_lshl_add_u64 v[26:27], v[8:9], 4, s[2:3]
	global_load_dwordx4 v[18:21], v[26:27], off
	global_load_dwordx4 v[22:25], v[26:27], off offset:16
	v_mul_f64 v[28:29], v[16:17], -v[2:3]
	v_mul_f64 v[16:17], v[0:1], v[16:17]
	v_mul_f64 v[30:31], v[12:13], -v[2:3]
	v_mul_f64 v[8:9], v[0:1], v[12:13]
	v_fmac_f64_e32 v[28:29], v[0:1], v[14:15]
	v_fmac_f64_e32 v[16:17], v[2:3], v[14:15]
	;; [unrolled: 1-line block ×4, first 2 shown]
	s_waitcnt vmcnt(1)
	v_fmac_f64_e32 v[28:29], v[4:5], v[18:19]
	v_fmac_f64_e32 v[16:17], v[6:7], v[18:19]
	s_waitcnt vmcnt(0)
	v_fmac_f64_e32 v[30:31], v[4:5], v[22:23]
	v_fmac_f64_e32 v[8:9], v[6:7], v[22:23]
	v_fma_f64 v[14:15], -v[6:7], v[20:21], v[28:29]
	v_fmac_f64_e32 v[16:17], v[4:5], v[20:21]
	v_fma_f64 v[6:7], -v[6:7], v[24:25], v[30:31]
	v_fmac_f64_e32 v[8:9], v[4:5], v[24:25]
	global_store_dwordx4 v[26:27], v[14:17], off
	global_store_dwordx4 v[26:27], v[6:9], off offset:16
.LBB289_29:
	s_endpgm
	.section	.rodata,"a",@progbits
	.p2align	6, 0x0
	.amdhsa_kernel _ZN9rocsparseL19gebsrmvn_2xn_kernelILj128ELj14ELj8E21rocsparse_complex_numIdEEEvi20rocsparse_direction_NS_24const_host_device_scalarIT2_EEPKiS8_PKS5_SA_S6_PS5_21rocsparse_index_base_b
		.amdhsa_group_segment_fixed_size 2048
		.amdhsa_private_segment_fixed_size 0
		.amdhsa_kernarg_size 88
		.amdhsa_user_sgpr_count 4
		.amdhsa_user_sgpr_dispatch_ptr 1
		.amdhsa_user_sgpr_queue_ptr 0
		.amdhsa_user_sgpr_kernarg_segment_ptr 1
		.amdhsa_user_sgpr_dispatch_id 0
		.amdhsa_user_sgpr_kernarg_preload_length 0
		.amdhsa_user_sgpr_kernarg_preload_offset 0
		.amdhsa_user_sgpr_private_segment_size 0
		.amdhsa_uses_dynamic_stack 0
		.amdhsa_enable_private_segment 0
		.amdhsa_system_sgpr_workgroup_id_x 1
		.amdhsa_system_sgpr_workgroup_id_y 0
		.amdhsa_system_sgpr_workgroup_id_z 0
		.amdhsa_system_sgpr_workgroup_info 0
		.amdhsa_system_vgpr_workitem_id 2
		.amdhsa_next_free_vgpr 56
		.amdhsa_next_free_sgpr 20
		.amdhsa_accum_offset 56
		.amdhsa_reserve_vcc 1
		.amdhsa_float_round_mode_32 0
		.amdhsa_float_round_mode_16_64 0
		.amdhsa_float_denorm_mode_32 3
		.amdhsa_float_denorm_mode_16_64 3
		.amdhsa_dx10_clamp 1
		.amdhsa_ieee_mode 1
		.amdhsa_fp16_overflow 0
		.amdhsa_tg_split 0
		.amdhsa_exception_fp_ieee_invalid_op 0
		.amdhsa_exception_fp_denorm_src 0
		.amdhsa_exception_fp_ieee_div_zero 0
		.amdhsa_exception_fp_ieee_overflow 0
		.amdhsa_exception_fp_ieee_underflow 0
		.amdhsa_exception_fp_ieee_inexact 0
		.amdhsa_exception_int_div_zero 0
	.end_amdhsa_kernel
	.section	.text._ZN9rocsparseL19gebsrmvn_2xn_kernelILj128ELj14ELj8E21rocsparse_complex_numIdEEEvi20rocsparse_direction_NS_24const_host_device_scalarIT2_EEPKiS8_PKS5_SA_S6_PS5_21rocsparse_index_base_b,"axG",@progbits,_ZN9rocsparseL19gebsrmvn_2xn_kernelILj128ELj14ELj8E21rocsparse_complex_numIdEEEvi20rocsparse_direction_NS_24const_host_device_scalarIT2_EEPKiS8_PKS5_SA_S6_PS5_21rocsparse_index_base_b,comdat
.Lfunc_end289:
	.size	_ZN9rocsparseL19gebsrmvn_2xn_kernelILj128ELj14ELj8E21rocsparse_complex_numIdEEEvi20rocsparse_direction_NS_24const_host_device_scalarIT2_EEPKiS8_PKS5_SA_S6_PS5_21rocsparse_index_base_b, .Lfunc_end289-_ZN9rocsparseL19gebsrmvn_2xn_kernelILj128ELj14ELj8E21rocsparse_complex_numIdEEEvi20rocsparse_direction_NS_24const_host_device_scalarIT2_EEPKiS8_PKS5_SA_S6_PS5_21rocsparse_index_base_b
                                        ; -- End function
	.section	.AMDGPU.csdata,"",@progbits
; Kernel info:
; codeLenInByte = 1676
; NumSgprs: 26
; NumVgprs: 56
; NumAgprs: 0
; TotalNumVgprs: 56
; ScratchSize: 0
; MemoryBound: 0
; FloatMode: 240
; IeeeMode: 1
; LDSByteSize: 2048 bytes/workgroup (compile time only)
; SGPRBlocks: 3
; VGPRBlocks: 6
; NumSGPRsForWavesPerEU: 26
; NumVGPRsForWavesPerEU: 56
; AccumOffset: 56
; Occupancy: 8
; WaveLimiterHint : 1
; COMPUTE_PGM_RSRC2:SCRATCH_EN: 0
; COMPUTE_PGM_RSRC2:USER_SGPR: 4
; COMPUTE_PGM_RSRC2:TRAP_HANDLER: 0
; COMPUTE_PGM_RSRC2:TGID_X_EN: 1
; COMPUTE_PGM_RSRC2:TGID_Y_EN: 0
; COMPUTE_PGM_RSRC2:TGID_Z_EN: 0
; COMPUTE_PGM_RSRC2:TIDIG_COMP_CNT: 2
; COMPUTE_PGM_RSRC3_GFX90A:ACCUM_OFFSET: 13
; COMPUTE_PGM_RSRC3_GFX90A:TG_SPLIT: 0
	.section	.text._ZN9rocsparseL19gebsrmvn_2xn_kernelILj128ELj14ELj16E21rocsparse_complex_numIdEEEvi20rocsparse_direction_NS_24const_host_device_scalarIT2_EEPKiS8_PKS5_SA_S6_PS5_21rocsparse_index_base_b,"axG",@progbits,_ZN9rocsparseL19gebsrmvn_2xn_kernelILj128ELj14ELj16E21rocsparse_complex_numIdEEEvi20rocsparse_direction_NS_24const_host_device_scalarIT2_EEPKiS8_PKS5_SA_S6_PS5_21rocsparse_index_base_b,comdat
	.globl	_ZN9rocsparseL19gebsrmvn_2xn_kernelILj128ELj14ELj16E21rocsparse_complex_numIdEEEvi20rocsparse_direction_NS_24const_host_device_scalarIT2_EEPKiS8_PKS5_SA_S6_PS5_21rocsparse_index_base_b ; -- Begin function _ZN9rocsparseL19gebsrmvn_2xn_kernelILj128ELj14ELj16E21rocsparse_complex_numIdEEEvi20rocsparse_direction_NS_24const_host_device_scalarIT2_EEPKiS8_PKS5_SA_S6_PS5_21rocsparse_index_base_b
	.p2align	8
	.type	_ZN9rocsparseL19gebsrmvn_2xn_kernelILj128ELj14ELj16E21rocsparse_complex_numIdEEEvi20rocsparse_direction_NS_24const_host_device_scalarIT2_EEPKiS8_PKS5_SA_S6_PS5_21rocsparse_index_base_b,@function
_ZN9rocsparseL19gebsrmvn_2xn_kernelILj128ELj14ELj16E21rocsparse_complex_numIdEEEvi20rocsparse_direction_NS_24const_host_device_scalarIT2_EEPKiS8_PKS5_SA_S6_PS5_21rocsparse_index_base_b: ; @_ZN9rocsparseL19gebsrmvn_2xn_kernelILj128ELj14ELj16E21rocsparse_complex_numIdEEEvi20rocsparse_direction_NS_24const_host_device_scalarIT2_EEPKiS8_PKS5_SA_S6_PS5_21rocsparse_index_base_b
; %bb.0:
	s_load_dwordx2 s[16:17], s[2:3], 0x50
	s_load_dwordx4 s[12:15], s[2:3], 0x8
	s_load_dwordx4 s[8:11], s[2:3], 0x38
	s_load_dwordx2 s[18:19], s[0:1], 0x4
	s_mov_b64 s[6:7], src_shared_base
	s_waitcnt lgkmcnt(0)
	s_bitcmp1_b32 s17, 0
	s_cselect_b64 s[0:1], -1, 0
	s_and_b64 vcc, s[0:1], exec
	s_cselect_b32 s5, s7, s13
	s_lshr_b32 s6, s18, 16
	v_bfe_u32 v1, v0, 10, 10
	v_and_b32_e32 v10, 0x3ff, v0
	s_mul_i32 s6, s6, s19
	v_mul_u32_u24_e32 v1, s19, v1
	v_mad_u32_u24 v1, s6, v10, v1
	v_bfe_u32 v0, v0, 20, 10
	v_add_lshl_u32 v4, v1, v0, 3
	v_mov_b32_e32 v5, s12
	v_add_u32_e32 v6, 0x400, v4
	v_mov_b64_e32 v[0:1], s[12:13]
	v_mov_b64_e32 v[2:3], s[8:9]
	ds_write2st64_b64 v4, v[2:3], v[0:1] offset1:2
	v_cndmask_b32_e64 v0, v5, v6, s[0:1]
	v_mov_b32_e32 v1, s5
	flat_load_dwordx2 v[0:1], v[0:1]
	s_xor_b64 s[18:19], s[0:1], -1
	v_mov_b64_e32 v[2:3], s[14:15]
	s_cbranch_vccnz .LBB290_2
; %bb.1:
	v_mov_b64_e32 v[2:3], s[12:13]
	flat_load_dwordx2 v[2:3], v[2:3] offset:8
.LBB290_2:
	s_and_b64 s[12:13], s[0:1], exec
	s_cselect_b32 s5, s7, s9
	v_mov_b32_e32 v5, s8
	v_cndmask_b32_e64 v4, v5, v4, s[0:1]
	v_mov_b32_e32 v5, s5
	flat_load_dwordx2 v[4:5], v[4:5]
	s_andn2_b64 vcc, exec, s[18:19]
	v_mov_b64_e32 v[6:7], s[10:11]
	s_cbranch_vccnz .LBB290_4
; %bb.3:
	v_mov_b64_e32 v[6:7], s[8:9]
	flat_load_dwordx2 v[6:7], v[6:7] offset:8
.LBB290_4:
	s_waitcnt vmcnt(0) lgkmcnt(0)
	v_cmp_eq_f64_e32 vcc, 0, v[0:1]
	v_cmp_eq_f64_e64 s[0:1], 0, v[2:3]
	s_and_b64 s[8:9], vcc, s[0:1]
	s_mov_b64 s[0:1], -1
	s_and_saveexec_b64 s[6:7], s[8:9]
; %bb.5:
	v_cmp_neq_f64_e32 vcc, 1.0, v[4:5]
	v_cmp_neq_f64_e64 s[0:1], 0, v[6:7]
	s_or_b64 s[0:1], vcc, s[0:1]
	s_orn2_b64 s[0:1], s[0:1], exec
; %bb.6:
	s_or_b64 exec, exec, s[6:7]
	s_and_saveexec_b64 s[6:7], s[0:1]
	s_cbranch_execz .LBB290_29
; %bb.7:
	s_load_dwordx2 s[0:1], s[2:3], 0x0
	v_lshrrev_b32_e32 v8, 4, v10
	v_lshl_or_b32 v8, s4, 3, v8
	s_waitcnt lgkmcnt(0)
	v_cmp_gt_i32_e32 vcc, s0, v8
	s_and_b64 exec, exec, vcc
	s_cbranch_execz .LBB290_29
; %bb.8:
	s_load_dwordx8 s[4:11], s[2:3], 0x18
	v_ashrrev_i32_e32 v9, 31, v8
	s_cmp_lg_u32 s1, 0
	s_waitcnt lgkmcnt(0)
	v_lshl_add_u64 v[12:13], v[8:9], 2, s[4:5]
	global_load_dwordx2 v[20:21], v[12:13], off
	v_and_b32_e32 v9, 15, v10
	s_waitcnt vmcnt(0)
	v_subrev_u32_e32 v10, s16, v20
	v_subrev_u32_e32 v26, s16, v21
	v_add_u32_e32 v16, v10, v9
	v_cmp_lt_i32_e64 s[0:1], v16, v26
	s_cbranch_scc0 .LBB290_16
; %bb.9:
	v_mov_b64_e32 v[12:13], 0
	s_mov_b64 s[4:5], 0
	v_mov_b64_e32 v[18:19], v[12:13]
	v_mov_b64_e32 v[14:15], v[12:13]
	;; [unrolled: 1-line block ×3, first 2 shown]
	s_and_saveexec_b64 s[12:13], s[0:1]
	s_cbranch_execz .LBB290_15
; %bb.10:
	v_mov_b64_e32 v[12:13], 0
	v_mul_lo_u32 v17, v16, 28
	s_mov_b64 s[14:15], 0
	v_mov_b32_e32 v23, 0
	v_mov_b32_e32 v24, v16
	v_mov_b64_e32 v[18:19], v[12:13]
	v_mov_b64_e32 v[14:15], v[12:13]
	;; [unrolled: 1-line block ×3, first 2 shown]
.LBB290_11:                             ; =>This Loop Header: Depth=1
                                        ;     Child Loop BB290_12 Depth 2
	v_ashrrev_i32_e32 v25, 31, v24
	v_lshl_add_u64 v[28:29], v[24:25], 2, s[6:7]
	global_load_dword v21, v[28:29], off
	v_mov_b32_e32 v22, v17
	s_mov_b32 s17, 0
	s_waitcnt vmcnt(0)
	v_subrev_u32_e32 v21, s16, v21
	v_mul_lo_u32 v21, v21, 14
.LBB290_12:                             ;   Parent Loop BB290_11 Depth=1
                                        ; =>  This Inner Loop Header: Depth=2
	v_lshl_add_u64 v[52:53], v[22:23], 4, s[8:9]
	v_add_u32_e32 v40, s17, v21
	v_mov_b32_e32 v41, v23
	global_load_dwordx4 v[28:31], v[52:53], off offset:32
	global_load_dwordx4 v[32:35], v[52:53], off offset:16
	global_load_dwordx4 v[36:39], v[52:53], off
	v_lshl_add_u64 v[54:55], v[40:41], 4, s[10:11]
	global_load_dwordx4 v[40:43], v[54:55], off
	global_load_dwordx4 v[44:47], v[54:55], off offset:16
	global_load_dwordx4 v[48:51], v[52:53], off offset:48
	s_add_i32 s17, s17, 2
	v_add_u32_e32 v22, 4, v22
	s_cmp_eq_u32 s17, 14
	s_waitcnt vmcnt(2)
	v_fmac_f64_e32 v[14:15], v[32:33], v[40:41]
	v_fmac_f64_e32 v[18:19], v[36:37], v[40:41]
	;; [unrolled: 1-line block ×4, first 2 shown]
	v_fma_f64 v[18:19], -v[38:39], v[42:43], v[18:19]
	v_fmac_f64_e32 v[12:13], v[36:37], v[42:43]
	v_fma_f64 v[14:15], -v[34:35], v[42:43], v[14:15]
	v_fmac_f64_e32 v[10:11], v[32:33], v[42:43]
	s_waitcnt vmcnt(1)
	v_fmac_f64_e32 v[18:19], v[28:29], v[44:45]
	v_fmac_f64_e32 v[12:13], v[30:31], v[44:45]
	s_waitcnt vmcnt(0)
	v_fmac_f64_e32 v[14:15], v[48:49], v[44:45]
	v_fmac_f64_e32 v[10:11], v[50:51], v[44:45]
	v_fma_f64 v[18:19], -v[30:31], v[46:47], v[18:19]
	v_fmac_f64_e32 v[12:13], v[28:29], v[46:47]
	v_fma_f64 v[14:15], -v[50:51], v[46:47], v[14:15]
	v_fmac_f64_e32 v[10:11], v[48:49], v[46:47]
	s_cbranch_scc0 .LBB290_12
; %bb.13:                               ;   in Loop: Header=BB290_11 Depth=1
	v_add_u32_e32 v24, 16, v24
	v_cmp_ge_i32_e32 vcc, v24, v26
	s_or_b64 s[14:15], vcc, s[14:15]
	v_add_u32_e32 v17, 0x1c0, v17
	s_andn2_b64 exec, exec, s[14:15]
	s_cbranch_execnz .LBB290_11
; %bb.14:
	s_or_b64 exec, exec, s[14:15]
.LBB290_15:
	s_or_b64 exec, exec, s[12:13]
	s_andn2_b64 vcc, exec, s[4:5]
	s_cbranch_vccz .LBB290_17
	s_branch .LBB290_24
.LBB290_16:
                                        ; implicit-def: $vgpr12_vgpr13
                                        ; implicit-def: $vgpr18_vgpr19
                                        ; implicit-def: $vgpr14_vgpr15
                                        ; implicit-def: $vgpr10_vgpr11
.LBB290_17:
	v_mov_b64_e32 v[12:13], 0
	v_mov_b64_e32 v[18:19], v[12:13]
	v_mov_b64_e32 v[14:15], v[12:13]
	v_mov_b64_e32 v[10:11], v[12:13]
	s_and_saveexec_b64 s[4:5], s[0:1]
	s_cbranch_execz .LBB290_23
; %bb.18:
	v_mul_lo_u32 v10, v20, 28
	v_mad_u32_u24 v10, v9, 28, v10
	s_mul_i32 s0, s16, 28
	v_mov_b64_e32 v[12:13], 0
	v_mul_lo_u32 v22, v16, 28
	v_subrev_u32_e32 v23, s0, v10
	s_mov_b64 s[0:1], 0
	v_mov_b32_e32 v21, 0
	v_mov_b64_e32 v[18:19], v[12:13]
	v_mov_b64_e32 v[14:15], v[12:13]
	v_mov_b64_e32 v[10:11], v[12:13]
.LBB290_19:                             ; =>This Loop Header: Depth=1
                                        ;     Child Loop BB290_20 Depth 2
	v_ashrrev_i32_e32 v17, 31, v16
	v_lshl_add_u64 v[24:25], v[16:17], 2, s[6:7]
	global_load_dword v17, v[24:25], off
	s_mov_b32 s12, 0
	s_waitcnt vmcnt(0)
	v_subrev_u32_e32 v17, s16, v17
	v_mul_lo_u32 v17, v17, 14
.LBB290_20:                             ;   Parent Loop BB290_19 Depth=1
                                        ; =>  This Inner Loop Header: Depth=2
	v_add_u32_e32 v20, s12, v23
	v_lshl_add_u64 v[24:25], v[20:21], 4, s[8:9]
	v_add_u32_e32 v20, s12, v17
	global_load_dwordx4 v[28:31], v[24:25], off offset:16
	global_load_dwordx4 v[32:35], v[24:25], off
	v_lshl_add_u64 v[24:25], v[20:21], 4, s[10:11]
	v_add3_u32 v20, v22, s12, 14
	global_load_dwordx4 v[36:39], v[24:25], off
	global_load_dwordx4 v[40:43], v[24:25], off offset:16
	v_lshl_add_u64 v[24:25], v[20:21], 4, s[8:9]
	global_load_dwordx4 v[44:47], v[24:25], off
	global_load_dwordx4 v[48:51], v[24:25], off offset:16
	s_add_i32 s12, s12, 2
	s_cmp_eq_u32 s12, 14
	s_waitcnt vmcnt(3)
	v_fmac_f64_e32 v[18:19], v[32:33], v[36:37]
	v_fmac_f64_e32 v[12:13], v[34:35], v[36:37]
	s_waitcnt vmcnt(1)
	v_fmac_f64_e32 v[14:15], v[44:45], v[36:37]
	v_fmac_f64_e32 v[10:11], v[46:47], v[36:37]
	v_fma_f64 v[18:19], -v[34:35], v[38:39], v[18:19]
	v_fmac_f64_e32 v[12:13], v[32:33], v[38:39]
	v_fma_f64 v[14:15], -v[46:47], v[38:39], v[14:15]
	v_fmac_f64_e32 v[10:11], v[44:45], v[38:39]
	v_fmac_f64_e32 v[18:19], v[28:29], v[40:41]
	;; [unrolled: 1-line block ×3, first 2 shown]
	s_waitcnt vmcnt(0)
	v_fmac_f64_e32 v[14:15], v[48:49], v[40:41]
	v_fmac_f64_e32 v[10:11], v[50:51], v[40:41]
	v_fma_f64 v[18:19], -v[30:31], v[42:43], v[18:19]
	v_fmac_f64_e32 v[12:13], v[28:29], v[42:43]
	v_fma_f64 v[14:15], -v[50:51], v[42:43], v[14:15]
	v_fmac_f64_e32 v[10:11], v[48:49], v[42:43]
	s_cbranch_scc0 .LBB290_20
; %bb.21:                               ;   in Loop: Header=BB290_19 Depth=1
	v_add_u32_e32 v16, 16, v16
	v_cmp_ge_i32_e32 vcc, v16, v26
	v_add_u32_e32 v22, 0x1c0, v22
	s_or_b64 s[0:1], vcc, s[0:1]
	v_add_u32_e32 v23, 0x1c0, v23
	s_andn2_b64 exec, exec, s[0:1]
	s_cbranch_execnz .LBB290_19
; %bb.22:
	s_or_b64 exec, exec, s[0:1]
.LBB290_23:
	s_or_b64 exec, exec, s[4:5]
.LBB290_24:
	v_mov_b32_dpp v22, v14 row_shr:1 row_mask:0xf bank_mask:0xf
	v_mov_b32_dpp v23, v15 row_shr:1 row_mask:0xf bank_mask:0xf
	v_add_f64 v[14:15], v[14:15], v[22:23]
	v_mov_b32_dpp v16, v18 row_shr:1 row_mask:0xf bank_mask:0xf
	v_mov_b32_dpp v17, v19 row_shr:1 row_mask:0xf bank_mask:0xf
	v_mov_b32_dpp v22, v14 row_shr:2 row_mask:0xf bank_mask:0xf
	v_mov_b32_dpp v23, v15 row_shr:2 row_mask:0xf bank_mask:0xf
	v_add_f64 v[14:15], v[14:15], v[22:23]
	v_mov_b32_dpp v20, v12 row_shr:1 row_mask:0xf bank_mask:0xf
	v_mov_b32_dpp v21, v13 row_shr:1 row_mask:0xf bank_mask:0xf
	;; [unrolled: 5-line block ×3, first 2 shown]
	v_add_f64 v[16:17], v[18:19], v[16:17]
	v_add_f64 v[12:13], v[12:13], v[20:21]
	v_add_f64 v[10:11], v[10:11], v[14:15]
	v_mov_b32_dpp v18, v16 row_shr:2 row_mask:0xf bank_mask:0xf
	v_mov_b32_dpp v19, v17 row_shr:2 row_mask:0xf bank_mask:0xf
	v_mov_b32_dpp v20, v12 row_shr:2 row_mask:0xf bank_mask:0xf
	v_mov_b32_dpp v21, v13 row_shr:2 row_mask:0xf bank_mask:0xf
	v_mov_b32_dpp v14, v10 row_shr:2 row_mask:0xf bank_mask:0xf
	v_mov_b32_dpp v15, v11 row_shr:2 row_mask:0xf bank_mask:0xf
	v_add_f64 v[16:17], v[16:17], v[18:19]
	v_add_f64 v[12:13], v[12:13], v[20:21]
	v_add_f64 v[10:11], v[10:11], v[14:15]
	v_mov_b32_dpp v18, v16 row_shr:4 row_mask:0xf bank_mask:0xe
	v_mov_b32_dpp v19, v17 row_shr:4 row_mask:0xf bank_mask:0xe
	v_mov_b32_dpp v20, v12 row_shr:4 row_mask:0xf bank_mask:0xe
	v_mov_b32_dpp v21, v13 row_shr:4 row_mask:0xf bank_mask:0xe
	v_mov_b32_dpp v14, v10 row_shr:4 row_mask:0xf bank_mask:0xe
	v_mov_b32_dpp v15, v11 row_shr:4 row_mask:0xf bank_mask:0xe
	;; [unrolled: 9-line block ×3, first 2 shown]
	v_mov_b32_dpp v28, v26 row_shr:8 row_mask:0xf bank_mask:0xc
	v_mov_b32_dpp v29, v27 row_shr:8 row_mask:0xf bank_mask:0xc
	v_cmp_eq_u32_e32 vcc, 15, v9
	s_and_b64 exec, exec, vcc
	s_cbranch_execz .LBB290_29
; %bb.25:
	s_load_dwordx2 s[2:3], s[2:3], 0x48
	v_cmp_eq_f64_e32 vcc, 0, v[4:5]
	v_cmp_eq_f64_e64 s[0:1], 0, v[6:7]
	v_add_f64 v[14:15], v[16:17], v[18:19]
	v_add_f64 v[16:17], v[12:13], v[20:21]
	;; [unrolled: 1-line block ×4, first 2 shown]
	s_and_b64 s[0:1], vcc, s[0:1]
	s_and_saveexec_b64 s[4:5], s[0:1]
	s_xor_b64 s[0:1], exec, s[4:5]
	s_cbranch_execz .LBB290_27
; %bb.26:
	v_lshlrev_b32_e32 v8, 1, v8
	v_mul_f64 v[4:5], v[16:17], -v[2:3]
	v_mul_f64 v[6:7], v[0:1], v[16:17]
	v_ashrrev_i32_e32 v9, 31, v8
	v_fmac_f64_e32 v[4:5], v[0:1], v[14:15]
	v_fmac_f64_e32 v[6:7], v[2:3], v[14:15]
	s_waitcnt lgkmcnt(0)
	v_lshl_add_u64 v[8:9], v[8:9], 4, s[2:3]
	global_store_dwordx4 v[8:9], v[4:7], off
                                        ; implicit-def: $vgpr14_vgpr15
                                        ; implicit-def: $vgpr16_vgpr17
	s_nop 1
	v_mul_f64 v[4:5], v[12:13], -v[2:3]
	v_mul_f64 v[6:7], v[0:1], v[12:13]
	v_fmac_f64_e32 v[4:5], v[0:1], v[10:11]
	v_fmac_f64_e32 v[6:7], v[2:3], v[10:11]
	global_store_dwordx4 v[8:9], v[4:7], off offset:16
                                        ; implicit-def: $vgpr0_vgpr1
                                        ; implicit-def: $vgpr2_vgpr3
                                        ; implicit-def: $vgpr4_vgpr5
                                        ; implicit-def: $vgpr6_vgpr7
                                        ; implicit-def: $vgpr8
                                        ; implicit-def: $vgpr10_vgpr11
                                        ; implicit-def: $vgpr12_vgpr13
.LBB290_27:
	s_andn2_saveexec_b64 s[0:1], s[0:1]
	s_cbranch_execz .LBB290_29
; %bb.28:
	v_lshlrev_b32_e32 v8, 1, v8
	v_ashrrev_i32_e32 v9, 31, v8
	s_waitcnt lgkmcnt(0)
	v_lshl_add_u64 v[26:27], v[8:9], 4, s[2:3]
	global_load_dwordx4 v[18:21], v[26:27], off
	global_load_dwordx4 v[22:25], v[26:27], off offset:16
	v_mul_f64 v[28:29], v[16:17], -v[2:3]
	v_mul_f64 v[16:17], v[0:1], v[16:17]
	v_mul_f64 v[30:31], v[12:13], -v[2:3]
	v_mul_f64 v[8:9], v[0:1], v[12:13]
	v_fmac_f64_e32 v[28:29], v[0:1], v[14:15]
	v_fmac_f64_e32 v[16:17], v[2:3], v[14:15]
	;; [unrolled: 1-line block ×4, first 2 shown]
	s_waitcnt vmcnt(1)
	v_fmac_f64_e32 v[28:29], v[4:5], v[18:19]
	v_fmac_f64_e32 v[16:17], v[6:7], v[18:19]
	s_waitcnt vmcnt(0)
	v_fmac_f64_e32 v[30:31], v[4:5], v[22:23]
	v_fmac_f64_e32 v[8:9], v[6:7], v[22:23]
	v_fma_f64 v[14:15], -v[6:7], v[20:21], v[28:29]
	v_fmac_f64_e32 v[16:17], v[4:5], v[20:21]
	v_fma_f64 v[6:7], -v[6:7], v[24:25], v[30:31]
	v_fmac_f64_e32 v[8:9], v[4:5], v[24:25]
	global_store_dwordx4 v[26:27], v[14:17], off
	global_store_dwordx4 v[26:27], v[6:9], off offset:16
.LBB290_29:
	s_endpgm
	.section	.rodata,"a",@progbits
	.p2align	6, 0x0
	.amdhsa_kernel _ZN9rocsparseL19gebsrmvn_2xn_kernelILj128ELj14ELj16E21rocsparse_complex_numIdEEEvi20rocsparse_direction_NS_24const_host_device_scalarIT2_EEPKiS8_PKS5_SA_S6_PS5_21rocsparse_index_base_b
		.amdhsa_group_segment_fixed_size 2048
		.amdhsa_private_segment_fixed_size 0
		.amdhsa_kernarg_size 88
		.amdhsa_user_sgpr_count 4
		.amdhsa_user_sgpr_dispatch_ptr 1
		.amdhsa_user_sgpr_queue_ptr 0
		.amdhsa_user_sgpr_kernarg_segment_ptr 1
		.amdhsa_user_sgpr_dispatch_id 0
		.amdhsa_user_sgpr_kernarg_preload_length 0
		.amdhsa_user_sgpr_kernarg_preload_offset 0
		.amdhsa_user_sgpr_private_segment_size 0
		.amdhsa_uses_dynamic_stack 0
		.amdhsa_enable_private_segment 0
		.amdhsa_system_sgpr_workgroup_id_x 1
		.amdhsa_system_sgpr_workgroup_id_y 0
		.amdhsa_system_sgpr_workgroup_id_z 0
		.amdhsa_system_sgpr_workgroup_info 0
		.amdhsa_system_vgpr_workitem_id 2
		.amdhsa_next_free_vgpr 56
		.amdhsa_next_free_sgpr 20
		.amdhsa_accum_offset 56
		.amdhsa_reserve_vcc 1
		.amdhsa_float_round_mode_32 0
		.amdhsa_float_round_mode_16_64 0
		.amdhsa_float_denorm_mode_32 3
		.amdhsa_float_denorm_mode_16_64 3
		.amdhsa_dx10_clamp 1
		.amdhsa_ieee_mode 1
		.amdhsa_fp16_overflow 0
		.amdhsa_tg_split 0
		.amdhsa_exception_fp_ieee_invalid_op 0
		.amdhsa_exception_fp_denorm_src 0
		.amdhsa_exception_fp_ieee_div_zero 0
		.amdhsa_exception_fp_ieee_overflow 0
		.amdhsa_exception_fp_ieee_underflow 0
		.amdhsa_exception_fp_ieee_inexact 0
		.amdhsa_exception_int_div_zero 0
	.end_amdhsa_kernel
	.section	.text._ZN9rocsparseL19gebsrmvn_2xn_kernelILj128ELj14ELj16E21rocsparse_complex_numIdEEEvi20rocsparse_direction_NS_24const_host_device_scalarIT2_EEPKiS8_PKS5_SA_S6_PS5_21rocsparse_index_base_b,"axG",@progbits,_ZN9rocsparseL19gebsrmvn_2xn_kernelILj128ELj14ELj16E21rocsparse_complex_numIdEEEvi20rocsparse_direction_NS_24const_host_device_scalarIT2_EEPKiS8_PKS5_SA_S6_PS5_21rocsparse_index_base_b,comdat
.Lfunc_end290:
	.size	_ZN9rocsparseL19gebsrmvn_2xn_kernelILj128ELj14ELj16E21rocsparse_complex_numIdEEEvi20rocsparse_direction_NS_24const_host_device_scalarIT2_EEPKiS8_PKS5_SA_S6_PS5_21rocsparse_index_base_b, .Lfunc_end290-_ZN9rocsparseL19gebsrmvn_2xn_kernelILj128ELj14ELj16E21rocsparse_complex_numIdEEEvi20rocsparse_direction_NS_24const_host_device_scalarIT2_EEPKiS8_PKS5_SA_S6_PS5_21rocsparse_index_base_b
                                        ; -- End function
	.section	.AMDGPU.csdata,"",@progbits
; Kernel info:
; codeLenInByte = 1772
; NumSgprs: 26
; NumVgprs: 56
; NumAgprs: 0
; TotalNumVgprs: 56
; ScratchSize: 0
; MemoryBound: 0
; FloatMode: 240
; IeeeMode: 1
; LDSByteSize: 2048 bytes/workgroup (compile time only)
; SGPRBlocks: 3
; VGPRBlocks: 6
; NumSGPRsForWavesPerEU: 26
; NumVGPRsForWavesPerEU: 56
; AccumOffset: 56
; Occupancy: 8
; WaveLimiterHint : 1
; COMPUTE_PGM_RSRC2:SCRATCH_EN: 0
; COMPUTE_PGM_RSRC2:USER_SGPR: 4
; COMPUTE_PGM_RSRC2:TRAP_HANDLER: 0
; COMPUTE_PGM_RSRC2:TGID_X_EN: 1
; COMPUTE_PGM_RSRC2:TGID_Y_EN: 0
; COMPUTE_PGM_RSRC2:TGID_Z_EN: 0
; COMPUTE_PGM_RSRC2:TIDIG_COMP_CNT: 2
; COMPUTE_PGM_RSRC3_GFX90A:ACCUM_OFFSET: 13
; COMPUTE_PGM_RSRC3_GFX90A:TG_SPLIT: 0
	.section	.text._ZN9rocsparseL19gebsrmvn_2xn_kernelILj128ELj14ELj32E21rocsparse_complex_numIdEEEvi20rocsparse_direction_NS_24const_host_device_scalarIT2_EEPKiS8_PKS5_SA_S6_PS5_21rocsparse_index_base_b,"axG",@progbits,_ZN9rocsparseL19gebsrmvn_2xn_kernelILj128ELj14ELj32E21rocsparse_complex_numIdEEEvi20rocsparse_direction_NS_24const_host_device_scalarIT2_EEPKiS8_PKS5_SA_S6_PS5_21rocsparse_index_base_b,comdat
	.globl	_ZN9rocsparseL19gebsrmvn_2xn_kernelILj128ELj14ELj32E21rocsparse_complex_numIdEEEvi20rocsparse_direction_NS_24const_host_device_scalarIT2_EEPKiS8_PKS5_SA_S6_PS5_21rocsparse_index_base_b ; -- Begin function _ZN9rocsparseL19gebsrmvn_2xn_kernelILj128ELj14ELj32E21rocsparse_complex_numIdEEEvi20rocsparse_direction_NS_24const_host_device_scalarIT2_EEPKiS8_PKS5_SA_S6_PS5_21rocsparse_index_base_b
	.p2align	8
	.type	_ZN9rocsparseL19gebsrmvn_2xn_kernelILj128ELj14ELj32E21rocsparse_complex_numIdEEEvi20rocsparse_direction_NS_24const_host_device_scalarIT2_EEPKiS8_PKS5_SA_S6_PS5_21rocsparse_index_base_b,@function
_ZN9rocsparseL19gebsrmvn_2xn_kernelILj128ELj14ELj32E21rocsparse_complex_numIdEEEvi20rocsparse_direction_NS_24const_host_device_scalarIT2_EEPKiS8_PKS5_SA_S6_PS5_21rocsparse_index_base_b: ; @_ZN9rocsparseL19gebsrmvn_2xn_kernelILj128ELj14ELj32E21rocsparse_complex_numIdEEEvi20rocsparse_direction_NS_24const_host_device_scalarIT2_EEPKiS8_PKS5_SA_S6_PS5_21rocsparse_index_base_b
; %bb.0:
	s_load_dwordx2 s[16:17], s[2:3], 0x50
	s_load_dwordx4 s[12:15], s[2:3], 0x8
	s_load_dwordx4 s[8:11], s[2:3], 0x38
	s_load_dwordx2 s[18:19], s[0:1], 0x4
	s_mov_b64 s[6:7], src_shared_base
	s_waitcnt lgkmcnt(0)
	s_bitcmp1_b32 s17, 0
	s_cselect_b64 s[0:1], -1, 0
	s_and_b64 vcc, s[0:1], exec
	s_cselect_b32 s5, s7, s13
	s_lshr_b32 s6, s18, 16
	v_bfe_u32 v1, v0, 10, 10
	v_and_b32_e32 v10, 0x3ff, v0
	s_mul_i32 s6, s6, s19
	v_mul_u32_u24_e32 v1, s19, v1
	v_mad_u32_u24 v1, s6, v10, v1
	v_bfe_u32 v0, v0, 20, 10
	v_add_lshl_u32 v4, v1, v0, 3
	v_mov_b32_e32 v5, s12
	v_add_u32_e32 v6, 0x400, v4
	v_mov_b64_e32 v[0:1], s[12:13]
	v_mov_b64_e32 v[2:3], s[8:9]
	ds_write2st64_b64 v4, v[2:3], v[0:1] offset1:2
	v_cndmask_b32_e64 v0, v5, v6, s[0:1]
	v_mov_b32_e32 v1, s5
	flat_load_dwordx2 v[0:1], v[0:1]
	s_xor_b64 s[18:19], s[0:1], -1
	v_mov_b64_e32 v[2:3], s[14:15]
	s_cbranch_vccnz .LBB291_2
; %bb.1:
	v_mov_b64_e32 v[2:3], s[12:13]
	flat_load_dwordx2 v[2:3], v[2:3] offset:8
.LBB291_2:
	s_and_b64 s[12:13], s[0:1], exec
	s_cselect_b32 s5, s7, s9
	v_mov_b32_e32 v5, s8
	v_cndmask_b32_e64 v4, v5, v4, s[0:1]
	v_mov_b32_e32 v5, s5
	flat_load_dwordx2 v[4:5], v[4:5]
	s_andn2_b64 vcc, exec, s[18:19]
	v_mov_b64_e32 v[6:7], s[10:11]
	s_cbranch_vccnz .LBB291_4
; %bb.3:
	v_mov_b64_e32 v[6:7], s[8:9]
	flat_load_dwordx2 v[6:7], v[6:7] offset:8
.LBB291_4:
	s_waitcnt vmcnt(0) lgkmcnt(0)
	v_cmp_eq_f64_e32 vcc, 0, v[0:1]
	v_cmp_eq_f64_e64 s[0:1], 0, v[2:3]
	s_and_b64 s[8:9], vcc, s[0:1]
	s_mov_b64 s[0:1], -1
	s_and_saveexec_b64 s[6:7], s[8:9]
; %bb.5:
	v_cmp_neq_f64_e32 vcc, 1.0, v[4:5]
	v_cmp_neq_f64_e64 s[0:1], 0, v[6:7]
	s_or_b64 s[0:1], vcc, s[0:1]
	s_orn2_b64 s[0:1], s[0:1], exec
; %bb.6:
	s_or_b64 exec, exec, s[6:7]
	s_and_saveexec_b64 s[6:7], s[0:1]
	s_cbranch_execz .LBB291_29
; %bb.7:
	s_load_dwordx2 s[0:1], s[2:3], 0x0
	v_lshrrev_b32_e32 v8, 5, v10
	v_lshl_or_b32 v8, s4, 2, v8
	s_waitcnt lgkmcnt(0)
	v_cmp_gt_i32_e32 vcc, s0, v8
	s_and_b64 exec, exec, vcc
	s_cbranch_execz .LBB291_29
; %bb.8:
	s_load_dwordx8 s[4:11], s[2:3], 0x18
	v_ashrrev_i32_e32 v9, 31, v8
	s_cmp_lg_u32 s1, 0
	s_waitcnt lgkmcnt(0)
	v_lshl_add_u64 v[12:13], v[8:9], 2, s[4:5]
	global_load_dwordx2 v[20:21], v[12:13], off
	v_and_b32_e32 v9, 31, v10
	s_waitcnt vmcnt(0)
	v_subrev_u32_e32 v10, s16, v20
	v_subrev_u32_e32 v26, s16, v21
	v_add_u32_e32 v16, v10, v9
	v_cmp_lt_i32_e64 s[0:1], v16, v26
	s_cbranch_scc0 .LBB291_16
; %bb.9:
	v_mov_b64_e32 v[12:13], 0
	s_mov_b64 s[4:5], 0
	v_mov_b64_e32 v[18:19], v[12:13]
	v_mov_b64_e32 v[14:15], v[12:13]
	;; [unrolled: 1-line block ×3, first 2 shown]
	s_and_saveexec_b64 s[12:13], s[0:1]
	s_cbranch_execz .LBB291_15
; %bb.10:
	v_mov_b64_e32 v[12:13], 0
	v_mul_lo_u32 v17, v16, 28
	s_mov_b64 s[14:15], 0
	v_mov_b32_e32 v23, 0
	v_mov_b32_e32 v24, v16
	v_mov_b64_e32 v[18:19], v[12:13]
	v_mov_b64_e32 v[14:15], v[12:13]
	;; [unrolled: 1-line block ×3, first 2 shown]
.LBB291_11:                             ; =>This Loop Header: Depth=1
                                        ;     Child Loop BB291_12 Depth 2
	v_ashrrev_i32_e32 v25, 31, v24
	v_lshl_add_u64 v[28:29], v[24:25], 2, s[6:7]
	global_load_dword v21, v[28:29], off
	v_mov_b32_e32 v22, v17
	s_mov_b32 s17, 0
	s_waitcnt vmcnt(0)
	v_subrev_u32_e32 v21, s16, v21
	v_mul_lo_u32 v21, v21, 14
.LBB291_12:                             ;   Parent Loop BB291_11 Depth=1
                                        ; =>  This Inner Loop Header: Depth=2
	v_lshl_add_u64 v[52:53], v[22:23], 4, s[8:9]
	v_add_u32_e32 v40, s17, v21
	v_mov_b32_e32 v41, v23
	global_load_dwordx4 v[28:31], v[52:53], off offset:32
	global_load_dwordx4 v[32:35], v[52:53], off offset:16
	global_load_dwordx4 v[36:39], v[52:53], off
	v_lshl_add_u64 v[54:55], v[40:41], 4, s[10:11]
	global_load_dwordx4 v[40:43], v[54:55], off
	global_load_dwordx4 v[44:47], v[54:55], off offset:16
	global_load_dwordx4 v[48:51], v[52:53], off offset:48
	s_add_i32 s17, s17, 2
	v_add_u32_e32 v22, 4, v22
	s_cmp_eq_u32 s17, 14
	s_waitcnt vmcnt(2)
	v_fmac_f64_e32 v[14:15], v[32:33], v[40:41]
	v_fmac_f64_e32 v[18:19], v[36:37], v[40:41]
	v_fmac_f64_e32 v[12:13], v[38:39], v[40:41]
	v_fmac_f64_e32 v[10:11], v[34:35], v[40:41]
	v_fma_f64 v[18:19], -v[38:39], v[42:43], v[18:19]
	v_fmac_f64_e32 v[12:13], v[36:37], v[42:43]
	v_fma_f64 v[14:15], -v[34:35], v[42:43], v[14:15]
	v_fmac_f64_e32 v[10:11], v[32:33], v[42:43]
	s_waitcnt vmcnt(1)
	v_fmac_f64_e32 v[18:19], v[28:29], v[44:45]
	v_fmac_f64_e32 v[12:13], v[30:31], v[44:45]
	s_waitcnt vmcnt(0)
	v_fmac_f64_e32 v[14:15], v[48:49], v[44:45]
	v_fmac_f64_e32 v[10:11], v[50:51], v[44:45]
	v_fma_f64 v[18:19], -v[30:31], v[46:47], v[18:19]
	v_fmac_f64_e32 v[12:13], v[28:29], v[46:47]
	v_fma_f64 v[14:15], -v[50:51], v[46:47], v[14:15]
	v_fmac_f64_e32 v[10:11], v[48:49], v[46:47]
	s_cbranch_scc0 .LBB291_12
; %bb.13:                               ;   in Loop: Header=BB291_11 Depth=1
	v_add_u32_e32 v24, 32, v24
	v_cmp_ge_i32_e32 vcc, v24, v26
	s_or_b64 s[14:15], vcc, s[14:15]
	v_add_u32_e32 v17, 0x380, v17
	s_andn2_b64 exec, exec, s[14:15]
	s_cbranch_execnz .LBB291_11
; %bb.14:
	s_or_b64 exec, exec, s[14:15]
.LBB291_15:
	s_or_b64 exec, exec, s[12:13]
	s_andn2_b64 vcc, exec, s[4:5]
	s_cbranch_vccz .LBB291_17
	s_branch .LBB291_24
.LBB291_16:
                                        ; implicit-def: $vgpr12_vgpr13
                                        ; implicit-def: $vgpr18_vgpr19
                                        ; implicit-def: $vgpr14_vgpr15
                                        ; implicit-def: $vgpr10_vgpr11
.LBB291_17:
	v_mov_b64_e32 v[12:13], 0
	v_mov_b64_e32 v[18:19], v[12:13]
	;; [unrolled: 1-line block ×4, first 2 shown]
	s_and_saveexec_b64 s[4:5], s[0:1]
	s_cbranch_execz .LBB291_23
; %bb.18:
	v_mul_lo_u32 v10, v20, 28
	v_mad_u32_u24 v10, v9, 28, v10
	s_mul_i32 s0, s16, 28
	v_mov_b64_e32 v[12:13], 0
	v_mul_lo_u32 v22, v16, 28
	v_subrev_u32_e32 v23, s0, v10
	s_mov_b64 s[0:1], 0
	v_mov_b32_e32 v21, 0
	v_mov_b64_e32 v[18:19], v[12:13]
	v_mov_b64_e32 v[14:15], v[12:13]
	;; [unrolled: 1-line block ×3, first 2 shown]
.LBB291_19:                             ; =>This Loop Header: Depth=1
                                        ;     Child Loop BB291_20 Depth 2
	v_ashrrev_i32_e32 v17, 31, v16
	v_lshl_add_u64 v[24:25], v[16:17], 2, s[6:7]
	global_load_dword v17, v[24:25], off
	s_mov_b32 s12, 0
	s_waitcnt vmcnt(0)
	v_subrev_u32_e32 v17, s16, v17
	v_mul_lo_u32 v17, v17, 14
.LBB291_20:                             ;   Parent Loop BB291_19 Depth=1
                                        ; =>  This Inner Loop Header: Depth=2
	v_add_u32_e32 v20, s12, v23
	v_lshl_add_u64 v[24:25], v[20:21], 4, s[8:9]
	v_add_u32_e32 v20, s12, v17
	global_load_dwordx4 v[28:31], v[24:25], off offset:16
	global_load_dwordx4 v[32:35], v[24:25], off
	v_lshl_add_u64 v[24:25], v[20:21], 4, s[10:11]
	v_add3_u32 v20, v22, s12, 14
	global_load_dwordx4 v[36:39], v[24:25], off
	global_load_dwordx4 v[40:43], v[24:25], off offset:16
	v_lshl_add_u64 v[24:25], v[20:21], 4, s[8:9]
	global_load_dwordx4 v[44:47], v[24:25], off
	global_load_dwordx4 v[48:51], v[24:25], off offset:16
	s_add_i32 s12, s12, 2
	s_cmp_eq_u32 s12, 14
	s_waitcnt vmcnt(3)
	v_fmac_f64_e32 v[18:19], v[32:33], v[36:37]
	v_fmac_f64_e32 v[12:13], v[34:35], v[36:37]
	s_waitcnt vmcnt(1)
	v_fmac_f64_e32 v[14:15], v[44:45], v[36:37]
	v_fmac_f64_e32 v[10:11], v[46:47], v[36:37]
	v_fma_f64 v[18:19], -v[34:35], v[38:39], v[18:19]
	v_fmac_f64_e32 v[12:13], v[32:33], v[38:39]
	v_fma_f64 v[14:15], -v[46:47], v[38:39], v[14:15]
	v_fmac_f64_e32 v[10:11], v[44:45], v[38:39]
	v_fmac_f64_e32 v[18:19], v[28:29], v[40:41]
	;; [unrolled: 1-line block ×3, first 2 shown]
	s_waitcnt vmcnt(0)
	v_fmac_f64_e32 v[14:15], v[48:49], v[40:41]
	v_fmac_f64_e32 v[10:11], v[50:51], v[40:41]
	v_fma_f64 v[18:19], -v[30:31], v[42:43], v[18:19]
	v_fmac_f64_e32 v[12:13], v[28:29], v[42:43]
	v_fma_f64 v[14:15], -v[50:51], v[42:43], v[14:15]
	v_fmac_f64_e32 v[10:11], v[48:49], v[42:43]
	s_cbranch_scc0 .LBB291_20
; %bb.21:                               ;   in Loop: Header=BB291_19 Depth=1
	v_add_u32_e32 v16, 32, v16
	v_cmp_ge_i32_e32 vcc, v16, v26
	v_add_u32_e32 v22, 0x380, v22
	s_or_b64 s[0:1], vcc, s[0:1]
	v_add_u32_e32 v23, 0x380, v23
	s_andn2_b64 exec, exec, s[0:1]
	s_cbranch_execnz .LBB291_19
; %bb.22:
	s_or_b64 exec, exec, s[0:1]
.LBB291_23:
	s_or_b64 exec, exec, s[4:5]
.LBB291_24:
	v_mov_b32_dpp v22, v14 row_shr:1 row_mask:0xf bank_mask:0xf
	v_mov_b32_dpp v23, v15 row_shr:1 row_mask:0xf bank_mask:0xf
	v_add_f64 v[14:15], v[14:15], v[22:23]
	v_mov_b32_dpp v16, v18 row_shr:1 row_mask:0xf bank_mask:0xf
	v_mov_b32_dpp v17, v19 row_shr:1 row_mask:0xf bank_mask:0xf
	;; [unrolled: 1-line block ×4, first 2 shown]
	v_add_f64 v[14:15], v[14:15], v[22:23]
	v_mov_b32_dpp v20, v12 row_shr:1 row_mask:0xf bank_mask:0xf
	v_mov_b32_dpp v21, v13 row_shr:1 row_mask:0xf bank_mask:0xf
	;; [unrolled: 1-line block ×4, first 2 shown]
	v_add_f64 v[14:15], v[14:15], v[22:23]
	v_add_f64 v[16:17], v[18:19], v[16:17]
	;; [unrolled: 1-line block ×3, first 2 shown]
	v_mov_b32_dpp v22, v14 row_shr:8 row_mask:0xf bank_mask:0xc
	v_mov_b32_dpp v23, v15 row_shr:8 row_mask:0xf bank_mask:0xc
	v_add_f64 v[22:23], v[14:15], v[22:23]
	v_mov_b32_dpp v14, v10 row_shr:1 row_mask:0xf bank_mask:0xf
	v_mov_b32_dpp v15, v11 row_shr:1 row_mask:0xf bank_mask:0xf
	v_add_f64 v[10:11], v[10:11], v[14:15]
	v_mov_b32_dpp v18, v16 row_shr:2 row_mask:0xf bank_mask:0xf
	v_mov_b32_dpp v19, v17 row_shr:2 row_mask:0xf bank_mask:0xf
	v_mov_b32_dpp v20, v12 row_shr:2 row_mask:0xf bank_mask:0xf
	v_mov_b32_dpp v21, v13 row_shr:2 row_mask:0xf bank_mask:0xf
	v_mov_b32_dpp v14, v10 row_shr:2 row_mask:0xf bank_mask:0xf
	v_mov_b32_dpp v15, v11 row_shr:2 row_mask:0xf bank_mask:0xf
	v_add_f64 v[16:17], v[16:17], v[18:19]
	v_add_f64 v[12:13], v[12:13], v[20:21]
	v_add_f64 v[10:11], v[10:11], v[14:15]
	v_mov_b32_dpp v18, v16 row_shr:4 row_mask:0xf bank_mask:0xe
	v_mov_b32_dpp v19, v17 row_shr:4 row_mask:0xf bank_mask:0xe
	v_mov_b32_dpp v20, v12 row_shr:4 row_mask:0xf bank_mask:0xe
	v_mov_b32_dpp v21, v13 row_shr:4 row_mask:0xf bank_mask:0xe
	v_mov_b32_dpp v14, v10 row_shr:4 row_mask:0xf bank_mask:0xe
	v_mov_b32_dpp v15, v11 row_shr:4 row_mask:0xf bank_mask:0xe
	v_add_f64 v[16:17], v[16:17], v[18:19]
	v_add_f64 v[12:13], v[12:13], v[20:21]
	;; [unrolled: 9-line block ×3, first 2 shown]
	v_add_f64 v[26:27], v[10:11], v[14:15]
	v_mov_b32_dpp v18, v16 row_bcast:15 row_mask:0xa bank_mask:0xf
	v_mov_b32_dpp v19, v17 row_bcast:15 row_mask:0xa bank_mask:0xf
	;; [unrolled: 1-line block ×8, first 2 shown]
	v_cmp_eq_u32_e32 vcc, 31, v9
	s_and_b64 exec, exec, vcc
	s_cbranch_execz .LBB291_29
; %bb.25:
	s_load_dwordx2 s[2:3], s[2:3], 0x48
	v_cmp_eq_f64_e32 vcc, 0, v[4:5]
	v_cmp_eq_f64_e64 s[0:1], 0, v[6:7]
	v_add_f64 v[14:15], v[16:17], v[18:19]
	v_add_f64 v[16:17], v[12:13], v[20:21]
	;; [unrolled: 1-line block ×4, first 2 shown]
	s_and_b64 s[0:1], vcc, s[0:1]
	s_and_saveexec_b64 s[4:5], s[0:1]
	s_xor_b64 s[0:1], exec, s[4:5]
	s_cbranch_execz .LBB291_27
; %bb.26:
	v_lshlrev_b32_e32 v8, 1, v8
	v_mul_f64 v[4:5], v[16:17], -v[2:3]
	v_mul_f64 v[6:7], v[0:1], v[16:17]
	v_ashrrev_i32_e32 v9, 31, v8
	v_fmac_f64_e32 v[4:5], v[0:1], v[14:15]
	v_fmac_f64_e32 v[6:7], v[2:3], v[14:15]
	s_waitcnt lgkmcnt(0)
	v_lshl_add_u64 v[8:9], v[8:9], 4, s[2:3]
	global_store_dwordx4 v[8:9], v[4:7], off
                                        ; implicit-def: $vgpr14_vgpr15
                                        ; implicit-def: $vgpr16_vgpr17
	s_nop 1
	v_mul_f64 v[4:5], v[12:13], -v[2:3]
	v_mul_f64 v[6:7], v[0:1], v[12:13]
	v_fmac_f64_e32 v[4:5], v[0:1], v[10:11]
	v_fmac_f64_e32 v[6:7], v[2:3], v[10:11]
	global_store_dwordx4 v[8:9], v[4:7], off offset:16
                                        ; implicit-def: $vgpr0_vgpr1
                                        ; implicit-def: $vgpr2_vgpr3
                                        ; implicit-def: $vgpr4_vgpr5
                                        ; implicit-def: $vgpr6_vgpr7
                                        ; implicit-def: $vgpr8
                                        ; implicit-def: $vgpr10_vgpr11
                                        ; implicit-def: $vgpr12_vgpr13
.LBB291_27:
	s_andn2_saveexec_b64 s[0:1], s[0:1]
	s_cbranch_execz .LBB291_29
; %bb.28:
	v_lshlrev_b32_e32 v8, 1, v8
	v_ashrrev_i32_e32 v9, 31, v8
	s_waitcnt lgkmcnt(0)
	v_lshl_add_u64 v[26:27], v[8:9], 4, s[2:3]
	global_load_dwordx4 v[18:21], v[26:27], off
	global_load_dwordx4 v[22:25], v[26:27], off offset:16
	v_mul_f64 v[28:29], v[16:17], -v[2:3]
	v_mul_f64 v[16:17], v[0:1], v[16:17]
	v_mul_f64 v[30:31], v[12:13], -v[2:3]
	v_mul_f64 v[8:9], v[0:1], v[12:13]
	v_fmac_f64_e32 v[28:29], v[0:1], v[14:15]
	v_fmac_f64_e32 v[16:17], v[2:3], v[14:15]
	;; [unrolled: 1-line block ×4, first 2 shown]
	s_waitcnt vmcnt(1)
	v_fmac_f64_e32 v[28:29], v[4:5], v[18:19]
	v_fmac_f64_e32 v[16:17], v[6:7], v[18:19]
	s_waitcnt vmcnt(0)
	v_fmac_f64_e32 v[30:31], v[4:5], v[22:23]
	v_fmac_f64_e32 v[8:9], v[6:7], v[22:23]
	v_fma_f64 v[14:15], -v[6:7], v[20:21], v[28:29]
	v_fmac_f64_e32 v[16:17], v[4:5], v[20:21]
	v_fma_f64 v[6:7], -v[6:7], v[24:25], v[30:31]
	v_fmac_f64_e32 v[8:9], v[4:5], v[24:25]
	global_store_dwordx4 v[26:27], v[14:17], off
	global_store_dwordx4 v[26:27], v[6:9], off offset:16
.LBB291_29:
	s_endpgm
	.section	.rodata,"a",@progbits
	.p2align	6, 0x0
	.amdhsa_kernel _ZN9rocsparseL19gebsrmvn_2xn_kernelILj128ELj14ELj32E21rocsparse_complex_numIdEEEvi20rocsparse_direction_NS_24const_host_device_scalarIT2_EEPKiS8_PKS5_SA_S6_PS5_21rocsparse_index_base_b
		.amdhsa_group_segment_fixed_size 2048
		.amdhsa_private_segment_fixed_size 0
		.amdhsa_kernarg_size 88
		.amdhsa_user_sgpr_count 4
		.amdhsa_user_sgpr_dispatch_ptr 1
		.amdhsa_user_sgpr_queue_ptr 0
		.amdhsa_user_sgpr_kernarg_segment_ptr 1
		.amdhsa_user_sgpr_dispatch_id 0
		.amdhsa_user_sgpr_kernarg_preload_length 0
		.amdhsa_user_sgpr_kernarg_preload_offset 0
		.amdhsa_user_sgpr_private_segment_size 0
		.amdhsa_uses_dynamic_stack 0
		.amdhsa_enable_private_segment 0
		.amdhsa_system_sgpr_workgroup_id_x 1
		.amdhsa_system_sgpr_workgroup_id_y 0
		.amdhsa_system_sgpr_workgroup_id_z 0
		.amdhsa_system_sgpr_workgroup_info 0
		.amdhsa_system_vgpr_workitem_id 2
		.amdhsa_next_free_vgpr 56
		.amdhsa_next_free_sgpr 20
		.amdhsa_accum_offset 56
		.amdhsa_reserve_vcc 1
		.amdhsa_float_round_mode_32 0
		.amdhsa_float_round_mode_16_64 0
		.amdhsa_float_denorm_mode_32 3
		.amdhsa_float_denorm_mode_16_64 3
		.amdhsa_dx10_clamp 1
		.amdhsa_ieee_mode 1
		.amdhsa_fp16_overflow 0
		.amdhsa_tg_split 0
		.amdhsa_exception_fp_ieee_invalid_op 0
		.amdhsa_exception_fp_denorm_src 0
		.amdhsa_exception_fp_ieee_div_zero 0
		.amdhsa_exception_fp_ieee_overflow 0
		.amdhsa_exception_fp_ieee_underflow 0
		.amdhsa_exception_fp_ieee_inexact 0
		.amdhsa_exception_int_div_zero 0
	.end_amdhsa_kernel
	.section	.text._ZN9rocsparseL19gebsrmvn_2xn_kernelILj128ELj14ELj32E21rocsparse_complex_numIdEEEvi20rocsparse_direction_NS_24const_host_device_scalarIT2_EEPKiS8_PKS5_SA_S6_PS5_21rocsparse_index_base_b,"axG",@progbits,_ZN9rocsparseL19gebsrmvn_2xn_kernelILj128ELj14ELj32E21rocsparse_complex_numIdEEEvi20rocsparse_direction_NS_24const_host_device_scalarIT2_EEPKiS8_PKS5_SA_S6_PS5_21rocsparse_index_base_b,comdat
.Lfunc_end291:
	.size	_ZN9rocsparseL19gebsrmvn_2xn_kernelILj128ELj14ELj32E21rocsparse_complex_numIdEEEvi20rocsparse_direction_NS_24const_host_device_scalarIT2_EEPKiS8_PKS5_SA_S6_PS5_21rocsparse_index_base_b, .Lfunc_end291-_ZN9rocsparseL19gebsrmvn_2xn_kernelILj128ELj14ELj32E21rocsparse_complex_numIdEEEvi20rocsparse_direction_NS_24const_host_device_scalarIT2_EEPKiS8_PKS5_SA_S6_PS5_21rocsparse_index_base_b
                                        ; -- End function
	.section	.AMDGPU.csdata,"",@progbits
; Kernel info:
; codeLenInByte = 1868
; NumSgprs: 26
; NumVgprs: 56
; NumAgprs: 0
; TotalNumVgprs: 56
; ScratchSize: 0
; MemoryBound: 0
; FloatMode: 240
; IeeeMode: 1
; LDSByteSize: 2048 bytes/workgroup (compile time only)
; SGPRBlocks: 3
; VGPRBlocks: 6
; NumSGPRsForWavesPerEU: 26
; NumVGPRsForWavesPerEU: 56
; AccumOffset: 56
; Occupancy: 8
; WaveLimiterHint : 1
; COMPUTE_PGM_RSRC2:SCRATCH_EN: 0
; COMPUTE_PGM_RSRC2:USER_SGPR: 4
; COMPUTE_PGM_RSRC2:TRAP_HANDLER: 0
; COMPUTE_PGM_RSRC2:TGID_X_EN: 1
; COMPUTE_PGM_RSRC2:TGID_Y_EN: 0
; COMPUTE_PGM_RSRC2:TGID_Z_EN: 0
; COMPUTE_PGM_RSRC2:TIDIG_COMP_CNT: 2
; COMPUTE_PGM_RSRC3_GFX90A:ACCUM_OFFSET: 13
; COMPUTE_PGM_RSRC3_GFX90A:TG_SPLIT: 0
	.section	.text._ZN9rocsparseL19gebsrmvn_2xn_kernelILj128ELj14ELj64E21rocsparse_complex_numIdEEEvi20rocsparse_direction_NS_24const_host_device_scalarIT2_EEPKiS8_PKS5_SA_S6_PS5_21rocsparse_index_base_b,"axG",@progbits,_ZN9rocsparseL19gebsrmvn_2xn_kernelILj128ELj14ELj64E21rocsparse_complex_numIdEEEvi20rocsparse_direction_NS_24const_host_device_scalarIT2_EEPKiS8_PKS5_SA_S6_PS5_21rocsparse_index_base_b,comdat
	.globl	_ZN9rocsparseL19gebsrmvn_2xn_kernelILj128ELj14ELj64E21rocsparse_complex_numIdEEEvi20rocsparse_direction_NS_24const_host_device_scalarIT2_EEPKiS8_PKS5_SA_S6_PS5_21rocsparse_index_base_b ; -- Begin function _ZN9rocsparseL19gebsrmvn_2xn_kernelILj128ELj14ELj64E21rocsparse_complex_numIdEEEvi20rocsparse_direction_NS_24const_host_device_scalarIT2_EEPKiS8_PKS5_SA_S6_PS5_21rocsparse_index_base_b
	.p2align	8
	.type	_ZN9rocsparseL19gebsrmvn_2xn_kernelILj128ELj14ELj64E21rocsparse_complex_numIdEEEvi20rocsparse_direction_NS_24const_host_device_scalarIT2_EEPKiS8_PKS5_SA_S6_PS5_21rocsparse_index_base_b,@function
_ZN9rocsparseL19gebsrmvn_2xn_kernelILj128ELj14ELj64E21rocsparse_complex_numIdEEEvi20rocsparse_direction_NS_24const_host_device_scalarIT2_EEPKiS8_PKS5_SA_S6_PS5_21rocsparse_index_base_b: ; @_ZN9rocsparseL19gebsrmvn_2xn_kernelILj128ELj14ELj64E21rocsparse_complex_numIdEEEvi20rocsparse_direction_NS_24const_host_device_scalarIT2_EEPKiS8_PKS5_SA_S6_PS5_21rocsparse_index_base_b
; %bb.0:
	s_load_dwordx2 s[16:17], s[2:3], 0x50
	s_load_dwordx4 s[12:15], s[2:3], 0x8
	s_load_dwordx4 s[8:11], s[2:3], 0x38
	s_load_dwordx2 s[18:19], s[0:1], 0x4
	s_mov_b64 s[6:7], src_shared_base
	s_waitcnt lgkmcnt(0)
	s_bitcmp1_b32 s17, 0
	s_cselect_b64 s[0:1], -1, 0
	s_and_b64 vcc, s[0:1], exec
	s_cselect_b32 s5, s7, s13
	s_lshr_b32 s6, s18, 16
	v_bfe_u32 v1, v0, 10, 10
	v_and_b32_e32 v10, 0x3ff, v0
	s_mul_i32 s6, s6, s19
	v_mul_u32_u24_e32 v1, s19, v1
	v_mad_u32_u24 v1, s6, v10, v1
	v_bfe_u32 v0, v0, 20, 10
	v_add_lshl_u32 v4, v1, v0, 3
	v_mov_b32_e32 v5, s12
	v_add_u32_e32 v6, 0x400, v4
	v_mov_b64_e32 v[0:1], s[12:13]
	v_mov_b64_e32 v[2:3], s[8:9]
	ds_write2st64_b64 v4, v[2:3], v[0:1] offset1:2
	v_cndmask_b32_e64 v0, v5, v6, s[0:1]
	v_mov_b32_e32 v1, s5
	flat_load_dwordx2 v[0:1], v[0:1]
	s_xor_b64 s[18:19], s[0:1], -1
	v_mov_b64_e32 v[2:3], s[14:15]
	s_cbranch_vccnz .LBB292_2
; %bb.1:
	v_mov_b64_e32 v[2:3], s[12:13]
	flat_load_dwordx2 v[2:3], v[2:3] offset:8
.LBB292_2:
	s_and_b64 s[12:13], s[0:1], exec
	s_cselect_b32 s5, s7, s9
	v_mov_b32_e32 v5, s8
	v_cndmask_b32_e64 v4, v5, v4, s[0:1]
	v_mov_b32_e32 v5, s5
	flat_load_dwordx2 v[4:5], v[4:5]
	s_andn2_b64 vcc, exec, s[18:19]
	v_mov_b64_e32 v[6:7], s[10:11]
	s_cbranch_vccnz .LBB292_4
; %bb.3:
	v_mov_b64_e32 v[6:7], s[8:9]
	flat_load_dwordx2 v[6:7], v[6:7] offset:8
.LBB292_4:
	s_waitcnt vmcnt(0) lgkmcnt(0)
	v_cmp_eq_f64_e32 vcc, 0, v[0:1]
	v_cmp_eq_f64_e64 s[0:1], 0, v[2:3]
	s_and_b64 s[8:9], vcc, s[0:1]
	s_mov_b64 s[0:1], -1
	s_and_saveexec_b64 s[6:7], s[8:9]
; %bb.5:
	v_cmp_neq_f64_e32 vcc, 1.0, v[4:5]
	v_cmp_neq_f64_e64 s[0:1], 0, v[6:7]
	s_or_b64 s[0:1], vcc, s[0:1]
	s_orn2_b64 s[0:1], s[0:1], exec
; %bb.6:
	s_or_b64 exec, exec, s[6:7]
	s_and_saveexec_b64 s[6:7], s[0:1]
	s_cbranch_execz .LBB292_29
; %bb.7:
	s_load_dwordx2 s[0:1], s[2:3], 0x0
	v_lshrrev_b32_e32 v8, 6, v10
	v_lshl_or_b32 v8, s4, 1, v8
	s_waitcnt lgkmcnt(0)
	v_cmp_gt_i32_e32 vcc, s0, v8
	s_and_b64 exec, exec, vcc
	s_cbranch_execz .LBB292_29
; %bb.8:
	s_load_dwordx8 s[4:11], s[2:3], 0x18
	v_ashrrev_i32_e32 v9, 31, v8
	s_cmp_lg_u32 s1, 0
	s_waitcnt lgkmcnt(0)
	v_lshl_add_u64 v[12:13], v[8:9], 2, s[4:5]
	global_load_dwordx2 v[20:21], v[12:13], off
	v_and_b32_e32 v9, 63, v10
	s_waitcnt vmcnt(0)
	v_subrev_u32_e32 v10, s16, v20
	v_subrev_u32_e32 v26, s16, v21
	v_add_u32_e32 v16, v10, v9
	v_cmp_lt_i32_e64 s[0:1], v16, v26
	s_cbranch_scc0 .LBB292_16
; %bb.9:
	v_mov_b64_e32 v[12:13], 0
	s_mov_b64 s[4:5], 0
	v_mov_b64_e32 v[18:19], v[12:13]
	v_mov_b64_e32 v[14:15], v[12:13]
	;; [unrolled: 1-line block ×3, first 2 shown]
	s_and_saveexec_b64 s[12:13], s[0:1]
	s_cbranch_execz .LBB292_15
; %bb.10:
	v_mov_b64_e32 v[12:13], 0
	v_mul_lo_u32 v17, v16, 28
	s_mov_b64 s[14:15], 0
	v_mov_b32_e32 v23, 0
	v_mov_b32_e32 v24, v16
	v_mov_b64_e32 v[18:19], v[12:13]
	v_mov_b64_e32 v[14:15], v[12:13]
	;; [unrolled: 1-line block ×3, first 2 shown]
.LBB292_11:                             ; =>This Loop Header: Depth=1
                                        ;     Child Loop BB292_12 Depth 2
	v_ashrrev_i32_e32 v25, 31, v24
	v_lshl_add_u64 v[28:29], v[24:25], 2, s[6:7]
	global_load_dword v21, v[28:29], off
	v_mov_b32_e32 v22, v17
	s_mov_b32 s17, 0
	s_waitcnt vmcnt(0)
	v_subrev_u32_e32 v21, s16, v21
	v_mul_lo_u32 v21, v21, 14
.LBB292_12:                             ;   Parent Loop BB292_11 Depth=1
                                        ; =>  This Inner Loop Header: Depth=2
	v_lshl_add_u64 v[52:53], v[22:23], 4, s[8:9]
	v_add_u32_e32 v40, s17, v21
	v_mov_b32_e32 v41, v23
	global_load_dwordx4 v[28:31], v[52:53], off offset:32
	global_load_dwordx4 v[32:35], v[52:53], off offset:16
	global_load_dwordx4 v[36:39], v[52:53], off
	v_lshl_add_u64 v[54:55], v[40:41], 4, s[10:11]
	global_load_dwordx4 v[40:43], v[54:55], off
	global_load_dwordx4 v[44:47], v[54:55], off offset:16
	global_load_dwordx4 v[48:51], v[52:53], off offset:48
	s_add_i32 s17, s17, 2
	v_add_u32_e32 v22, 4, v22
	s_cmp_eq_u32 s17, 14
	s_waitcnt vmcnt(2)
	v_fmac_f64_e32 v[14:15], v[32:33], v[40:41]
	v_fmac_f64_e32 v[18:19], v[36:37], v[40:41]
	;; [unrolled: 1-line block ×4, first 2 shown]
	v_fma_f64 v[18:19], -v[38:39], v[42:43], v[18:19]
	v_fmac_f64_e32 v[12:13], v[36:37], v[42:43]
	v_fma_f64 v[14:15], -v[34:35], v[42:43], v[14:15]
	v_fmac_f64_e32 v[10:11], v[32:33], v[42:43]
	s_waitcnt vmcnt(1)
	v_fmac_f64_e32 v[18:19], v[28:29], v[44:45]
	v_fmac_f64_e32 v[12:13], v[30:31], v[44:45]
	s_waitcnt vmcnt(0)
	v_fmac_f64_e32 v[14:15], v[48:49], v[44:45]
	v_fmac_f64_e32 v[10:11], v[50:51], v[44:45]
	v_fma_f64 v[18:19], -v[30:31], v[46:47], v[18:19]
	v_fmac_f64_e32 v[12:13], v[28:29], v[46:47]
	v_fma_f64 v[14:15], -v[50:51], v[46:47], v[14:15]
	v_fmac_f64_e32 v[10:11], v[48:49], v[46:47]
	s_cbranch_scc0 .LBB292_12
; %bb.13:                               ;   in Loop: Header=BB292_11 Depth=1
	v_add_u32_e32 v24, 64, v24
	v_cmp_ge_i32_e32 vcc, v24, v26
	s_or_b64 s[14:15], vcc, s[14:15]
	v_add_u32_e32 v17, 0x700, v17
	s_andn2_b64 exec, exec, s[14:15]
	s_cbranch_execnz .LBB292_11
; %bb.14:
	s_or_b64 exec, exec, s[14:15]
.LBB292_15:
	s_or_b64 exec, exec, s[12:13]
	s_andn2_b64 vcc, exec, s[4:5]
	s_cbranch_vccz .LBB292_17
	s_branch .LBB292_24
.LBB292_16:
                                        ; implicit-def: $vgpr12_vgpr13
                                        ; implicit-def: $vgpr18_vgpr19
                                        ; implicit-def: $vgpr14_vgpr15
                                        ; implicit-def: $vgpr10_vgpr11
.LBB292_17:
	v_mov_b64_e32 v[12:13], 0
	v_mov_b64_e32 v[18:19], v[12:13]
	;; [unrolled: 1-line block ×4, first 2 shown]
	s_and_saveexec_b64 s[4:5], s[0:1]
	s_cbranch_execz .LBB292_23
; %bb.18:
	v_mul_lo_u32 v10, v20, 28
	v_mad_u32_u24 v10, v9, 28, v10
	s_mul_i32 s0, s16, 28
	v_mov_b64_e32 v[12:13], 0
	v_mul_lo_u32 v22, v16, 28
	v_subrev_u32_e32 v23, s0, v10
	s_mov_b64 s[0:1], 0
	v_mov_b32_e32 v21, 0
	v_mov_b64_e32 v[18:19], v[12:13]
	v_mov_b64_e32 v[14:15], v[12:13]
	;; [unrolled: 1-line block ×3, first 2 shown]
.LBB292_19:                             ; =>This Loop Header: Depth=1
                                        ;     Child Loop BB292_20 Depth 2
	v_ashrrev_i32_e32 v17, 31, v16
	v_lshl_add_u64 v[24:25], v[16:17], 2, s[6:7]
	global_load_dword v17, v[24:25], off
	s_mov_b32 s12, 0
	s_waitcnt vmcnt(0)
	v_subrev_u32_e32 v17, s16, v17
	v_mul_lo_u32 v17, v17, 14
.LBB292_20:                             ;   Parent Loop BB292_19 Depth=1
                                        ; =>  This Inner Loop Header: Depth=2
	v_add_u32_e32 v20, s12, v23
	v_lshl_add_u64 v[24:25], v[20:21], 4, s[8:9]
	v_add_u32_e32 v20, s12, v17
	global_load_dwordx4 v[28:31], v[24:25], off offset:16
	global_load_dwordx4 v[32:35], v[24:25], off
	v_lshl_add_u64 v[24:25], v[20:21], 4, s[10:11]
	v_add3_u32 v20, v22, s12, 14
	global_load_dwordx4 v[36:39], v[24:25], off
	global_load_dwordx4 v[40:43], v[24:25], off offset:16
	v_lshl_add_u64 v[24:25], v[20:21], 4, s[8:9]
	global_load_dwordx4 v[44:47], v[24:25], off
	global_load_dwordx4 v[48:51], v[24:25], off offset:16
	s_add_i32 s12, s12, 2
	s_cmp_eq_u32 s12, 14
	s_waitcnt vmcnt(3)
	v_fmac_f64_e32 v[18:19], v[32:33], v[36:37]
	v_fmac_f64_e32 v[12:13], v[34:35], v[36:37]
	s_waitcnt vmcnt(1)
	v_fmac_f64_e32 v[14:15], v[44:45], v[36:37]
	v_fmac_f64_e32 v[10:11], v[46:47], v[36:37]
	v_fma_f64 v[18:19], -v[34:35], v[38:39], v[18:19]
	v_fmac_f64_e32 v[12:13], v[32:33], v[38:39]
	v_fma_f64 v[14:15], -v[46:47], v[38:39], v[14:15]
	v_fmac_f64_e32 v[10:11], v[44:45], v[38:39]
	v_fmac_f64_e32 v[18:19], v[28:29], v[40:41]
	;; [unrolled: 1-line block ×3, first 2 shown]
	s_waitcnt vmcnt(0)
	v_fmac_f64_e32 v[14:15], v[48:49], v[40:41]
	v_fmac_f64_e32 v[10:11], v[50:51], v[40:41]
	v_fma_f64 v[18:19], -v[30:31], v[42:43], v[18:19]
	v_fmac_f64_e32 v[12:13], v[28:29], v[42:43]
	v_fma_f64 v[14:15], -v[50:51], v[42:43], v[14:15]
	v_fmac_f64_e32 v[10:11], v[48:49], v[42:43]
	s_cbranch_scc0 .LBB292_20
; %bb.21:                               ;   in Loop: Header=BB292_19 Depth=1
	v_add_u32_e32 v16, 64, v16
	v_cmp_ge_i32_e32 vcc, v16, v26
	v_add_u32_e32 v22, 0x700, v22
	s_or_b64 s[0:1], vcc, s[0:1]
	v_add_u32_e32 v23, 0x700, v23
	s_andn2_b64 exec, exec, s[0:1]
	s_cbranch_execnz .LBB292_19
; %bb.22:
	s_or_b64 exec, exec, s[0:1]
.LBB292_23:
	s_or_b64 exec, exec, s[4:5]
.LBB292_24:
	v_mov_b32_dpp v22, v14 row_shr:1 row_mask:0xf bank_mask:0xf
	v_mov_b32_dpp v23, v15 row_shr:1 row_mask:0xf bank_mask:0xf
	v_add_f64 v[14:15], v[14:15], v[22:23]
	v_mov_b32_dpp v16, v18 row_shr:1 row_mask:0xf bank_mask:0xf
	v_mov_b32_dpp v17, v19 row_shr:1 row_mask:0xf bank_mask:0xf
	;; [unrolled: 1-line block ×4, first 2 shown]
	v_add_f64 v[14:15], v[14:15], v[22:23]
	v_mov_b32_dpp v20, v12 row_shr:1 row_mask:0xf bank_mask:0xf
	v_mov_b32_dpp v21, v13 row_shr:1 row_mask:0xf bank_mask:0xf
	;; [unrolled: 1-line block ×4, first 2 shown]
	v_add_f64 v[14:15], v[14:15], v[22:23]
	v_add_f64 v[16:17], v[18:19], v[16:17]
	v_add_f64 v[12:13], v[12:13], v[20:21]
	v_mov_b32_dpp v22, v14 row_shr:8 row_mask:0xf bank_mask:0xc
	v_mov_b32_dpp v23, v15 row_shr:8 row_mask:0xf bank_mask:0xc
	v_add_f64 v[14:15], v[14:15], v[22:23]
	v_mov_b32_dpp v18, v16 row_shr:2 row_mask:0xf bank_mask:0xf
	v_mov_b32_dpp v19, v17 row_shr:2 row_mask:0xf bank_mask:0xf
	v_mov_b32_dpp v22, v14 row_bcast:15 row_mask:0xa bank_mask:0xf
	v_mov_b32_dpp v23, v15 row_bcast:15 row_mask:0xa bank_mask:0xf
	v_add_f64 v[22:23], v[14:15], v[22:23]
	v_mov_b32_dpp v14, v10 row_shr:1 row_mask:0xf bank_mask:0xf
	v_mov_b32_dpp v15, v11 row_shr:1 row_mask:0xf bank_mask:0xf
	v_add_f64 v[10:11], v[10:11], v[14:15]
	v_mov_b32_dpp v20, v12 row_shr:2 row_mask:0xf bank_mask:0xf
	v_mov_b32_dpp v21, v13 row_shr:2 row_mask:0xf bank_mask:0xf
	;; [unrolled: 1-line block ×4, first 2 shown]
	v_add_f64 v[16:17], v[16:17], v[18:19]
	v_add_f64 v[12:13], v[12:13], v[20:21]
	;; [unrolled: 1-line block ×3, first 2 shown]
	v_mov_b32_dpp v18, v16 row_shr:4 row_mask:0xf bank_mask:0xe
	v_mov_b32_dpp v19, v17 row_shr:4 row_mask:0xf bank_mask:0xe
	;; [unrolled: 1-line block ×6, first 2 shown]
	v_add_f64 v[16:17], v[16:17], v[18:19]
	v_add_f64 v[12:13], v[12:13], v[20:21]
	;; [unrolled: 1-line block ×3, first 2 shown]
	v_mov_b32_dpp v18, v16 row_shr:8 row_mask:0xf bank_mask:0xc
	v_mov_b32_dpp v19, v17 row_shr:8 row_mask:0xf bank_mask:0xc
	;; [unrolled: 1-line block ×6, first 2 shown]
	v_add_f64 v[16:17], v[16:17], v[18:19]
	v_add_f64 v[12:13], v[12:13], v[20:21]
	;; [unrolled: 1-line block ×3, first 2 shown]
	v_mov_b32_dpp v18, v16 row_bcast:15 row_mask:0xa bank_mask:0xf
	v_mov_b32_dpp v19, v17 row_bcast:15 row_mask:0xa bank_mask:0xf
	;; [unrolled: 1-line block ×6, first 2 shown]
	v_add_f64 v[16:17], v[16:17], v[18:19]
	v_add_f64 v[12:13], v[12:13], v[20:21]
	;; [unrolled: 1-line block ×3, first 2 shown]
	v_mov_b32_dpp v18, v16 row_bcast:31 row_mask:0xc bank_mask:0xf
	v_mov_b32_dpp v19, v17 row_bcast:31 row_mask:0xc bank_mask:0xf
	;; [unrolled: 1-line block ×8, first 2 shown]
	v_cmp_eq_u32_e32 vcc, 63, v9
	s_and_b64 exec, exec, vcc
	s_cbranch_execz .LBB292_29
; %bb.25:
	s_load_dwordx2 s[2:3], s[2:3], 0x48
	v_cmp_eq_f64_e32 vcc, 0, v[4:5]
	v_cmp_eq_f64_e64 s[0:1], 0, v[6:7]
	v_add_f64 v[14:15], v[16:17], v[18:19]
	v_add_f64 v[16:17], v[12:13], v[20:21]
	;; [unrolled: 1-line block ×4, first 2 shown]
	s_and_b64 s[0:1], vcc, s[0:1]
	s_and_saveexec_b64 s[4:5], s[0:1]
	s_xor_b64 s[0:1], exec, s[4:5]
	s_cbranch_execz .LBB292_27
; %bb.26:
	v_lshlrev_b32_e32 v8, 1, v8
	v_mul_f64 v[4:5], v[16:17], -v[2:3]
	v_mul_f64 v[6:7], v[0:1], v[16:17]
	v_ashrrev_i32_e32 v9, 31, v8
	v_fmac_f64_e32 v[4:5], v[0:1], v[14:15]
	v_fmac_f64_e32 v[6:7], v[2:3], v[14:15]
	s_waitcnt lgkmcnt(0)
	v_lshl_add_u64 v[8:9], v[8:9], 4, s[2:3]
	global_store_dwordx4 v[8:9], v[4:7], off
                                        ; implicit-def: $vgpr14_vgpr15
                                        ; implicit-def: $vgpr16_vgpr17
	s_nop 1
	v_mul_f64 v[4:5], v[12:13], -v[2:3]
	v_mul_f64 v[6:7], v[0:1], v[12:13]
	v_fmac_f64_e32 v[4:5], v[0:1], v[10:11]
	v_fmac_f64_e32 v[6:7], v[2:3], v[10:11]
	global_store_dwordx4 v[8:9], v[4:7], off offset:16
                                        ; implicit-def: $vgpr0_vgpr1
                                        ; implicit-def: $vgpr2_vgpr3
                                        ; implicit-def: $vgpr4_vgpr5
                                        ; implicit-def: $vgpr6_vgpr7
                                        ; implicit-def: $vgpr8
                                        ; implicit-def: $vgpr10_vgpr11
                                        ; implicit-def: $vgpr12_vgpr13
.LBB292_27:
	s_andn2_saveexec_b64 s[0:1], s[0:1]
	s_cbranch_execz .LBB292_29
; %bb.28:
	v_lshlrev_b32_e32 v8, 1, v8
	v_ashrrev_i32_e32 v9, 31, v8
	s_waitcnt lgkmcnt(0)
	v_lshl_add_u64 v[26:27], v[8:9], 4, s[2:3]
	global_load_dwordx4 v[18:21], v[26:27], off
	global_load_dwordx4 v[22:25], v[26:27], off offset:16
	v_mul_f64 v[28:29], v[16:17], -v[2:3]
	v_mul_f64 v[16:17], v[0:1], v[16:17]
	v_mul_f64 v[30:31], v[12:13], -v[2:3]
	v_mul_f64 v[8:9], v[0:1], v[12:13]
	v_fmac_f64_e32 v[28:29], v[0:1], v[14:15]
	v_fmac_f64_e32 v[16:17], v[2:3], v[14:15]
	;; [unrolled: 1-line block ×4, first 2 shown]
	s_waitcnt vmcnt(1)
	v_fmac_f64_e32 v[28:29], v[4:5], v[18:19]
	v_fmac_f64_e32 v[16:17], v[6:7], v[18:19]
	s_waitcnt vmcnt(0)
	v_fmac_f64_e32 v[30:31], v[4:5], v[22:23]
	v_fmac_f64_e32 v[8:9], v[6:7], v[22:23]
	v_fma_f64 v[14:15], -v[6:7], v[20:21], v[28:29]
	v_fmac_f64_e32 v[16:17], v[4:5], v[20:21]
	v_fma_f64 v[6:7], -v[6:7], v[24:25], v[30:31]
	v_fmac_f64_e32 v[8:9], v[4:5], v[24:25]
	global_store_dwordx4 v[26:27], v[14:17], off
	global_store_dwordx4 v[26:27], v[6:9], off offset:16
.LBB292_29:
	s_endpgm
	.section	.rodata,"a",@progbits
	.p2align	6, 0x0
	.amdhsa_kernel _ZN9rocsparseL19gebsrmvn_2xn_kernelILj128ELj14ELj64E21rocsparse_complex_numIdEEEvi20rocsparse_direction_NS_24const_host_device_scalarIT2_EEPKiS8_PKS5_SA_S6_PS5_21rocsparse_index_base_b
		.amdhsa_group_segment_fixed_size 2048
		.amdhsa_private_segment_fixed_size 0
		.amdhsa_kernarg_size 88
		.amdhsa_user_sgpr_count 4
		.amdhsa_user_sgpr_dispatch_ptr 1
		.amdhsa_user_sgpr_queue_ptr 0
		.amdhsa_user_sgpr_kernarg_segment_ptr 1
		.amdhsa_user_sgpr_dispatch_id 0
		.amdhsa_user_sgpr_kernarg_preload_length 0
		.amdhsa_user_sgpr_kernarg_preload_offset 0
		.amdhsa_user_sgpr_private_segment_size 0
		.amdhsa_uses_dynamic_stack 0
		.amdhsa_enable_private_segment 0
		.amdhsa_system_sgpr_workgroup_id_x 1
		.amdhsa_system_sgpr_workgroup_id_y 0
		.amdhsa_system_sgpr_workgroup_id_z 0
		.amdhsa_system_sgpr_workgroup_info 0
		.amdhsa_system_vgpr_workitem_id 2
		.amdhsa_next_free_vgpr 56
		.amdhsa_next_free_sgpr 20
		.amdhsa_accum_offset 56
		.amdhsa_reserve_vcc 1
		.amdhsa_float_round_mode_32 0
		.amdhsa_float_round_mode_16_64 0
		.amdhsa_float_denorm_mode_32 3
		.amdhsa_float_denorm_mode_16_64 3
		.amdhsa_dx10_clamp 1
		.amdhsa_ieee_mode 1
		.amdhsa_fp16_overflow 0
		.amdhsa_tg_split 0
		.amdhsa_exception_fp_ieee_invalid_op 0
		.amdhsa_exception_fp_denorm_src 0
		.amdhsa_exception_fp_ieee_div_zero 0
		.amdhsa_exception_fp_ieee_overflow 0
		.amdhsa_exception_fp_ieee_underflow 0
		.amdhsa_exception_fp_ieee_inexact 0
		.amdhsa_exception_int_div_zero 0
	.end_amdhsa_kernel
	.section	.text._ZN9rocsparseL19gebsrmvn_2xn_kernelILj128ELj14ELj64E21rocsparse_complex_numIdEEEvi20rocsparse_direction_NS_24const_host_device_scalarIT2_EEPKiS8_PKS5_SA_S6_PS5_21rocsparse_index_base_b,"axG",@progbits,_ZN9rocsparseL19gebsrmvn_2xn_kernelILj128ELj14ELj64E21rocsparse_complex_numIdEEEvi20rocsparse_direction_NS_24const_host_device_scalarIT2_EEPKiS8_PKS5_SA_S6_PS5_21rocsparse_index_base_b,comdat
.Lfunc_end292:
	.size	_ZN9rocsparseL19gebsrmvn_2xn_kernelILj128ELj14ELj64E21rocsparse_complex_numIdEEEvi20rocsparse_direction_NS_24const_host_device_scalarIT2_EEPKiS8_PKS5_SA_S6_PS5_21rocsparse_index_base_b, .Lfunc_end292-_ZN9rocsparseL19gebsrmvn_2xn_kernelILj128ELj14ELj64E21rocsparse_complex_numIdEEEvi20rocsparse_direction_NS_24const_host_device_scalarIT2_EEPKiS8_PKS5_SA_S6_PS5_21rocsparse_index_base_b
                                        ; -- End function
	.section	.AMDGPU.csdata,"",@progbits
; Kernel info:
; codeLenInByte = 1964
; NumSgprs: 26
; NumVgprs: 56
; NumAgprs: 0
; TotalNumVgprs: 56
; ScratchSize: 0
; MemoryBound: 0
; FloatMode: 240
; IeeeMode: 1
; LDSByteSize: 2048 bytes/workgroup (compile time only)
; SGPRBlocks: 3
; VGPRBlocks: 6
; NumSGPRsForWavesPerEU: 26
; NumVGPRsForWavesPerEU: 56
; AccumOffset: 56
; Occupancy: 8
; WaveLimiterHint : 1
; COMPUTE_PGM_RSRC2:SCRATCH_EN: 0
; COMPUTE_PGM_RSRC2:USER_SGPR: 4
; COMPUTE_PGM_RSRC2:TRAP_HANDLER: 0
; COMPUTE_PGM_RSRC2:TGID_X_EN: 1
; COMPUTE_PGM_RSRC2:TGID_Y_EN: 0
; COMPUTE_PGM_RSRC2:TGID_Z_EN: 0
; COMPUTE_PGM_RSRC2:TIDIG_COMP_CNT: 2
; COMPUTE_PGM_RSRC3_GFX90A:ACCUM_OFFSET: 13
; COMPUTE_PGM_RSRC3_GFX90A:TG_SPLIT: 0
	.section	.text._ZN9rocsparseL19gebsrmvn_2xn_kernelILj128ELj15ELj4E21rocsparse_complex_numIdEEEvi20rocsparse_direction_NS_24const_host_device_scalarIT2_EEPKiS8_PKS5_SA_S6_PS5_21rocsparse_index_base_b,"axG",@progbits,_ZN9rocsparseL19gebsrmvn_2xn_kernelILj128ELj15ELj4E21rocsparse_complex_numIdEEEvi20rocsparse_direction_NS_24const_host_device_scalarIT2_EEPKiS8_PKS5_SA_S6_PS5_21rocsparse_index_base_b,comdat
	.globl	_ZN9rocsparseL19gebsrmvn_2xn_kernelILj128ELj15ELj4E21rocsparse_complex_numIdEEEvi20rocsparse_direction_NS_24const_host_device_scalarIT2_EEPKiS8_PKS5_SA_S6_PS5_21rocsparse_index_base_b ; -- Begin function _ZN9rocsparseL19gebsrmvn_2xn_kernelILj128ELj15ELj4E21rocsparse_complex_numIdEEEvi20rocsparse_direction_NS_24const_host_device_scalarIT2_EEPKiS8_PKS5_SA_S6_PS5_21rocsparse_index_base_b
	.p2align	8
	.type	_ZN9rocsparseL19gebsrmvn_2xn_kernelILj128ELj15ELj4E21rocsparse_complex_numIdEEEvi20rocsparse_direction_NS_24const_host_device_scalarIT2_EEPKiS8_PKS5_SA_S6_PS5_21rocsparse_index_base_b,@function
_ZN9rocsparseL19gebsrmvn_2xn_kernelILj128ELj15ELj4E21rocsparse_complex_numIdEEEvi20rocsparse_direction_NS_24const_host_device_scalarIT2_EEPKiS8_PKS5_SA_S6_PS5_21rocsparse_index_base_b: ; @_ZN9rocsparseL19gebsrmvn_2xn_kernelILj128ELj15ELj4E21rocsparse_complex_numIdEEEvi20rocsparse_direction_NS_24const_host_device_scalarIT2_EEPKiS8_PKS5_SA_S6_PS5_21rocsparse_index_base_b
; %bb.0:
	s_load_dwordx2 s[16:17], s[2:3], 0x50
	s_load_dwordx4 s[12:15], s[2:3], 0x8
	s_load_dwordx4 s[8:11], s[2:3], 0x38
	s_load_dwordx2 s[18:19], s[0:1], 0x4
	s_mov_b64 s[6:7], src_shared_base
	s_waitcnt lgkmcnt(0)
	s_bitcmp1_b32 s17, 0
	s_cselect_b64 s[0:1], -1, 0
	s_and_b64 vcc, s[0:1], exec
	s_cselect_b32 s5, s7, s13
	s_lshr_b32 s6, s18, 16
	v_bfe_u32 v1, v0, 10, 10
	v_and_b32_e32 v10, 0x3ff, v0
	s_mul_i32 s6, s6, s19
	v_mul_u32_u24_e32 v1, s19, v1
	v_mad_u32_u24 v1, s6, v10, v1
	v_bfe_u32 v0, v0, 20, 10
	v_add_lshl_u32 v4, v1, v0, 3
	v_mov_b32_e32 v5, s12
	v_add_u32_e32 v6, 0x400, v4
	v_mov_b64_e32 v[0:1], s[12:13]
	v_mov_b64_e32 v[2:3], s[8:9]
	ds_write2st64_b64 v4, v[2:3], v[0:1] offset1:2
	v_cndmask_b32_e64 v0, v5, v6, s[0:1]
	v_mov_b32_e32 v1, s5
	flat_load_dwordx2 v[0:1], v[0:1]
	s_xor_b64 s[18:19], s[0:1], -1
	v_mov_b64_e32 v[2:3], s[14:15]
	s_cbranch_vccnz .LBB293_2
; %bb.1:
	v_mov_b64_e32 v[2:3], s[12:13]
	flat_load_dwordx2 v[2:3], v[2:3] offset:8
.LBB293_2:
	s_and_b64 s[12:13], s[0:1], exec
	s_cselect_b32 s5, s7, s9
	v_mov_b32_e32 v5, s8
	v_cndmask_b32_e64 v4, v5, v4, s[0:1]
	v_mov_b32_e32 v5, s5
	flat_load_dwordx2 v[4:5], v[4:5]
	s_andn2_b64 vcc, exec, s[18:19]
	v_mov_b64_e32 v[6:7], s[10:11]
	s_cbranch_vccnz .LBB293_4
; %bb.3:
	v_mov_b64_e32 v[6:7], s[8:9]
	flat_load_dwordx2 v[6:7], v[6:7] offset:8
.LBB293_4:
	s_waitcnt vmcnt(0) lgkmcnt(0)
	v_cmp_eq_f64_e32 vcc, 0, v[0:1]
	v_cmp_eq_f64_e64 s[0:1], 0, v[2:3]
	s_and_b64 s[8:9], vcc, s[0:1]
	s_mov_b64 s[0:1], -1
	s_and_saveexec_b64 s[6:7], s[8:9]
; %bb.5:
	v_cmp_neq_f64_e32 vcc, 1.0, v[4:5]
	v_cmp_neq_f64_e64 s[0:1], 0, v[6:7]
	s_or_b64 s[0:1], vcc, s[0:1]
	s_orn2_b64 s[0:1], s[0:1], exec
; %bb.6:
	s_or_b64 exec, exec, s[6:7]
	s_and_saveexec_b64 s[6:7], s[0:1]
	s_cbranch_execz .LBB293_29
; %bb.7:
	s_load_dwordx2 s[0:1], s[2:3], 0x0
	v_lshrrev_b32_e32 v8, 2, v10
	v_lshl_or_b32 v8, s4, 5, v8
	s_waitcnt lgkmcnt(0)
	v_cmp_gt_i32_e32 vcc, s0, v8
	s_and_b64 exec, exec, vcc
	s_cbranch_execz .LBB293_29
; %bb.8:
	s_load_dwordx8 s[4:11], s[2:3], 0x18
	v_ashrrev_i32_e32 v9, 31, v8
	s_cmp_lg_u32 s1, 0
	s_waitcnt lgkmcnt(0)
	v_lshl_add_u64 v[12:13], v[8:9], 2, s[4:5]
	global_load_dwordx2 v[20:21], v[12:13], off
	v_and_b32_e32 v9, 3, v10
	s_waitcnt vmcnt(0)
	v_subrev_u32_e32 v10, s16, v20
	v_subrev_u32_e32 v30, s16, v21
	v_add_u32_e32 v12, v10, v9
	v_cmp_lt_i32_e64 s[0:1], v12, v30
	s_cbranch_scc0 .LBB293_16
; %bb.9:
	v_mov_b64_e32 v[10:11], 0
	s_mov_b64 s[4:5], 0
	v_mov_b64_e32 v[18:19], v[10:11]
	v_mov_b64_e32 v[16:17], v[10:11]
	;; [unrolled: 1-line block ×3, first 2 shown]
	s_and_saveexec_b64 s[12:13], s[0:1]
	s_cbranch_execz .LBB293_15
; %bb.10:
	v_mad_u64_u32 v[22:23], s[14:15], v12, 30, 8
	v_mov_b64_e32 v[10:11], 0
	s_mov_b64 s[14:15], 0
	v_mov_b32_e32 v25, 0
	v_mov_b32_e32 v26, v12
	v_mov_b64_e32 v[18:19], v[10:11]
	v_mov_b64_e32 v[16:17], v[10:11]
	;; [unrolled: 1-line block ×3, first 2 shown]
.LBB293_11:                             ; =>This Loop Header: Depth=1
                                        ;     Child Loop BB293_12 Depth 2
	v_ashrrev_i32_e32 v27, 31, v26
	v_lshl_add_u64 v[28:29], v[26:27], 2, s[6:7]
	global_load_dword v13, v[28:29], off
	v_mov_b32_e32 v28, v22
	s_mov_b32 s17, 0
	s_waitcnt vmcnt(0)
	v_subrev_u32_e32 v13, s16, v13
	v_mul_lo_u32 v13, v13, 15
.LBB293_12:                             ;   Parent Loop BB293_11 Depth=1
                                        ; =>  This Inner Loop Header: Depth=2
	v_add_u32_e32 v24, -8, v28
	v_add_u32_e32 v32, -6, v28
	v_mov_b32_e32 v33, v25
	v_add_u32_e32 v34, -4, v28
	v_mov_b32_e32 v35, v25
	;; [unrolled: 2-line block ×3, first 2 shown]
	v_mov_b32_e32 v29, v25
	v_lshl_add_u64 v[40:41], v[24:25], 4, s[8:9]
	v_add_u32_e32 v24, s17, v13
	v_lshl_add_u64 v[48:49], v[32:33], 4, s[8:9]
	v_lshl_add_u64 v[56:57], v[34:35], 4, s[8:9]
	;; [unrolled: 1-line block ×5, first 2 shown]
	global_load_dwordx4 v[32:35], v[40:41], off offset:16
	global_load_dwordx4 v[36:39], v[40:41], off
	s_nop 0
	global_load_dwordx4 v[40:43], v[48:49], off offset:16
	global_load_dwordx4 v[44:47], v[48:49], off
	s_nop 0
	;; [unrolled: 3-line block ×4, first 2 shown]
	global_load_dwordx4 v[64:67], v[72:73], off offset:16
	global_load_dwordx4 v[68:71], v[72:73], off
	v_mov_b32_e32 v77, v25
	global_load_dwordx4 v[72:75], v[74:75], off
	v_add_u32_e32 v76, 1, v24
	v_mov_b32_e32 v79, v25
	v_mov_b32_e32 v81, v25
	v_add_u32_e32 v78, 2, v24
	v_add_u32_e32 v80, 3, v24
	v_add_u32_e32 v24, 4, v24
	v_lshl_add_u64 v[92:93], v[76:77], 4, s[10:11]
	v_lshl_add_u64 v[94:95], v[78:79], 4, s[10:11]
	;; [unrolled: 1-line block ×4, first 2 shown]
	global_load_dwordx4 v[76:79], v[92:93], off
	global_load_dwordx4 v[80:83], v[94:95], off
	;; [unrolled: 1-line block ×4, first 2 shown]
	s_add_i32 s17, s17, 5
	v_add_u32_e32 v28, 10, v28
	s_cmp_eq_u32 s17, 15
	s_waitcnt vmcnt(4)
	v_fmac_f64_e32 v[18:19], v[36:37], v[72:73]
	v_fmac_f64_e32 v[10:11], v[38:39], v[72:73]
	v_fmac_f64_e32 v[16:17], v[32:33], v[72:73]
	v_fmac_f64_e32 v[14:15], v[34:35], v[72:73]
	v_fma_f64 v[18:19], -v[38:39], v[74:75], v[18:19]
	v_fmac_f64_e32 v[10:11], v[36:37], v[74:75]
	v_fma_f64 v[16:17], -v[34:35], v[74:75], v[16:17]
	v_fmac_f64_e32 v[14:15], v[32:33], v[74:75]
	s_waitcnt vmcnt(3)
	v_fmac_f64_e32 v[18:19], v[44:45], v[76:77]
	v_fmac_f64_e32 v[10:11], v[46:47], v[76:77]
	v_fmac_f64_e32 v[16:17], v[40:41], v[76:77]
	v_fmac_f64_e32 v[14:15], v[42:43], v[76:77]
	v_fma_f64 v[18:19], -v[46:47], v[78:79], v[18:19]
	v_fmac_f64_e32 v[10:11], v[44:45], v[78:79]
	v_fma_f64 v[16:17], -v[42:43], v[78:79], v[16:17]
	v_fmac_f64_e32 v[14:15], v[40:41], v[78:79]
	;; [unrolled: 9-line block ×5, first 2 shown]
	s_cbranch_scc0 .LBB293_12
; %bb.13:                               ;   in Loop: Header=BB293_11 Depth=1
	v_add_u32_e32 v26, 4, v26
	v_cmp_ge_i32_e32 vcc, v26, v30
	s_or_b64 s[14:15], vcc, s[14:15]
	v_add_u32_e32 v22, 0x78, v22
	s_andn2_b64 exec, exec, s[14:15]
	s_cbranch_execnz .LBB293_11
; %bb.14:
	s_or_b64 exec, exec, s[14:15]
.LBB293_15:
	s_or_b64 exec, exec, s[12:13]
	s_andn2_b64 vcc, exec, s[4:5]
	s_cbranch_vccz .LBB293_17
	s_branch .LBB293_24
.LBB293_16:
                                        ; implicit-def: $vgpr10_vgpr11
                                        ; implicit-def: $vgpr18_vgpr19
                                        ; implicit-def: $vgpr16_vgpr17
                                        ; implicit-def: $vgpr14_vgpr15
.LBB293_17:
	v_mov_b64_e32 v[10:11], 0
	v_mov_b64_e32 v[18:19], v[10:11]
	;; [unrolled: 1-line block ×4, first 2 shown]
	s_and_saveexec_b64 s[4:5], s[0:1]
	s_cbranch_execz .LBB293_23
; %bb.18:
	v_mul_lo_u32 v10, v20, 30
	v_mad_u32_u24 v10, v9, 30, v10
	s_mul_i32 s0, s16, 30
	v_subrev_u32_e32 v23, s0, v10
	v_mov_b64_e32 v[10:11], 0
	v_mul_lo_u32 v22, v12, 30
	s_mov_b64 s[0:1], 0
	v_mov_b32_e32 v21, 0
	v_mov_b64_e32 v[18:19], v[10:11]
	v_mov_b64_e32 v[16:17], v[10:11]
	v_mov_b64_e32 v[14:15], v[10:11]
.LBB293_19:                             ; =>This Loop Header: Depth=1
                                        ;     Child Loop BB293_20 Depth 2
	v_ashrrev_i32_e32 v13, 31, v12
	v_lshl_add_u64 v[24:25], v[12:13], 2, s[6:7]
	global_load_dword v13, v[24:25], off
	s_mov_b32 s12, 0
	s_waitcnt vmcnt(0)
	v_subrev_u32_e32 v13, s16, v13
	v_mul_lo_u32 v13, v13, 15
.LBB293_20:                             ;   Parent Loop BB293_19 Depth=1
                                        ; =>  This Inner Loop Header: Depth=2
	v_add_u32_e32 v20, s12, v23
	v_add_u32_e32 v31, s12, v22
	v_lshl_add_u64 v[24:25], v[20:21], 4, s[8:9]
	v_add_u32_e32 v20, s12, v13
	v_mov_b32_e32 v29, v21
	v_mov_b32_e32 v33, v21
	;; [unrolled: 1-line block ×7, first 2 shown]
	v_add_u32_e32 v28, 15, v31
	v_add_u32_e32 v32, 1, v31
	v_add_u32_e32 v34, 16, v31
	v_add_u32_e32 v36, 2, v31
	v_add_u32_e32 v38, 17, v31
	v_add_u32_e32 v40, 3, v31
	v_add_u32_e32 v42, 18, v31
	global_load_dwordx4 v[24:27], v[24:25], off
	v_lshl_add_u64 v[48:49], v[20:21], 4, s[10:11]
	v_lshl_add_u64 v[28:29], v[28:29], 4, s[8:9]
	;; [unrolled: 1-line block ×8, first 2 shown]
	global_load_dwordx4 v[32:35], v[48:49], off
	global_load_dwordx4 v[36:39], v[28:29], off
	;; [unrolled: 1-line block ×3, first 2 shown]
	v_mov_b32_e32 v45, v21
	v_mov_b32_e32 v47, v21
	v_add_u32_e32 v46, 4, v31
	v_add_u32_e32 v44, 1, v20
	v_lshl_add_u64 v[70:71], v[46:47], 4, s[8:9]
	v_lshl_add_u64 v[28:29], v[44:45], 4, s[10:11]
	global_load_dwordx4 v[44:47], v[54:55], off
	global_load_dwordx4 v[48:51], v[56:57], off
	v_mov_b32_e32 v53, v21
	v_mov_b32_e32 v61, v21
	v_add_u32_e32 v52, 2, v20
	v_add_u32_e32 v60, 3, v20
	;; [unrolled: 1-line block ×3, first 2 shown]
	v_lshl_add_u64 v[84:85], v[52:53], 4, s[10:11]
	global_load_dwordx4 v[52:55], v[62:63], off
	global_load_dwordx4 v[56:59], v[64:65], off
	v_lshl_add_u64 v[86:87], v[60:61], 4, s[10:11]
	global_load_dwordx4 v[60:63], v[68:69], off
	global_load_dwordx4 v[64:67], v[70:71], off
	;; [unrolled: 3-line block ×3, first 2 shown]
	global_load_dwordx4 v[76:79], v[86:87], off
	global_load_dwordx4 v[80:83], v[88:89], off
	v_add_u32_e32 v20, 19, v31
	v_lshl_add_u64 v[28:29], v[20:21], 4, s[8:9]
	global_load_dwordx4 v[84:87], v[28:29], off
	s_add_i32 s12, s12, 5
	s_cmp_eq_u32 s12, 15
	s_waitcnt vmcnt(13)
	v_fmac_f64_e32 v[18:19], v[24:25], v[32:33]
	v_fmac_f64_e32 v[10:11], v[26:27], v[32:33]
	s_waitcnt vmcnt(12)
	v_fmac_f64_e32 v[16:17], v[36:37], v[32:33]
	v_fmac_f64_e32 v[14:15], v[38:39], v[32:33]
	v_fma_f64 v[18:19], -v[26:27], v[34:35], v[18:19]
	v_fmac_f64_e32 v[10:11], v[24:25], v[34:35]
	v_fma_f64 v[16:17], -v[38:39], v[34:35], v[16:17]
	v_fmac_f64_e32 v[14:15], v[36:37], v[34:35]
	s_waitcnt vmcnt(4)
	v_fmac_f64_e32 v[18:19], v[40:41], v[68:69]
	v_fmac_f64_e32 v[10:11], v[42:43], v[68:69]
	v_fmac_f64_e32 v[16:17], v[44:45], v[68:69]
	v_fmac_f64_e32 v[14:15], v[46:47], v[68:69]
	v_fma_f64 v[18:19], -v[42:43], v[70:71], v[18:19]
	v_fmac_f64_e32 v[10:11], v[40:41], v[70:71]
	v_fma_f64 v[16:17], -v[46:47], v[70:71], v[16:17]
	v_fmac_f64_e32 v[14:15], v[44:45], v[70:71]
	s_waitcnt vmcnt(3)
	v_fmac_f64_e32 v[18:19], v[48:49], v[72:73]
	v_fmac_f64_e32 v[10:11], v[50:51], v[72:73]
	v_fmac_f64_e32 v[16:17], v[52:53], v[72:73]
	v_fmac_f64_e32 v[14:15], v[54:55], v[72:73]
	v_fma_f64 v[18:19], -v[50:51], v[74:75], v[18:19]
	v_fmac_f64_e32 v[10:11], v[48:49], v[74:75]
	v_fma_f64 v[16:17], -v[54:55], v[74:75], v[16:17]
	v_fmac_f64_e32 v[14:15], v[52:53], v[74:75]
	s_waitcnt vmcnt(2)
	v_fmac_f64_e32 v[18:19], v[56:57], v[76:77]
	v_fmac_f64_e32 v[10:11], v[58:59], v[76:77]
	v_fmac_f64_e32 v[16:17], v[60:61], v[76:77]
	v_fmac_f64_e32 v[14:15], v[62:63], v[76:77]
	v_fma_f64 v[18:19], -v[58:59], v[78:79], v[18:19]
	v_fmac_f64_e32 v[10:11], v[56:57], v[78:79]
	v_fma_f64 v[16:17], -v[62:63], v[78:79], v[16:17]
	v_fmac_f64_e32 v[14:15], v[60:61], v[78:79]
	s_waitcnt vmcnt(1)
	v_fmac_f64_e32 v[18:19], v[64:65], v[80:81]
	v_fmac_f64_e32 v[10:11], v[66:67], v[80:81]
	s_waitcnt vmcnt(0)
	v_fmac_f64_e32 v[16:17], v[84:85], v[80:81]
	v_fmac_f64_e32 v[14:15], v[86:87], v[80:81]
	v_fma_f64 v[18:19], -v[66:67], v[82:83], v[18:19]
	v_fmac_f64_e32 v[10:11], v[64:65], v[82:83]
	v_fma_f64 v[16:17], -v[86:87], v[82:83], v[16:17]
	v_fmac_f64_e32 v[14:15], v[84:85], v[82:83]
	s_cbranch_scc0 .LBB293_20
; %bb.21:                               ;   in Loop: Header=BB293_19 Depth=1
	v_add_u32_e32 v12, 4, v12
	v_cmp_ge_i32_e32 vcc, v12, v30
	v_add_u32_e32 v22, 0x78, v22
	s_or_b64 s[0:1], vcc, s[0:1]
	v_add_u32_e32 v23, 0x78, v23
	s_andn2_b64 exec, exec, s[0:1]
	s_cbranch_execnz .LBB293_19
; %bb.22:
	s_or_b64 exec, exec, s[0:1]
.LBB293_23:
	s_or_b64 exec, exec, s[4:5]
.LBB293_24:
	v_mov_b32_dpp v22, v16 row_shr:1 row_mask:0xf bank_mask:0xf
	v_mov_b32_dpp v23, v17 row_shr:1 row_mask:0xf bank_mask:0xf
	;; [unrolled: 1-line block ×6, first 2 shown]
	v_add_f64 v[22:23], v[16:17], v[22:23]
	v_mov_b32_dpp v16, v14 row_shr:1 row_mask:0xf bank_mask:0xf
	v_mov_b32_dpp v17, v15 row_shr:1 row_mask:0xf bank_mask:0xf
	v_add_f64 v[12:13], v[18:19], v[12:13]
	v_add_f64 v[10:11], v[10:11], v[20:21]
	;; [unrolled: 1-line block ×3, first 2 shown]
	v_mov_b32_dpp v18, v12 row_shr:2 row_mask:0xf bank_mask:0xf
	v_mov_b32_dpp v19, v13 row_shr:2 row_mask:0xf bank_mask:0xf
	;; [unrolled: 1-line block ×8, first 2 shown]
	v_cmp_eq_u32_e32 vcc, 3, v9
	s_and_b64 exec, exec, vcc
	s_cbranch_execz .LBB293_29
; %bb.25:
	s_load_dwordx2 s[2:3], s[2:3], 0x48
	v_cmp_eq_f64_e32 vcc, 0, v[4:5]
	v_cmp_eq_f64_e64 s[0:1], 0, v[6:7]
	v_add_f64 v[14:15], v[12:13], v[18:19]
	v_add_f64 v[16:17], v[10:11], v[20:21]
	;; [unrolled: 1-line block ×4, first 2 shown]
	s_and_b64 s[0:1], vcc, s[0:1]
	s_and_saveexec_b64 s[4:5], s[0:1]
	s_xor_b64 s[0:1], exec, s[4:5]
	s_cbranch_execz .LBB293_27
; %bb.26:
	v_lshlrev_b32_e32 v8, 1, v8
	v_mul_f64 v[4:5], v[16:17], -v[2:3]
	v_mul_f64 v[6:7], v[0:1], v[16:17]
	v_ashrrev_i32_e32 v9, 31, v8
	v_fmac_f64_e32 v[4:5], v[0:1], v[14:15]
	v_fmac_f64_e32 v[6:7], v[2:3], v[14:15]
	s_waitcnt lgkmcnt(0)
	v_lshl_add_u64 v[8:9], v[8:9], 4, s[2:3]
	global_store_dwordx4 v[8:9], v[4:7], off
                                        ; implicit-def: $vgpr14_vgpr15
                                        ; implicit-def: $vgpr16_vgpr17
	s_nop 1
	v_mul_f64 v[4:5], v[12:13], -v[2:3]
	v_mul_f64 v[6:7], v[0:1], v[12:13]
	v_fmac_f64_e32 v[4:5], v[0:1], v[10:11]
	v_fmac_f64_e32 v[6:7], v[2:3], v[10:11]
	global_store_dwordx4 v[8:9], v[4:7], off offset:16
                                        ; implicit-def: $vgpr0_vgpr1
                                        ; implicit-def: $vgpr2_vgpr3
                                        ; implicit-def: $vgpr4_vgpr5
                                        ; implicit-def: $vgpr6_vgpr7
                                        ; implicit-def: $vgpr8
                                        ; implicit-def: $vgpr10_vgpr11
                                        ; implicit-def: $vgpr12_vgpr13
.LBB293_27:
	s_andn2_saveexec_b64 s[0:1], s[0:1]
	s_cbranch_execz .LBB293_29
; %bb.28:
	v_lshlrev_b32_e32 v8, 1, v8
	v_ashrrev_i32_e32 v9, 31, v8
	s_waitcnt lgkmcnt(0)
	v_lshl_add_u64 v[26:27], v[8:9], 4, s[2:3]
	global_load_dwordx4 v[18:21], v[26:27], off
	global_load_dwordx4 v[22:25], v[26:27], off offset:16
	v_mul_f64 v[28:29], v[16:17], -v[2:3]
	v_mul_f64 v[16:17], v[0:1], v[16:17]
	v_mul_f64 v[30:31], v[12:13], -v[2:3]
	v_mul_f64 v[8:9], v[0:1], v[12:13]
	v_fmac_f64_e32 v[28:29], v[0:1], v[14:15]
	v_fmac_f64_e32 v[16:17], v[2:3], v[14:15]
	;; [unrolled: 1-line block ×4, first 2 shown]
	s_waitcnt vmcnt(1)
	v_fmac_f64_e32 v[28:29], v[4:5], v[18:19]
	v_fmac_f64_e32 v[16:17], v[6:7], v[18:19]
	s_waitcnt vmcnt(0)
	v_fmac_f64_e32 v[30:31], v[4:5], v[22:23]
	v_fmac_f64_e32 v[8:9], v[6:7], v[22:23]
	v_fma_f64 v[14:15], -v[6:7], v[20:21], v[28:29]
	v_fmac_f64_e32 v[16:17], v[4:5], v[20:21]
	v_fma_f64 v[6:7], -v[6:7], v[24:25], v[30:31]
	v_fmac_f64_e32 v[8:9], v[4:5], v[24:25]
	global_store_dwordx4 v[26:27], v[14:17], off
	global_store_dwordx4 v[26:27], v[6:9], off offset:16
.LBB293_29:
	s_endpgm
	.section	.rodata,"a",@progbits
	.p2align	6, 0x0
	.amdhsa_kernel _ZN9rocsparseL19gebsrmvn_2xn_kernelILj128ELj15ELj4E21rocsparse_complex_numIdEEEvi20rocsparse_direction_NS_24const_host_device_scalarIT2_EEPKiS8_PKS5_SA_S6_PS5_21rocsparse_index_base_b
		.amdhsa_group_segment_fixed_size 2048
		.amdhsa_private_segment_fixed_size 0
		.amdhsa_kernarg_size 88
		.amdhsa_user_sgpr_count 4
		.amdhsa_user_sgpr_dispatch_ptr 1
		.amdhsa_user_sgpr_queue_ptr 0
		.amdhsa_user_sgpr_kernarg_segment_ptr 1
		.amdhsa_user_sgpr_dispatch_id 0
		.amdhsa_user_sgpr_kernarg_preload_length 0
		.amdhsa_user_sgpr_kernarg_preload_offset 0
		.amdhsa_user_sgpr_private_segment_size 0
		.amdhsa_uses_dynamic_stack 0
		.amdhsa_enable_private_segment 0
		.amdhsa_system_sgpr_workgroup_id_x 1
		.amdhsa_system_sgpr_workgroup_id_y 0
		.amdhsa_system_sgpr_workgroup_id_z 0
		.amdhsa_system_sgpr_workgroup_info 0
		.amdhsa_system_vgpr_workitem_id 2
		.amdhsa_next_free_vgpr 100
		.amdhsa_next_free_sgpr 20
		.amdhsa_accum_offset 100
		.amdhsa_reserve_vcc 1
		.amdhsa_float_round_mode_32 0
		.amdhsa_float_round_mode_16_64 0
		.amdhsa_float_denorm_mode_32 3
		.amdhsa_float_denorm_mode_16_64 3
		.amdhsa_dx10_clamp 1
		.amdhsa_ieee_mode 1
		.amdhsa_fp16_overflow 0
		.amdhsa_tg_split 0
		.amdhsa_exception_fp_ieee_invalid_op 0
		.amdhsa_exception_fp_denorm_src 0
		.amdhsa_exception_fp_ieee_div_zero 0
		.amdhsa_exception_fp_ieee_overflow 0
		.amdhsa_exception_fp_ieee_underflow 0
		.amdhsa_exception_fp_ieee_inexact 0
		.amdhsa_exception_int_div_zero 0
	.end_amdhsa_kernel
	.section	.text._ZN9rocsparseL19gebsrmvn_2xn_kernelILj128ELj15ELj4E21rocsparse_complex_numIdEEEvi20rocsparse_direction_NS_24const_host_device_scalarIT2_EEPKiS8_PKS5_SA_S6_PS5_21rocsparse_index_base_b,"axG",@progbits,_ZN9rocsparseL19gebsrmvn_2xn_kernelILj128ELj15ELj4E21rocsparse_complex_numIdEEEvi20rocsparse_direction_NS_24const_host_device_scalarIT2_EEPKiS8_PKS5_SA_S6_PS5_21rocsparse_index_base_b,comdat
.Lfunc_end293:
	.size	_ZN9rocsparseL19gebsrmvn_2xn_kernelILj128ELj15ELj4E21rocsparse_complex_numIdEEEvi20rocsparse_direction_NS_24const_host_device_scalarIT2_EEPKiS8_PKS5_SA_S6_PS5_21rocsparse_index_base_b, .Lfunc_end293-_ZN9rocsparseL19gebsrmvn_2xn_kernelILj128ELj15ELj4E21rocsparse_complex_numIdEEEvi20rocsparse_direction_NS_24const_host_device_scalarIT2_EEPKiS8_PKS5_SA_S6_PS5_21rocsparse_index_base_b
                                        ; -- End function
	.section	.AMDGPU.csdata,"",@progbits
; Kernel info:
; codeLenInByte = 2312
; NumSgprs: 26
; NumVgprs: 100
; NumAgprs: 0
; TotalNumVgprs: 100
; ScratchSize: 0
; MemoryBound: 0
; FloatMode: 240
; IeeeMode: 1
; LDSByteSize: 2048 bytes/workgroup (compile time only)
; SGPRBlocks: 3
; VGPRBlocks: 12
; NumSGPRsForWavesPerEU: 26
; NumVGPRsForWavesPerEU: 100
; AccumOffset: 100
; Occupancy: 4
; WaveLimiterHint : 1
; COMPUTE_PGM_RSRC2:SCRATCH_EN: 0
; COMPUTE_PGM_RSRC2:USER_SGPR: 4
; COMPUTE_PGM_RSRC2:TRAP_HANDLER: 0
; COMPUTE_PGM_RSRC2:TGID_X_EN: 1
; COMPUTE_PGM_RSRC2:TGID_Y_EN: 0
; COMPUTE_PGM_RSRC2:TGID_Z_EN: 0
; COMPUTE_PGM_RSRC2:TIDIG_COMP_CNT: 2
; COMPUTE_PGM_RSRC3_GFX90A:ACCUM_OFFSET: 24
; COMPUTE_PGM_RSRC3_GFX90A:TG_SPLIT: 0
	.section	.text._ZN9rocsparseL19gebsrmvn_2xn_kernelILj128ELj15ELj8E21rocsparse_complex_numIdEEEvi20rocsparse_direction_NS_24const_host_device_scalarIT2_EEPKiS8_PKS5_SA_S6_PS5_21rocsparse_index_base_b,"axG",@progbits,_ZN9rocsparseL19gebsrmvn_2xn_kernelILj128ELj15ELj8E21rocsparse_complex_numIdEEEvi20rocsparse_direction_NS_24const_host_device_scalarIT2_EEPKiS8_PKS5_SA_S6_PS5_21rocsparse_index_base_b,comdat
	.globl	_ZN9rocsparseL19gebsrmvn_2xn_kernelILj128ELj15ELj8E21rocsparse_complex_numIdEEEvi20rocsparse_direction_NS_24const_host_device_scalarIT2_EEPKiS8_PKS5_SA_S6_PS5_21rocsparse_index_base_b ; -- Begin function _ZN9rocsparseL19gebsrmvn_2xn_kernelILj128ELj15ELj8E21rocsparse_complex_numIdEEEvi20rocsparse_direction_NS_24const_host_device_scalarIT2_EEPKiS8_PKS5_SA_S6_PS5_21rocsparse_index_base_b
	.p2align	8
	.type	_ZN9rocsparseL19gebsrmvn_2xn_kernelILj128ELj15ELj8E21rocsparse_complex_numIdEEEvi20rocsparse_direction_NS_24const_host_device_scalarIT2_EEPKiS8_PKS5_SA_S6_PS5_21rocsparse_index_base_b,@function
_ZN9rocsparseL19gebsrmvn_2xn_kernelILj128ELj15ELj8E21rocsparse_complex_numIdEEEvi20rocsparse_direction_NS_24const_host_device_scalarIT2_EEPKiS8_PKS5_SA_S6_PS5_21rocsparse_index_base_b: ; @_ZN9rocsparseL19gebsrmvn_2xn_kernelILj128ELj15ELj8E21rocsparse_complex_numIdEEEvi20rocsparse_direction_NS_24const_host_device_scalarIT2_EEPKiS8_PKS5_SA_S6_PS5_21rocsparse_index_base_b
; %bb.0:
	s_load_dwordx2 s[16:17], s[2:3], 0x50
	s_load_dwordx4 s[12:15], s[2:3], 0x8
	s_load_dwordx4 s[8:11], s[2:3], 0x38
	s_load_dwordx2 s[18:19], s[0:1], 0x4
	s_mov_b64 s[6:7], src_shared_base
	s_waitcnt lgkmcnt(0)
	s_bitcmp1_b32 s17, 0
	s_cselect_b64 s[0:1], -1, 0
	s_and_b64 vcc, s[0:1], exec
	s_cselect_b32 s5, s7, s13
	s_lshr_b32 s6, s18, 16
	v_bfe_u32 v1, v0, 10, 10
	v_and_b32_e32 v10, 0x3ff, v0
	s_mul_i32 s6, s6, s19
	v_mul_u32_u24_e32 v1, s19, v1
	v_mad_u32_u24 v1, s6, v10, v1
	v_bfe_u32 v0, v0, 20, 10
	v_add_lshl_u32 v4, v1, v0, 3
	v_mov_b32_e32 v5, s12
	v_add_u32_e32 v6, 0x400, v4
	v_mov_b64_e32 v[0:1], s[12:13]
	v_mov_b64_e32 v[2:3], s[8:9]
	ds_write2st64_b64 v4, v[2:3], v[0:1] offset1:2
	v_cndmask_b32_e64 v0, v5, v6, s[0:1]
	v_mov_b32_e32 v1, s5
	flat_load_dwordx2 v[0:1], v[0:1]
	s_xor_b64 s[18:19], s[0:1], -1
	v_mov_b64_e32 v[2:3], s[14:15]
	s_cbranch_vccnz .LBB294_2
; %bb.1:
	v_mov_b64_e32 v[2:3], s[12:13]
	flat_load_dwordx2 v[2:3], v[2:3] offset:8
.LBB294_2:
	s_and_b64 s[12:13], s[0:1], exec
	s_cselect_b32 s5, s7, s9
	v_mov_b32_e32 v5, s8
	v_cndmask_b32_e64 v4, v5, v4, s[0:1]
	v_mov_b32_e32 v5, s5
	flat_load_dwordx2 v[4:5], v[4:5]
	s_andn2_b64 vcc, exec, s[18:19]
	v_mov_b64_e32 v[6:7], s[10:11]
	s_cbranch_vccnz .LBB294_4
; %bb.3:
	v_mov_b64_e32 v[6:7], s[8:9]
	flat_load_dwordx2 v[6:7], v[6:7] offset:8
.LBB294_4:
	s_waitcnt vmcnt(0) lgkmcnt(0)
	v_cmp_eq_f64_e32 vcc, 0, v[0:1]
	v_cmp_eq_f64_e64 s[0:1], 0, v[2:3]
	s_and_b64 s[8:9], vcc, s[0:1]
	s_mov_b64 s[0:1], -1
	s_and_saveexec_b64 s[6:7], s[8:9]
; %bb.5:
	v_cmp_neq_f64_e32 vcc, 1.0, v[4:5]
	v_cmp_neq_f64_e64 s[0:1], 0, v[6:7]
	s_or_b64 s[0:1], vcc, s[0:1]
	s_orn2_b64 s[0:1], s[0:1], exec
; %bb.6:
	s_or_b64 exec, exec, s[6:7]
	s_and_saveexec_b64 s[6:7], s[0:1]
	s_cbranch_execz .LBB294_29
; %bb.7:
	s_load_dwordx2 s[0:1], s[2:3], 0x0
	v_lshrrev_b32_e32 v8, 3, v10
	v_lshl_or_b32 v8, s4, 4, v8
	s_waitcnt lgkmcnt(0)
	v_cmp_gt_i32_e32 vcc, s0, v8
	s_and_b64 exec, exec, vcc
	s_cbranch_execz .LBB294_29
; %bb.8:
	s_load_dwordx8 s[4:11], s[2:3], 0x18
	v_ashrrev_i32_e32 v9, 31, v8
	s_cmp_lg_u32 s1, 0
	s_waitcnt lgkmcnt(0)
	v_lshl_add_u64 v[12:13], v[8:9], 2, s[4:5]
	global_load_dwordx2 v[20:21], v[12:13], off
	v_and_b32_e32 v9, 7, v10
	s_waitcnt vmcnt(0)
	v_subrev_u32_e32 v10, s16, v20
	v_subrev_u32_e32 v30, s16, v21
	v_add_u32_e32 v14, v10, v9
	v_cmp_lt_i32_e64 s[0:1], v14, v30
	s_cbranch_scc0 .LBB294_16
; %bb.9:
	v_mov_b64_e32 v[10:11], 0
	s_mov_b64 s[4:5], 0
	v_mov_b64_e32 v[18:19], v[10:11]
	v_mov_b64_e32 v[16:17], v[10:11]
	;; [unrolled: 1-line block ×3, first 2 shown]
	s_and_saveexec_b64 s[12:13], s[0:1]
	s_cbranch_execz .LBB294_15
; %bb.10:
	v_mad_u64_u32 v[22:23], s[14:15], v14, 30, 8
	v_mov_b64_e32 v[10:11], 0
	s_mov_b64 s[14:15], 0
	v_mov_b32_e32 v25, 0
	v_mov_b32_e32 v26, v14
	v_mov_b64_e32 v[18:19], v[10:11]
	v_mov_b64_e32 v[16:17], v[10:11]
	;; [unrolled: 1-line block ×3, first 2 shown]
.LBB294_11:                             ; =>This Loop Header: Depth=1
                                        ;     Child Loop BB294_12 Depth 2
	v_ashrrev_i32_e32 v27, 31, v26
	v_lshl_add_u64 v[28:29], v[26:27], 2, s[6:7]
	global_load_dword v15, v[28:29], off
	v_mov_b32_e32 v28, v22
	s_mov_b32 s17, 0
	s_waitcnt vmcnt(0)
	v_subrev_u32_e32 v15, s16, v15
	v_mul_lo_u32 v15, v15, 15
.LBB294_12:                             ;   Parent Loop BB294_11 Depth=1
                                        ; =>  This Inner Loop Header: Depth=2
	v_add_u32_e32 v24, -8, v28
	v_add_u32_e32 v32, -6, v28
	v_mov_b32_e32 v33, v25
	v_add_u32_e32 v34, -4, v28
	v_mov_b32_e32 v35, v25
	;; [unrolled: 2-line block ×3, first 2 shown]
	v_mov_b32_e32 v29, v25
	v_lshl_add_u64 v[40:41], v[24:25], 4, s[8:9]
	v_add_u32_e32 v24, s17, v15
	v_lshl_add_u64 v[48:49], v[32:33], 4, s[8:9]
	v_lshl_add_u64 v[56:57], v[34:35], 4, s[8:9]
	v_lshl_add_u64 v[64:65], v[36:37], 4, s[8:9]
	v_lshl_add_u64 v[72:73], v[28:29], 4, s[8:9]
	v_lshl_add_u64 v[74:75], v[24:25], 4, s[10:11]
	global_load_dwordx4 v[32:35], v[40:41], off offset:16
	global_load_dwordx4 v[36:39], v[40:41], off
	s_nop 0
	global_load_dwordx4 v[40:43], v[48:49], off offset:16
	global_load_dwordx4 v[44:47], v[48:49], off
	s_nop 0
	;; [unrolled: 3-line block ×4, first 2 shown]
	global_load_dwordx4 v[64:67], v[72:73], off offset:16
	global_load_dwordx4 v[68:71], v[72:73], off
	v_mov_b32_e32 v77, v25
	global_load_dwordx4 v[72:75], v[74:75], off
	v_add_u32_e32 v76, 1, v24
	v_mov_b32_e32 v79, v25
	v_mov_b32_e32 v81, v25
	v_add_u32_e32 v78, 2, v24
	v_add_u32_e32 v80, 3, v24
	;; [unrolled: 1-line block ×3, first 2 shown]
	v_lshl_add_u64 v[92:93], v[76:77], 4, s[10:11]
	v_lshl_add_u64 v[94:95], v[78:79], 4, s[10:11]
	;; [unrolled: 1-line block ×4, first 2 shown]
	global_load_dwordx4 v[76:79], v[92:93], off
	global_load_dwordx4 v[80:83], v[94:95], off
	global_load_dwordx4 v[84:87], v[96:97], off
	global_load_dwordx4 v[88:91], v[98:99], off
	s_add_i32 s17, s17, 5
	v_add_u32_e32 v28, 10, v28
	s_cmp_eq_u32 s17, 15
	s_waitcnt vmcnt(4)
	v_fmac_f64_e32 v[18:19], v[36:37], v[72:73]
	v_fmac_f64_e32 v[10:11], v[38:39], v[72:73]
	v_fmac_f64_e32 v[16:17], v[32:33], v[72:73]
	v_fmac_f64_e32 v[12:13], v[34:35], v[72:73]
	v_fma_f64 v[18:19], -v[38:39], v[74:75], v[18:19]
	v_fmac_f64_e32 v[10:11], v[36:37], v[74:75]
	v_fma_f64 v[16:17], -v[34:35], v[74:75], v[16:17]
	v_fmac_f64_e32 v[12:13], v[32:33], v[74:75]
	s_waitcnt vmcnt(3)
	v_fmac_f64_e32 v[18:19], v[44:45], v[76:77]
	v_fmac_f64_e32 v[10:11], v[46:47], v[76:77]
	v_fmac_f64_e32 v[16:17], v[40:41], v[76:77]
	v_fmac_f64_e32 v[12:13], v[42:43], v[76:77]
	v_fma_f64 v[18:19], -v[46:47], v[78:79], v[18:19]
	v_fmac_f64_e32 v[10:11], v[44:45], v[78:79]
	v_fma_f64 v[16:17], -v[42:43], v[78:79], v[16:17]
	v_fmac_f64_e32 v[12:13], v[40:41], v[78:79]
	;; [unrolled: 9-line block ×5, first 2 shown]
	s_cbranch_scc0 .LBB294_12
; %bb.13:                               ;   in Loop: Header=BB294_11 Depth=1
	v_add_u32_e32 v26, 8, v26
	v_cmp_ge_i32_e32 vcc, v26, v30
	s_or_b64 s[14:15], vcc, s[14:15]
	v_add_u32_e32 v22, 0xf0, v22
	s_andn2_b64 exec, exec, s[14:15]
	s_cbranch_execnz .LBB294_11
; %bb.14:
	s_or_b64 exec, exec, s[14:15]
.LBB294_15:
	s_or_b64 exec, exec, s[12:13]
	s_andn2_b64 vcc, exec, s[4:5]
	s_cbranch_vccz .LBB294_17
	s_branch .LBB294_24
.LBB294_16:
                                        ; implicit-def: $vgpr10_vgpr11
                                        ; implicit-def: $vgpr18_vgpr19
                                        ; implicit-def: $vgpr16_vgpr17
                                        ; implicit-def: $vgpr12_vgpr13
.LBB294_17:
	v_mov_b64_e32 v[10:11], 0
	v_mov_b64_e32 v[18:19], v[10:11]
	;; [unrolled: 1-line block ×4, first 2 shown]
	s_and_saveexec_b64 s[4:5], s[0:1]
	s_cbranch_execz .LBB294_23
; %bb.18:
	v_mul_lo_u32 v10, v20, 30
	v_mad_u32_u24 v10, v9, 30, v10
	s_mul_i32 s0, s16, 30
	v_subrev_u32_e32 v23, s0, v10
	v_mov_b64_e32 v[10:11], 0
	v_mul_lo_u32 v22, v14, 30
	s_mov_b64 s[0:1], 0
	v_mov_b32_e32 v21, 0
	v_mov_b64_e32 v[18:19], v[10:11]
	v_mov_b64_e32 v[16:17], v[10:11]
	;; [unrolled: 1-line block ×3, first 2 shown]
.LBB294_19:                             ; =>This Loop Header: Depth=1
                                        ;     Child Loop BB294_20 Depth 2
	v_ashrrev_i32_e32 v15, 31, v14
	v_lshl_add_u64 v[24:25], v[14:15], 2, s[6:7]
	global_load_dword v15, v[24:25], off
	s_mov_b32 s12, 0
	s_waitcnt vmcnt(0)
	v_subrev_u32_e32 v15, s16, v15
	v_mul_lo_u32 v15, v15, 15
.LBB294_20:                             ;   Parent Loop BB294_19 Depth=1
                                        ; =>  This Inner Loop Header: Depth=2
	v_add_u32_e32 v20, s12, v23
	v_add_u32_e32 v31, s12, v22
	v_lshl_add_u64 v[24:25], v[20:21], 4, s[8:9]
	v_add_u32_e32 v20, s12, v15
	v_mov_b32_e32 v29, v21
	v_mov_b32_e32 v33, v21
	;; [unrolled: 1-line block ×7, first 2 shown]
	v_add_u32_e32 v28, 15, v31
	v_add_u32_e32 v32, 1, v31
	;; [unrolled: 1-line block ×7, first 2 shown]
	global_load_dwordx4 v[24:27], v[24:25], off
	v_lshl_add_u64 v[48:49], v[20:21], 4, s[10:11]
	v_lshl_add_u64 v[28:29], v[28:29], 4, s[8:9]
	;; [unrolled: 1-line block ×8, first 2 shown]
	global_load_dwordx4 v[32:35], v[48:49], off
	global_load_dwordx4 v[36:39], v[28:29], off
	;; [unrolled: 1-line block ×3, first 2 shown]
	v_mov_b32_e32 v45, v21
	v_mov_b32_e32 v47, v21
	v_add_u32_e32 v46, 4, v31
	v_add_u32_e32 v44, 1, v20
	v_lshl_add_u64 v[70:71], v[46:47], 4, s[8:9]
	v_lshl_add_u64 v[28:29], v[44:45], 4, s[10:11]
	global_load_dwordx4 v[44:47], v[54:55], off
	global_load_dwordx4 v[48:51], v[56:57], off
	v_mov_b32_e32 v53, v21
	v_mov_b32_e32 v61, v21
	v_add_u32_e32 v52, 2, v20
	v_add_u32_e32 v60, 3, v20
	;; [unrolled: 1-line block ×3, first 2 shown]
	v_lshl_add_u64 v[84:85], v[52:53], 4, s[10:11]
	global_load_dwordx4 v[52:55], v[62:63], off
	global_load_dwordx4 v[56:59], v[64:65], off
	v_lshl_add_u64 v[86:87], v[60:61], 4, s[10:11]
	global_load_dwordx4 v[60:63], v[68:69], off
	global_load_dwordx4 v[64:67], v[70:71], off
	;; [unrolled: 3-line block ×3, first 2 shown]
	global_load_dwordx4 v[76:79], v[86:87], off
	global_load_dwordx4 v[80:83], v[88:89], off
	v_add_u32_e32 v20, 19, v31
	v_lshl_add_u64 v[28:29], v[20:21], 4, s[8:9]
	global_load_dwordx4 v[84:87], v[28:29], off
	s_add_i32 s12, s12, 5
	s_cmp_eq_u32 s12, 15
	s_waitcnt vmcnt(13)
	v_fmac_f64_e32 v[18:19], v[24:25], v[32:33]
	v_fmac_f64_e32 v[10:11], v[26:27], v[32:33]
	s_waitcnt vmcnt(12)
	v_fmac_f64_e32 v[16:17], v[36:37], v[32:33]
	v_fmac_f64_e32 v[12:13], v[38:39], v[32:33]
	v_fma_f64 v[18:19], -v[26:27], v[34:35], v[18:19]
	v_fmac_f64_e32 v[10:11], v[24:25], v[34:35]
	v_fma_f64 v[16:17], -v[38:39], v[34:35], v[16:17]
	v_fmac_f64_e32 v[12:13], v[36:37], v[34:35]
	s_waitcnt vmcnt(4)
	v_fmac_f64_e32 v[18:19], v[40:41], v[68:69]
	v_fmac_f64_e32 v[10:11], v[42:43], v[68:69]
	v_fmac_f64_e32 v[16:17], v[44:45], v[68:69]
	v_fmac_f64_e32 v[12:13], v[46:47], v[68:69]
	v_fma_f64 v[18:19], -v[42:43], v[70:71], v[18:19]
	v_fmac_f64_e32 v[10:11], v[40:41], v[70:71]
	v_fma_f64 v[16:17], -v[46:47], v[70:71], v[16:17]
	v_fmac_f64_e32 v[12:13], v[44:45], v[70:71]
	s_waitcnt vmcnt(3)
	v_fmac_f64_e32 v[18:19], v[48:49], v[72:73]
	v_fmac_f64_e32 v[10:11], v[50:51], v[72:73]
	;; [unrolled: 9-line block ×4, first 2 shown]
	s_waitcnt vmcnt(0)
	v_fmac_f64_e32 v[16:17], v[84:85], v[80:81]
	v_fmac_f64_e32 v[12:13], v[86:87], v[80:81]
	v_fma_f64 v[18:19], -v[66:67], v[82:83], v[18:19]
	v_fmac_f64_e32 v[10:11], v[64:65], v[82:83]
	v_fma_f64 v[16:17], -v[86:87], v[82:83], v[16:17]
	v_fmac_f64_e32 v[12:13], v[84:85], v[82:83]
	s_cbranch_scc0 .LBB294_20
; %bb.21:                               ;   in Loop: Header=BB294_19 Depth=1
	v_add_u32_e32 v14, 8, v14
	v_cmp_ge_i32_e32 vcc, v14, v30
	v_add_u32_e32 v22, 0xf0, v22
	s_or_b64 s[0:1], vcc, s[0:1]
	v_add_u32_e32 v23, 0xf0, v23
	s_andn2_b64 exec, exec, s[0:1]
	s_cbranch_execnz .LBB294_19
; %bb.22:
	s_or_b64 exec, exec, s[0:1]
.LBB294_23:
	s_or_b64 exec, exec, s[4:5]
.LBB294_24:
	v_mov_b32_dpp v22, v16 row_shr:1 row_mask:0xf bank_mask:0xf
	v_mov_b32_dpp v23, v17 row_shr:1 row_mask:0xf bank_mask:0xf
	v_add_f64 v[16:17], v[16:17], v[22:23]
	v_mov_b32_dpp v14, v18 row_shr:1 row_mask:0xf bank_mask:0xf
	v_mov_b32_dpp v15, v19 row_shr:1 row_mask:0xf bank_mask:0xf
	v_mov_b32_dpp v22, v16 row_shr:2 row_mask:0xf bank_mask:0xf
	v_mov_b32_dpp v23, v17 row_shr:2 row_mask:0xf bank_mask:0xf
	v_mov_b32_dpp v20, v10 row_shr:1 row_mask:0xf bank_mask:0xf
	v_mov_b32_dpp v21, v11 row_shr:1 row_mask:0xf bank_mask:0xf
	v_add_f64 v[22:23], v[16:17], v[22:23]
	v_mov_b32_dpp v16, v12 row_shr:1 row_mask:0xf bank_mask:0xf
	v_mov_b32_dpp v17, v13 row_shr:1 row_mask:0xf bank_mask:0xf
	v_add_f64 v[14:15], v[18:19], v[14:15]
	v_add_f64 v[10:11], v[10:11], v[20:21]
	;; [unrolled: 1-line block ×3, first 2 shown]
	v_mov_b32_dpp v18, v14 row_shr:2 row_mask:0xf bank_mask:0xf
	v_mov_b32_dpp v19, v15 row_shr:2 row_mask:0xf bank_mask:0xf
	;; [unrolled: 1-line block ×6, first 2 shown]
	v_add_f64 v[14:15], v[14:15], v[18:19]
	v_add_f64 v[10:11], v[10:11], v[20:21]
	v_add_f64 v[12:13], v[12:13], v[16:17]
	v_mov_b32_dpp v18, v14 row_shr:4 row_mask:0xf bank_mask:0xe
	v_mov_b32_dpp v19, v15 row_shr:4 row_mask:0xf bank_mask:0xe
	;; [unrolled: 1-line block ×8, first 2 shown]
	v_cmp_eq_u32_e32 vcc, 7, v9
	s_and_b64 exec, exec, vcc
	s_cbranch_execz .LBB294_29
; %bb.25:
	s_load_dwordx2 s[2:3], s[2:3], 0x48
	v_cmp_eq_f64_e32 vcc, 0, v[4:5]
	v_cmp_eq_f64_e64 s[0:1], 0, v[6:7]
	v_add_f64 v[14:15], v[14:15], v[18:19]
	v_add_f64 v[16:17], v[10:11], v[20:21]
	;; [unrolled: 1-line block ×4, first 2 shown]
	s_and_b64 s[0:1], vcc, s[0:1]
	s_and_saveexec_b64 s[4:5], s[0:1]
	s_xor_b64 s[0:1], exec, s[4:5]
	s_cbranch_execz .LBB294_27
; %bb.26:
	v_lshlrev_b32_e32 v8, 1, v8
	v_mul_f64 v[4:5], v[16:17], -v[2:3]
	v_mul_f64 v[6:7], v[0:1], v[16:17]
	v_ashrrev_i32_e32 v9, 31, v8
	v_fmac_f64_e32 v[4:5], v[0:1], v[14:15]
	v_fmac_f64_e32 v[6:7], v[2:3], v[14:15]
	s_waitcnt lgkmcnt(0)
	v_lshl_add_u64 v[8:9], v[8:9], 4, s[2:3]
	global_store_dwordx4 v[8:9], v[4:7], off
                                        ; implicit-def: $vgpr14_vgpr15
                                        ; implicit-def: $vgpr16_vgpr17
	s_nop 1
	v_mul_f64 v[4:5], v[12:13], -v[2:3]
	v_mul_f64 v[6:7], v[0:1], v[12:13]
	v_fmac_f64_e32 v[4:5], v[0:1], v[10:11]
	v_fmac_f64_e32 v[6:7], v[2:3], v[10:11]
	global_store_dwordx4 v[8:9], v[4:7], off offset:16
                                        ; implicit-def: $vgpr0_vgpr1
                                        ; implicit-def: $vgpr2_vgpr3
                                        ; implicit-def: $vgpr4_vgpr5
                                        ; implicit-def: $vgpr6_vgpr7
                                        ; implicit-def: $vgpr8
                                        ; implicit-def: $vgpr10_vgpr11
                                        ; implicit-def: $vgpr12_vgpr13
.LBB294_27:
	s_andn2_saveexec_b64 s[0:1], s[0:1]
	s_cbranch_execz .LBB294_29
; %bb.28:
	v_lshlrev_b32_e32 v8, 1, v8
	v_ashrrev_i32_e32 v9, 31, v8
	s_waitcnt lgkmcnt(0)
	v_lshl_add_u64 v[26:27], v[8:9], 4, s[2:3]
	global_load_dwordx4 v[18:21], v[26:27], off
	global_load_dwordx4 v[22:25], v[26:27], off offset:16
	v_mul_f64 v[28:29], v[16:17], -v[2:3]
	v_mul_f64 v[16:17], v[0:1], v[16:17]
	v_mul_f64 v[30:31], v[12:13], -v[2:3]
	v_mul_f64 v[8:9], v[0:1], v[12:13]
	v_fmac_f64_e32 v[28:29], v[0:1], v[14:15]
	v_fmac_f64_e32 v[16:17], v[2:3], v[14:15]
	;; [unrolled: 1-line block ×4, first 2 shown]
	s_waitcnt vmcnt(1)
	v_fmac_f64_e32 v[28:29], v[4:5], v[18:19]
	v_fmac_f64_e32 v[16:17], v[6:7], v[18:19]
	s_waitcnt vmcnt(0)
	v_fmac_f64_e32 v[30:31], v[4:5], v[22:23]
	v_fmac_f64_e32 v[8:9], v[6:7], v[22:23]
	v_fma_f64 v[14:15], -v[6:7], v[20:21], v[28:29]
	v_fmac_f64_e32 v[16:17], v[4:5], v[20:21]
	v_fma_f64 v[6:7], -v[6:7], v[24:25], v[30:31]
	v_fmac_f64_e32 v[8:9], v[4:5], v[24:25]
	global_store_dwordx4 v[26:27], v[14:17], off
	global_store_dwordx4 v[26:27], v[6:9], off offset:16
.LBB294_29:
	s_endpgm
	.section	.rodata,"a",@progbits
	.p2align	6, 0x0
	.amdhsa_kernel _ZN9rocsparseL19gebsrmvn_2xn_kernelILj128ELj15ELj8E21rocsparse_complex_numIdEEEvi20rocsparse_direction_NS_24const_host_device_scalarIT2_EEPKiS8_PKS5_SA_S6_PS5_21rocsparse_index_base_b
		.amdhsa_group_segment_fixed_size 2048
		.amdhsa_private_segment_fixed_size 0
		.amdhsa_kernarg_size 88
		.amdhsa_user_sgpr_count 4
		.amdhsa_user_sgpr_dispatch_ptr 1
		.amdhsa_user_sgpr_queue_ptr 0
		.amdhsa_user_sgpr_kernarg_segment_ptr 1
		.amdhsa_user_sgpr_dispatch_id 0
		.amdhsa_user_sgpr_kernarg_preload_length 0
		.amdhsa_user_sgpr_kernarg_preload_offset 0
		.amdhsa_user_sgpr_private_segment_size 0
		.amdhsa_uses_dynamic_stack 0
		.amdhsa_enable_private_segment 0
		.amdhsa_system_sgpr_workgroup_id_x 1
		.amdhsa_system_sgpr_workgroup_id_y 0
		.amdhsa_system_sgpr_workgroup_id_z 0
		.amdhsa_system_sgpr_workgroup_info 0
		.amdhsa_system_vgpr_workitem_id 2
		.amdhsa_next_free_vgpr 100
		.amdhsa_next_free_sgpr 20
		.amdhsa_accum_offset 100
		.amdhsa_reserve_vcc 1
		.amdhsa_float_round_mode_32 0
		.amdhsa_float_round_mode_16_64 0
		.amdhsa_float_denorm_mode_32 3
		.amdhsa_float_denorm_mode_16_64 3
		.amdhsa_dx10_clamp 1
		.amdhsa_ieee_mode 1
		.amdhsa_fp16_overflow 0
		.amdhsa_tg_split 0
		.amdhsa_exception_fp_ieee_invalid_op 0
		.amdhsa_exception_fp_denorm_src 0
		.amdhsa_exception_fp_ieee_div_zero 0
		.amdhsa_exception_fp_ieee_overflow 0
		.amdhsa_exception_fp_ieee_underflow 0
		.amdhsa_exception_fp_ieee_inexact 0
		.amdhsa_exception_int_div_zero 0
	.end_amdhsa_kernel
	.section	.text._ZN9rocsparseL19gebsrmvn_2xn_kernelILj128ELj15ELj8E21rocsparse_complex_numIdEEEvi20rocsparse_direction_NS_24const_host_device_scalarIT2_EEPKiS8_PKS5_SA_S6_PS5_21rocsparse_index_base_b,"axG",@progbits,_ZN9rocsparseL19gebsrmvn_2xn_kernelILj128ELj15ELj8E21rocsparse_complex_numIdEEEvi20rocsparse_direction_NS_24const_host_device_scalarIT2_EEPKiS8_PKS5_SA_S6_PS5_21rocsparse_index_base_b,comdat
.Lfunc_end294:
	.size	_ZN9rocsparseL19gebsrmvn_2xn_kernelILj128ELj15ELj8E21rocsparse_complex_numIdEEEvi20rocsparse_direction_NS_24const_host_device_scalarIT2_EEPKiS8_PKS5_SA_S6_PS5_21rocsparse_index_base_b, .Lfunc_end294-_ZN9rocsparseL19gebsrmvn_2xn_kernelILj128ELj15ELj8E21rocsparse_complex_numIdEEEvi20rocsparse_direction_NS_24const_host_device_scalarIT2_EEPKiS8_PKS5_SA_S6_PS5_21rocsparse_index_base_b
                                        ; -- End function
	.section	.AMDGPU.csdata,"",@progbits
; Kernel info:
; codeLenInByte = 2408
; NumSgprs: 26
; NumVgprs: 100
; NumAgprs: 0
; TotalNumVgprs: 100
; ScratchSize: 0
; MemoryBound: 0
; FloatMode: 240
; IeeeMode: 1
; LDSByteSize: 2048 bytes/workgroup (compile time only)
; SGPRBlocks: 3
; VGPRBlocks: 12
; NumSGPRsForWavesPerEU: 26
; NumVGPRsForWavesPerEU: 100
; AccumOffset: 100
; Occupancy: 4
; WaveLimiterHint : 1
; COMPUTE_PGM_RSRC2:SCRATCH_EN: 0
; COMPUTE_PGM_RSRC2:USER_SGPR: 4
; COMPUTE_PGM_RSRC2:TRAP_HANDLER: 0
; COMPUTE_PGM_RSRC2:TGID_X_EN: 1
; COMPUTE_PGM_RSRC2:TGID_Y_EN: 0
; COMPUTE_PGM_RSRC2:TGID_Z_EN: 0
; COMPUTE_PGM_RSRC2:TIDIG_COMP_CNT: 2
; COMPUTE_PGM_RSRC3_GFX90A:ACCUM_OFFSET: 24
; COMPUTE_PGM_RSRC3_GFX90A:TG_SPLIT: 0
	.section	.text._ZN9rocsparseL19gebsrmvn_2xn_kernelILj128ELj15ELj16E21rocsparse_complex_numIdEEEvi20rocsparse_direction_NS_24const_host_device_scalarIT2_EEPKiS8_PKS5_SA_S6_PS5_21rocsparse_index_base_b,"axG",@progbits,_ZN9rocsparseL19gebsrmvn_2xn_kernelILj128ELj15ELj16E21rocsparse_complex_numIdEEEvi20rocsparse_direction_NS_24const_host_device_scalarIT2_EEPKiS8_PKS5_SA_S6_PS5_21rocsparse_index_base_b,comdat
	.globl	_ZN9rocsparseL19gebsrmvn_2xn_kernelILj128ELj15ELj16E21rocsparse_complex_numIdEEEvi20rocsparse_direction_NS_24const_host_device_scalarIT2_EEPKiS8_PKS5_SA_S6_PS5_21rocsparse_index_base_b ; -- Begin function _ZN9rocsparseL19gebsrmvn_2xn_kernelILj128ELj15ELj16E21rocsparse_complex_numIdEEEvi20rocsparse_direction_NS_24const_host_device_scalarIT2_EEPKiS8_PKS5_SA_S6_PS5_21rocsparse_index_base_b
	.p2align	8
	.type	_ZN9rocsparseL19gebsrmvn_2xn_kernelILj128ELj15ELj16E21rocsparse_complex_numIdEEEvi20rocsparse_direction_NS_24const_host_device_scalarIT2_EEPKiS8_PKS5_SA_S6_PS5_21rocsparse_index_base_b,@function
_ZN9rocsparseL19gebsrmvn_2xn_kernelILj128ELj15ELj16E21rocsparse_complex_numIdEEEvi20rocsparse_direction_NS_24const_host_device_scalarIT2_EEPKiS8_PKS5_SA_S6_PS5_21rocsparse_index_base_b: ; @_ZN9rocsparseL19gebsrmvn_2xn_kernelILj128ELj15ELj16E21rocsparse_complex_numIdEEEvi20rocsparse_direction_NS_24const_host_device_scalarIT2_EEPKiS8_PKS5_SA_S6_PS5_21rocsparse_index_base_b
; %bb.0:
	s_load_dwordx2 s[16:17], s[2:3], 0x50
	s_load_dwordx4 s[12:15], s[2:3], 0x8
	s_load_dwordx4 s[8:11], s[2:3], 0x38
	s_load_dwordx2 s[18:19], s[0:1], 0x4
	s_mov_b64 s[6:7], src_shared_base
	s_waitcnt lgkmcnt(0)
	s_bitcmp1_b32 s17, 0
	s_cselect_b64 s[0:1], -1, 0
	s_and_b64 vcc, s[0:1], exec
	s_cselect_b32 s5, s7, s13
	s_lshr_b32 s6, s18, 16
	v_bfe_u32 v1, v0, 10, 10
	v_and_b32_e32 v10, 0x3ff, v0
	s_mul_i32 s6, s6, s19
	v_mul_u32_u24_e32 v1, s19, v1
	v_mad_u32_u24 v1, s6, v10, v1
	v_bfe_u32 v0, v0, 20, 10
	v_add_lshl_u32 v4, v1, v0, 3
	v_mov_b32_e32 v5, s12
	v_add_u32_e32 v6, 0x400, v4
	v_mov_b64_e32 v[0:1], s[12:13]
	v_mov_b64_e32 v[2:3], s[8:9]
	ds_write2st64_b64 v4, v[2:3], v[0:1] offset1:2
	v_cndmask_b32_e64 v0, v5, v6, s[0:1]
	v_mov_b32_e32 v1, s5
	flat_load_dwordx2 v[0:1], v[0:1]
	s_xor_b64 s[18:19], s[0:1], -1
	v_mov_b64_e32 v[2:3], s[14:15]
	s_cbranch_vccnz .LBB295_2
; %bb.1:
	v_mov_b64_e32 v[2:3], s[12:13]
	flat_load_dwordx2 v[2:3], v[2:3] offset:8
.LBB295_2:
	s_and_b64 s[12:13], s[0:1], exec
	s_cselect_b32 s5, s7, s9
	v_mov_b32_e32 v5, s8
	v_cndmask_b32_e64 v4, v5, v4, s[0:1]
	v_mov_b32_e32 v5, s5
	flat_load_dwordx2 v[4:5], v[4:5]
	s_andn2_b64 vcc, exec, s[18:19]
	v_mov_b64_e32 v[6:7], s[10:11]
	s_cbranch_vccnz .LBB295_4
; %bb.3:
	v_mov_b64_e32 v[6:7], s[8:9]
	flat_load_dwordx2 v[6:7], v[6:7] offset:8
.LBB295_4:
	s_waitcnt vmcnt(0) lgkmcnt(0)
	v_cmp_eq_f64_e32 vcc, 0, v[0:1]
	v_cmp_eq_f64_e64 s[0:1], 0, v[2:3]
	s_and_b64 s[8:9], vcc, s[0:1]
	s_mov_b64 s[0:1], -1
	s_and_saveexec_b64 s[6:7], s[8:9]
; %bb.5:
	v_cmp_neq_f64_e32 vcc, 1.0, v[4:5]
	v_cmp_neq_f64_e64 s[0:1], 0, v[6:7]
	s_or_b64 s[0:1], vcc, s[0:1]
	s_orn2_b64 s[0:1], s[0:1], exec
; %bb.6:
	s_or_b64 exec, exec, s[6:7]
	s_and_saveexec_b64 s[6:7], s[0:1]
	s_cbranch_execz .LBB295_29
; %bb.7:
	s_load_dwordx2 s[0:1], s[2:3], 0x0
	v_lshrrev_b32_e32 v8, 4, v10
	v_lshl_or_b32 v8, s4, 3, v8
	s_waitcnt lgkmcnt(0)
	v_cmp_gt_i32_e32 vcc, s0, v8
	s_and_b64 exec, exec, vcc
	s_cbranch_execz .LBB295_29
; %bb.8:
	s_load_dwordx8 s[4:11], s[2:3], 0x18
	v_ashrrev_i32_e32 v9, 31, v8
	s_cmp_lg_u32 s1, 0
	s_waitcnt lgkmcnt(0)
	v_lshl_add_u64 v[12:13], v[8:9], 2, s[4:5]
	global_load_dwordx2 v[20:21], v[12:13], off
	v_and_b32_e32 v9, 15, v10
	s_waitcnt vmcnt(0)
	v_subrev_u32_e32 v10, s16, v20
	v_subrev_u32_e32 v30, s16, v21
	v_add_u32_e32 v14, v10, v9
	v_cmp_lt_i32_e64 s[0:1], v14, v30
	s_cbranch_scc0 .LBB295_16
; %bb.9:
	v_mov_b64_e32 v[12:13], 0
	s_mov_b64 s[4:5], 0
	v_mov_b64_e32 v[18:19], v[12:13]
	v_mov_b64_e32 v[16:17], v[12:13]
	;; [unrolled: 1-line block ×3, first 2 shown]
	s_and_saveexec_b64 s[12:13], s[0:1]
	s_cbranch_execz .LBB295_15
; %bb.10:
	v_mad_u64_u32 v[22:23], s[14:15], v14, 30, 8
	v_mov_b64_e32 v[12:13], 0
	s_mov_b64 s[14:15], 0
	v_mov_b32_e32 v25, 0
	v_mov_b32_e32 v26, v14
	v_mov_b64_e32 v[18:19], v[12:13]
	v_mov_b64_e32 v[16:17], v[12:13]
	;; [unrolled: 1-line block ×3, first 2 shown]
.LBB295_11:                             ; =>This Loop Header: Depth=1
                                        ;     Child Loop BB295_12 Depth 2
	v_ashrrev_i32_e32 v27, 31, v26
	v_lshl_add_u64 v[28:29], v[26:27], 2, s[6:7]
	global_load_dword v15, v[28:29], off
	v_mov_b32_e32 v28, v22
	s_mov_b32 s17, 0
	s_waitcnt vmcnt(0)
	v_subrev_u32_e32 v15, s16, v15
	v_mul_lo_u32 v15, v15, 15
.LBB295_12:                             ;   Parent Loop BB295_11 Depth=1
                                        ; =>  This Inner Loop Header: Depth=2
	v_add_u32_e32 v24, -8, v28
	v_add_u32_e32 v32, -6, v28
	v_mov_b32_e32 v33, v25
	v_add_u32_e32 v34, -4, v28
	v_mov_b32_e32 v35, v25
	v_add_u32_e32 v36, -2, v28
	v_mov_b32_e32 v37, v25
	v_mov_b32_e32 v29, v25
	v_lshl_add_u64 v[40:41], v[24:25], 4, s[8:9]
	v_add_u32_e32 v24, s17, v15
	v_lshl_add_u64 v[48:49], v[32:33], 4, s[8:9]
	v_lshl_add_u64 v[56:57], v[34:35], 4, s[8:9]
	;; [unrolled: 1-line block ×5, first 2 shown]
	global_load_dwordx4 v[32:35], v[40:41], off offset:16
	global_load_dwordx4 v[36:39], v[40:41], off
	s_nop 0
	global_load_dwordx4 v[40:43], v[48:49], off offset:16
	global_load_dwordx4 v[44:47], v[48:49], off
	s_nop 0
	;; [unrolled: 3-line block ×4, first 2 shown]
	global_load_dwordx4 v[64:67], v[72:73], off offset:16
	global_load_dwordx4 v[68:71], v[72:73], off
	v_mov_b32_e32 v77, v25
	global_load_dwordx4 v[72:75], v[74:75], off
	v_add_u32_e32 v76, 1, v24
	v_mov_b32_e32 v79, v25
	v_mov_b32_e32 v81, v25
	v_add_u32_e32 v78, 2, v24
	v_add_u32_e32 v80, 3, v24
	v_add_u32_e32 v24, 4, v24
	v_lshl_add_u64 v[92:93], v[76:77], 4, s[10:11]
	v_lshl_add_u64 v[94:95], v[78:79], 4, s[10:11]
	;; [unrolled: 1-line block ×4, first 2 shown]
	global_load_dwordx4 v[76:79], v[92:93], off
	global_load_dwordx4 v[80:83], v[94:95], off
	;; [unrolled: 1-line block ×4, first 2 shown]
	s_add_i32 s17, s17, 5
	v_add_u32_e32 v28, 10, v28
	s_cmp_eq_u32 s17, 15
	s_waitcnt vmcnt(4)
	v_fmac_f64_e32 v[18:19], v[36:37], v[72:73]
	v_fmac_f64_e32 v[12:13], v[38:39], v[72:73]
	v_fmac_f64_e32 v[16:17], v[32:33], v[72:73]
	v_fmac_f64_e32 v[10:11], v[34:35], v[72:73]
	v_fma_f64 v[18:19], -v[38:39], v[74:75], v[18:19]
	v_fmac_f64_e32 v[12:13], v[36:37], v[74:75]
	v_fma_f64 v[16:17], -v[34:35], v[74:75], v[16:17]
	v_fmac_f64_e32 v[10:11], v[32:33], v[74:75]
	s_waitcnt vmcnt(3)
	v_fmac_f64_e32 v[18:19], v[44:45], v[76:77]
	v_fmac_f64_e32 v[12:13], v[46:47], v[76:77]
	v_fmac_f64_e32 v[16:17], v[40:41], v[76:77]
	v_fmac_f64_e32 v[10:11], v[42:43], v[76:77]
	v_fma_f64 v[18:19], -v[46:47], v[78:79], v[18:19]
	v_fmac_f64_e32 v[12:13], v[44:45], v[78:79]
	v_fma_f64 v[16:17], -v[42:43], v[78:79], v[16:17]
	v_fmac_f64_e32 v[10:11], v[40:41], v[78:79]
	s_waitcnt vmcnt(2)
	v_fmac_f64_e32 v[18:19], v[52:53], v[80:81]
	v_fmac_f64_e32 v[12:13], v[54:55], v[80:81]
	v_fmac_f64_e32 v[16:17], v[48:49], v[80:81]
	v_fmac_f64_e32 v[10:11], v[50:51], v[80:81]
	v_fma_f64 v[18:19], -v[54:55], v[82:83], v[18:19]
	v_fmac_f64_e32 v[12:13], v[52:53], v[82:83]
	v_fma_f64 v[16:17], -v[50:51], v[82:83], v[16:17]
	v_fmac_f64_e32 v[10:11], v[48:49], v[82:83]
	s_waitcnt vmcnt(1)
	v_fmac_f64_e32 v[18:19], v[60:61], v[84:85]
	v_fmac_f64_e32 v[12:13], v[62:63], v[84:85]
	v_fmac_f64_e32 v[16:17], v[56:57], v[84:85]
	v_fmac_f64_e32 v[10:11], v[58:59], v[84:85]
	v_fma_f64 v[18:19], -v[62:63], v[86:87], v[18:19]
	v_fmac_f64_e32 v[12:13], v[60:61], v[86:87]
	v_fma_f64 v[16:17], -v[58:59], v[86:87], v[16:17]
	v_fmac_f64_e32 v[10:11], v[56:57], v[86:87]
	s_waitcnt vmcnt(0)
	v_fmac_f64_e32 v[18:19], v[68:69], v[88:89]
	v_fmac_f64_e32 v[12:13], v[70:71], v[88:89]
	v_fmac_f64_e32 v[16:17], v[64:65], v[88:89]
	v_fmac_f64_e32 v[10:11], v[66:67], v[88:89]
	v_fma_f64 v[18:19], -v[70:71], v[90:91], v[18:19]
	v_fmac_f64_e32 v[12:13], v[68:69], v[90:91]
	v_fma_f64 v[16:17], -v[66:67], v[90:91], v[16:17]
	v_fmac_f64_e32 v[10:11], v[64:65], v[90:91]
	s_cbranch_scc0 .LBB295_12
; %bb.13:                               ;   in Loop: Header=BB295_11 Depth=1
	v_add_u32_e32 v26, 16, v26
	v_cmp_ge_i32_e32 vcc, v26, v30
	s_or_b64 s[14:15], vcc, s[14:15]
	v_add_u32_e32 v22, 0x1e0, v22
	s_andn2_b64 exec, exec, s[14:15]
	s_cbranch_execnz .LBB295_11
; %bb.14:
	s_or_b64 exec, exec, s[14:15]
.LBB295_15:
	s_or_b64 exec, exec, s[12:13]
	s_andn2_b64 vcc, exec, s[4:5]
	s_cbranch_vccz .LBB295_17
	s_branch .LBB295_24
.LBB295_16:
                                        ; implicit-def: $vgpr12_vgpr13
                                        ; implicit-def: $vgpr18_vgpr19
                                        ; implicit-def: $vgpr16_vgpr17
                                        ; implicit-def: $vgpr10_vgpr11
.LBB295_17:
	v_mov_b64_e32 v[12:13], 0
	v_mov_b64_e32 v[18:19], v[12:13]
	;; [unrolled: 1-line block ×4, first 2 shown]
	s_and_saveexec_b64 s[4:5], s[0:1]
	s_cbranch_execz .LBB295_23
; %bb.18:
	v_mul_lo_u32 v10, v20, 30
	v_mad_u32_u24 v10, v9, 30, v10
	s_mul_i32 s0, s16, 30
	v_mov_b64_e32 v[12:13], 0
	v_mul_lo_u32 v22, v14, 30
	v_subrev_u32_e32 v23, s0, v10
	s_mov_b64 s[0:1], 0
	v_mov_b32_e32 v21, 0
	v_mov_b64_e32 v[18:19], v[12:13]
	v_mov_b64_e32 v[16:17], v[12:13]
	;; [unrolled: 1-line block ×3, first 2 shown]
.LBB295_19:                             ; =>This Loop Header: Depth=1
                                        ;     Child Loop BB295_20 Depth 2
	v_ashrrev_i32_e32 v15, 31, v14
	v_lshl_add_u64 v[24:25], v[14:15], 2, s[6:7]
	global_load_dword v15, v[24:25], off
	s_mov_b32 s12, 0
	s_waitcnt vmcnt(0)
	v_subrev_u32_e32 v15, s16, v15
	v_mul_lo_u32 v15, v15, 15
.LBB295_20:                             ;   Parent Loop BB295_19 Depth=1
                                        ; =>  This Inner Loop Header: Depth=2
	v_add_u32_e32 v20, s12, v23
	v_add_u32_e32 v31, s12, v22
	v_lshl_add_u64 v[24:25], v[20:21], 4, s[8:9]
	v_add_u32_e32 v20, s12, v15
	v_mov_b32_e32 v29, v21
	v_mov_b32_e32 v33, v21
	;; [unrolled: 1-line block ×7, first 2 shown]
	v_add_u32_e32 v28, 15, v31
	v_add_u32_e32 v32, 1, v31
	;; [unrolled: 1-line block ×7, first 2 shown]
	global_load_dwordx4 v[24:27], v[24:25], off
	v_lshl_add_u64 v[48:49], v[20:21], 4, s[10:11]
	v_lshl_add_u64 v[28:29], v[28:29], 4, s[8:9]
	;; [unrolled: 1-line block ×8, first 2 shown]
	global_load_dwordx4 v[32:35], v[48:49], off
	global_load_dwordx4 v[36:39], v[28:29], off
	;; [unrolled: 1-line block ×3, first 2 shown]
	v_mov_b32_e32 v45, v21
	v_mov_b32_e32 v47, v21
	v_add_u32_e32 v46, 4, v31
	v_add_u32_e32 v44, 1, v20
	v_lshl_add_u64 v[70:71], v[46:47], 4, s[8:9]
	v_lshl_add_u64 v[28:29], v[44:45], 4, s[10:11]
	global_load_dwordx4 v[44:47], v[54:55], off
	global_load_dwordx4 v[48:51], v[56:57], off
	v_mov_b32_e32 v53, v21
	v_mov_b32_e32 v61, v21
	v_add_u32_e32 v52, 2, v20
	v_add_u32_e32 v60, 3, v20
	v_add_u32_e32 v20, 4, v20
	v_lshl_add_u64 v[84:85], v[52:53], 4, s[10:11]
	global_load_dwordx4 v[52:55], v[62:63], off
	global_load_dwordx4 v[56:59], v[64:65], off
	v_lshl_add_u64 v[86:87], v[60:61], 4, s[10:11]
	global_load_dwordx4 v[60:63], v[68:69], off
	global_load_dwordx4 v[64:67], v[70:71], off
	;; [unrolled: 3-line block ×3, first 2 shown]
	global_load_dwordx4 v[76:79], v[86:87], off
	global_load_dwordx4 v[80:83], v[88:89], off
	v_add_u32_e32 v20, 19, v31
	v_lshl_add_u64 v[28:29], v[20:21], 4, s[8:9]
	global_load_dwordx4 v[84:87], v[28:29], off
	s_add_i32 s12, s12, 5
	s_cmp_eq_u32 s12, 15
	s_waitcnt vmcnt(13)
	v_fmac_f64_e32 v[18:19], v[24:25], v[32:33]
	v_fmac_f64_e32 v[12:13], v[26:27], v[32:33]
	s_waitcnt vmcnt(12)
	v_fmac_f64_e32 v[16:17], v[36:37], v[32:33]
	v_fmac_f64_e32 v[10:11], v[38:39], v[32:33]
	v_fma_f64 v[18:19], -v[26:27], v[34:35], v[18:19]
	v_fmac_f64_e32 v[12:13], v[24:25], v[34:35]
	v_fma_f64 v[16:17], -v[38:39], v[34:35], v[16:17]
	v_fmac_f64_e32 v[10:11], v[36:37], v[34:35]
	s_waitcnt vmcnt(4)
	v_fmac_f64_e32 v[18:19], v[40:41], v[68:69]
	v_fmac_f64_e32 v[12:13], v[42:43], v[68:69]
	v_fmac_f64_e32 v[16:17], v[44:45], v[68:69]
	v_fmac_f64_e32 v[10:11], v[46:47], v[68:69]
	v_fma_f64 v[18:19], -v[42:43], v[70:71], v[18:19]
	v_fmac_f64_e32 v[12:13], v[40:41], v[70:71]
	v_fma_f64 v[16:17], -v[46:47], v[70:71], v[16:17]
	v_fmac_f64_e32 v[10:11], v[44:45], v[70:71]
	s_waitcnt vmcnt(3)
	v_fmac_f64_e32 v[18:19], v[48:49], v[72:73]
	v_fmac_f64_e32 v[12:13], v[50:51], v[72:73]
	;; [unrolled: 9-line block ×4, first 2 shown]
	s_waitcnt vmcnt(0)
	v_fmac_f64_e32 v[16:17], v[84:85], v[80:81]
	v_fmac_f64_e32 v[10:11], v[86:87], v[80:81]
	v_fma_f64 v[18:19], -v[66:67], v[82:83], v[18:19]
	v_fmac_f64_e32 v[12:13], v[64:65], v[82:83]
	v_fma_f64 v[16:17], -v[86:87], v[82:83], v[16:17]
	v_fmac_f64_e32 v[10:11], v[84:85], v[82:83]
	s_cbranch_scc0 .LBB295_20
; %bb.21:                               ;   in Loop: Header=BB295_19 Depth=1
	v_add_u32_e32 v14, 16, v14
	v_cmp_ge_i32_e32 vcc, v14, v30
	v_add_u32_e32 v22, 0x1e0, v22
	s_or_b64 s[0:1], vcc, s[0:1]
	v_add_u32_e32 v23, 0x1e0, v23
	s_andn2_b64 exec, exec, s[0:1]
	s_cbranch_execnz .LBB295_19
; %bb.22:
	s_or_b64 exec, exec, s[0:1]
.LBB295_23:
	s_or_b64 exec, exec, s[4:5]
.LBB295_24:
	v_mov_b32_dpp v22, v16 row_shr:1 row_mask:0xf bank_mask:0xf
	v_mov_b32_dpp v23, v17 row_shr:1 row_mask:0xf bank_mask:0xf
	v_add_f64 v[16:17], v[16:17], v[22:23]
	v_mov_b32_dpp v14, v18 row_shr:1 row_mask:0xf bank_mask:0xf
	v_mov_b32_dpp v15, v19 row_shr:1 row_mask:0xf bank_mask:0xf
	v_mov_b32_dpp v22, v16 row_shr:2 row_mask:0xf bank_mask:0xf
	v_mov_b32_dpp v23, v17 row_shr:2 row_mask:0xf bank_mask:0xf
	v_add_f64 v[16:17], v[16:17], v[22:23]
	v_mov_b32_dpp v20, v12 row_shr:1 row_mask:0xf bank_mask:0xf
	v_mov_b32_dpp v21, v13 row_shr:1 row_mask:0xf bank_mask:0xf
	;; [unrolled: 5-line block ×3, first 2 shown]
	v_add_f64 v[14:15], v[18:19], v[14:15]
	v_add_f64 v[12:13], v[12:13], v[20:21]
	v_add_f64 v[10:11], v[10:11], v[16:17]
	v_mov_b32_dpp v18, v14 row_shr:2 row_mask:0xf bank_mask:0xf
	v_mov_b32_dpp v19, v15 row_shr:2 row_mask:0xf bank_mask:0xf
	v_mov_b32_dpp v20, v12 row_shr:2 row_mask:0xf bank_mask:0xf
	v_mov_b32_dpp v21, v13 row_shr:2 row_mask:0xf bank_mask:0xf
	v_mov_b32_dpp v16, v10 row_shr:2 row_mask:0xf bank_mask:0xf
	v_mov_b32_dpp v17, v11 row_shr:2 row_mask:0xf bank_mask:0xf
	v_add_f64 v[14:15], v[14:15], v[18:19]
	v_add_f64 v[12:13], v[12:13], v[20:21]
	v_add_f64 v[10:11], v[10:11], v[16:17]
	v_mov_b32_dpp v18, v14 row_shr:4 row_mask:0xf bank_mask:0xe
	v_mov_b32_dpp v19, v15 row_shr:4 row_mask:0xf bank_mask:0xe
	v_mov_b32_dpp v20, v12 row_shr:4 row_mask:0xf bank_mask:0xe
	v_mov_b32_dpp v21, v13 row_shr:4 row_mask:0xf bank_mask:0xe
	v_mov_b32_dpp v16, v10 row_shr:4 row_mask:0xf bank_mask:0xe
	v_mov_b32_dpp v17, v11 row_shr:4 row_mask:0xf bank_mask:0xe
	;; [unrolled: 9-line block ×3, first 2 shown]
	v_mov_b32_dpp v28, v26 row_shr:8 row_mask:0xf bank_mask:0xc
	v_mov_b32_dpp v29, v27 row_shr:8 row_mask:0xf bank_mask:0xc
	v_cmp_eq_u32_e32 vcc, 15, v9
	s_and_b64 exec, exec, vcc
	s_cbranch_execz .LBB295_29
; %bb.25:
	s_load_dwordx2 s[2:3], s[2:3], 0x48
	v_cmp_eq_f64_e32 vcc, 0, v[4:5]
	v_cmp_eq_f64_e64 s[0:1], 0, v[6:7]
	v_add_f64 v[14:15], v[14:15], v[18:19]
	v_add_f64 v[16:17], v[12:13], v[20:21]
	v_add_f64 v[10:11], v[22:23], v[24:25]
	v_add_f64 v[12:13], v[26:27], v[28:29]
	s_and_b64 s[0:1], vcc, s[0:1]
	s_and_saveexec_b64 s[4:5], s[0:1]
	s_xor_b64 s[0:1], exec, s[4:5]
	s_cbranch_execz .LBB295_27
; %bb.26:
	v_lshlrev_b32_e32 v8, 1, v8
	v_mul_f64 v[4:5], v[16:17], -v[2:3]
	v_mul_f64 v[6:7], v[0:1], v[16:17]
	v_ashrrev_i32_e32 v9, 31, v8
	v_fmac_f64_e32 v[4:5], v[0:1], v[14:15]
	v_fmac_f64_e32 v[6:7], v[2:3], v[14:15]
	s_waitcnt lgkmcnt(0)
	v_lshl_add_u64 v[8:9], v[8:9], 4, s[2:3]
	global_store_dwordx4 v[8:9], v[4:7], off
                                        ; implicit-def: $vgpr14_vgpr15
                                        ; implicit-def: $vgpr16_vgpr17
	s_nop 1
	v_mul_f64 v[4:5], v[12:13], -v[2:3]
	v_mul_f64 v[6:7], v[0:1], v[12:13]
	v_fmac_f64_e32 v[4:5], v[0:1], v[10:11]
	v_fmac_f64_e32 v[6:7], v[2:3], v[10:11]
	global_store_dwordx4 v[8:9], v[4:7], off offset:16
                                        ; implicit-def: $vgpr0_vgpr1
                                        ; implicit-def: $vgpr2_vgpr3
                                        ; implicit-def: $vgpr4_vgpr5
                                        ; implicit-def: $vgpr6_vgpr7
                                        ; implicit-def: $vgpr8
                                        ; implicit-def: $vgpr10_vgpr11
                                        ; implicit-def: $vgpr12_vgpr13
.LBB295_27:
	s_andn2_saveexec_b64 s[0:1], s[0:1]
	s_cbranch_execz .LBB295_29
; %bb.28:
	v_lshlrev_b32_e32 v8, 1, v8
	v_ashrrev_i32_e32 v9, 31, v8
	s_waitcnt lgkmcnt(0)
	v_lshl_add_u64 v[26:27], v[8:9], 4, s[2:3]
	global_load_dwordx4 v[18:21], v[26:27], off
	global_load_dwordx4 v[22:25], v[26:27], off offset:16
	v_mul_f64 v[28:29], v[16:17], -v[2:3]
	v_mul_f64 v[16:17], v[0:1], v[16:17]
	v_mul_f64 v[30:31], v[12:13], -v[2:3]
	v_mul_f64 v[8:9], v[0:1], v[12:13]
	v_fmac_f64_e32 v[28:29], v[0:1], v[14:15]
	v_fmac_f64_e32 v[16:17], v[2:3], v[14:15]
	;; [unrolled: 1-line block ×4, first 2 shown]
	s_waitcnt vmcnt(1)
	v_fmac_f64_e32 v[28:29], v[4:5], v[18:19]
	v_fmac_f64_e32 v[16:17], v[6:7], v[18:19]
	s_waitcnt vmcnt(0)
	v_fmac_f64_e32 v[30:31], v[4:5], v[22:23]
	v_fmac_f64_e32 v[8:9], v[6:7], v[22:23]
	v_fma_f64 v[14:15], -v[6:7], v[20:21], v[28:29]
	v_fmac_f64_e32 v[16:17], v[4:5], v[20:21]
	v_fma_f64 v[6:7], -v[6:7], v[24:25], v[30:31]
	v_fmac_f64_e32 v[8:9], v[4:5], v[24:25]
	global_store_dwordx4 v[26:27], v[14:17], off
	global_store_dwordx4 v[26:27], v[6:9], off offset:16
.LBB295_29:
	s_endpgm
	.section	.rodata,"a",@progbits
	.p2align	6, 0x0
	.amdhsa_kernel _ZN9rocsparseL19gebsrmvn_2xn_kernelILj128ELj15ELj16E21rocsparse_complex_numIdEEEvi20rocsparse_direction_NS_24const_host_device_scalarIT2_EEPKiS8_PKS5_SA_S6_PS5_21rocsparse_index_base_b
		.amdhsa_group_segment_fixed_size 2048
		.amdhsa_private_segment_fixed_size 0
		.amdhsa_kernarg_size 88
		.amdhsa_user_sgpr_count 4
		.amdhsa_user_sgpr_dispatch_ptr 1
		.amdhsa_user_sgpr_queue_ptr 0
		.amdhsa_user_sgpr_kernarg_segment_ptr 1
		.amdhsa_user_sgpr_dispatch_id 0
		.amdhsa_user_sgpr_kernarg_preload_length 0
		.amdhsa_user_sgpr_kernarg_preload_offset 0
		.amdhsa_user_sgpr_private_segment_size 0
		.amdhsa_uses_dynamic_stack 0
		.amdhsa_enable_private_segment 0
		.amdhsa_system_sgpr_workgroup_id_x 1
		.amdhsa_system_sgpr_workgroup_id_y 0
		.amdhsa_system_sgpr_workgroup_id_z 0
		.amdhsa_system_sgpr_workgroup_info 0
		.amdhsa_system_vgpr_workitem_id 2
		.amdhsa_next_free_vgpr 100
		.amdhsa_next_free_sgpr 20
		.amdhsa_accum_offset 100
		.amdhsa_reserve_vcc 1
		.amdhsa_float_round_mode_32 0
		.amdhsa_float_round_mode_16_64 0
		.amdhsa_float_denorm_mode_32 3
		.amdhsa_float_denorm_mode_16_64 3
		.amdhsa_dx10_clamp 1
		.amdhsa_ieee_mode 1
		.amdhsa_fp16_overflow 0
		.amdhsa_tg_split 0
		.amdhsa_exception_fp_ieee_invalid_op 0
		.amdhsa_exception_fp_denorm_src 0
		.amdhsa_exception_fp_ieee_div_zero 0
		.amdhsa_exception_fp_ieee_overflow 0
		.amdhsa_exception_fp_ieee_underflow 0
		.amdhsa_exception_fp_ieee_inexact 0
		.amdhsa_exception_int_div_zero 0
	.end_amdhsa_kernel
	.section	.text._ZN9rocsparseL19gebsrmvn_2xn_kernelILj128ELj15ELj16E21rocsparse_complex_numIdEEEvi20rocsparse_direction_NS_24const_host_device_scalarIT2_EEPKiS8_PKS5_SA_S6_PS5_21rocsparse_index_base_b,"axG",@progbits,_ZN9rocsparseL19gebsrmvn_2xn_kernelILj128ELj15ELj16E21rocsparse_complex_numIdEEEvi20rocsparse_direction_NS_24const_host_device_scalarIT2_EEPKiS8_PKS5_SA_S6_PS5_21rocsparse_index_base_b,comdat
.Lfunc_end295:
	.size	_ZN9rocsparseL19gebsrmvn_2xn_kernelILj128ELj15ELj16E21rocsparse_complex_numIdEEEvi20rocsparse_direction_NS_24const_host_device_scalarIT2_EEPKiS8_PKS5_SA_S6_PS5_21rocsparse_index_base_b, .Lfunc_end295-_ZN9rocsparseL19gebsrmvn_2xn_kernelILj128ELj15ELj16E21rocsparse_complex_numIdEEEvi20rocsparse_direction_NS_24const_host_device_scalarIT2_EEPKiS8_PKS5_SA_S6_PS5_21rocsparse_index_base_b
                                        ; -- End function
	.section	.AMDGPU.csdata,"",@progbits
; Kernel info:
; codeLenInByte = 2504
; NumSgprs: 26
; NumVgprs: 100
; NumAgprs: 0
; TotalNumVgprs: 100
; ScratchSize: 0
; MemoryBound: 0
; FloatMode: 240
; IeeeMode: 1
; LDSByteSize: 2048 bytes/workgroup (compile time only)
; SGPRBlocks: 3
; VGPRBlocks: 12
; NumSGPRsForWavesPerEU: 26
; NumVGPRsForWavesPerEU: 100
; AccumOffset: 100
; Occupancy: 4
; WaveLimiterHint : 1
; COMPUTE_PGM_RSRC2:SCRATCH_EN: 0
; COMPUTE_PGM_RSRC2:USER_SGPR: 4
; COMPUTE_PGM_RSRC2:TRAP_HANDLER: 0
; COMPUTE_PGM_RSRC2:TGID_X_EN: 1
; COMPUTE_PGM_RSRC2:TGID_Y_EN: 0
; COMPUTE_PGM_RSRC2:TGID_Z_EN: 0
; COMPUTE_PGM_RSRC2:TIDIG_COMP_CNT: 2
; COMPUTE_PGM_RSRC3_GFX90A:ACCUM_OFFSET: 24
; COMPUTE_PGM_RSRC3_GFX90A:TG_SPLIT: 0
	.section	.text._ZN9rocsparseL19gebsrmvn_2xn_kernelILj128ELj15ELj32E21rocsparse_complex_numIdEEEvi20rocsparse_direction_NS_24const_host_device_scalarIT2_EEPKiS8_PKS5_SA_S6_PS5_21rocsparse_index_base_b,"axG",@progbits,_ZN9rocsparseL19gebsrmvn_2xn_kernelILj128ELj15ELj32E21rocsparse_complex_numIdEEEvi20rocsparse_direction_NS_24const_host_device_scalarIT2_EEPKiS8_PKS5_SA_S6_PS5_21rocsparse_index_base_b,comdat
	.globl	_ZN9rocsparseL19gebsrmvn_2xn_kernelILj128ELj15ELj32E21rocsparse_complex_numIdEEEvi20rocsparse_direction_NS_24const_host_device_scalarIT2_EEPKiS8_PKS5_SA_S6_PS5_21rocsparse_index_base_b ; -- Begin function _ZN9rocsparseL19gebsrmvn_2xn_kernelILj128ELj15ELj32E21rocsparse_complex_numIdEEEvi20rocsparse_direction_NS_24const_host_device_scalarIT2_EEPKiS8_PKS5_SA_S6_PS5_21rocsparse_index_base_b
	.p2align	8
	.type	_ZN9rocsparseL19gebsrmvn_2xn_kernelILj128ELj15ELj32E21rocsparse_complex_numIdEEEvi20rocsparse_direction_NS_24const_host_device_scalarIT2_EEPKiS8_PKS5_SA_S6_PS5_21rocsparse_index_base_b,@function
_ZN9rocsparseL19gebsrmvn_2xn_kernelILj128ELj15ELj32E21rocsparse_complex_numIdEEEvi20rocsparse_direction_NS_24const_host_device_scalarIT2_EEPKiS8_PKS5_SA_S6_PS5_21rocsparse_index_base_b: ; @_ZN9rocsparseL19gebsrmvn_2xn_kernelILj128ELj15ELj32E21rocsparse_complex_numIdEEEvi20rocsparse_direction_NS_24const_host_device_scalarIT2_EEPKiS8_PKS5_SA_S6_PS5_21rocsparse_index_base_b
; %bb.0:
	s_load_dwordx2 s[16:17], s[2:3], 0x50
	s_load_dwordx4 s[12:15], s[2:3], 0x8
	s_load_dwordx4 s[8:11], s[2:3], 0x38
	s_load_dwordx2 s[18:19], s[0:1], 0x4
	s_mov_b64 s[6:7], src_shared_base
	s_waitcnt lgkmcnt(0)
	s_bitcmp1_b32 s17, 0
	s_cselect_b64 s[0:1], -1, 0
	s_and_b64 vcc, s[0:1], exec
	s_cselect_b32 s5, s7, s13
	s_lshr_b32 s6, s18, 16
	v_bfe_u32 v1, v0, 10, 10
	v_and_b32_e32 v10, 0x3ff, v0
	s_mul_i32 s6, s6, s19
	v_mul_u32_u24_e32 v1, s19, v1
	v_mad_u32_u24 v1, s6, v10, v1
	v_bfe_u32 v0, v0, 20, 10
	v_add_lshl_u32 v4, v1, v0, 3
	v_mov_b32_e32 v5, s12
	v_add_u32_e32 v6, 0x400, v4
	v_mov_b64_e32 v[0:1], s[12:13]
	v_mov_b64_e32 v[2:3], s[8:9]
	ds_write2st64_b64 v4, v[2:3], v[0:1] offset1:2
	v_cndmask_b32_e64 v0, v5, v6, s[0:1]
	v_mov_b32_e32 v1, s5
	flat_load_dwordx2 v[0:1], v[0:1]
	s_xor_b64 s[18:19], s[0:1], -1
	v_mov_b64_e32 v[2:3], s[14:15]
	s_cbranch_vccnz .LBB296_2
; %bb.1:
	v_mov_b64_e32 v[2:3], s[12:13]
	flat_load_dwordx2 v[2:3], v[2:3] offset:8
.LBB296_2:
	s_and_b64 s[12:13], s[0:1], exec
	s_cselect_b32 s5, s7, s9
	v_mov_b32_e32 v5, s8
	v_cndmask_b32_e64 v4, v5, v4, s[0:1]
	v_mov_b32_e32 v5, s5
	flat_load_dwordx2 v[4:5], v[4:5]
	s_andn2_b64 vcc, exec, s[18:19]
	v_mov_b64_e32 v[6:7], s[10:11]
	s_cbranch_vccnz .LBB296_4
; %bb.3:
	v_mov_b64_e32 v[6:7], s[8:9]
	flat_load_dwordx2 v[6:7], v[6:7] offset:8
.LBB296_4:
	s_waitcnt vmcnt(0) lgkmcnt(0)
	v_cmp_eq_f64_e32 vcc, 0, v[0:1]
	v_cmp_eq_f64_e64 s[0:1], 0, v[2:3]
	s_and_b64 s[8:9], vcc, s[0:1]
	s_mov_b64 s[0:1], -1
	s_and_saveexec_b64 s[6:7], s[8:9]
; %bb.5:
	v_cmp_neq_f64_e32 vcc, 1.0, v[4:5]
	v_cmp_neq_f64_e64 s[0:1], 0, v[6:7]
	s_or_b64 s[0:1], vcc, s[0:1]
	s_orn2_b64 s[0:1], s[0:1], exec
; %bb.6:
	s_or_b64 exec, exec, s[6:7]
	s_and_saveexec_b64 s[6:7], s[0:1]
	s_cbranch_execz .LBB296_29
; %bb.7:
	s_load_dwordx2 s[0:1], s[2:3], 0x0
	v_lshrrev_b32_e32 v8, 5, v10
	v_lshl_or_b32 v8, s4, 2, v8
	s_waitcnt lgkmcnt(0)
	v_cmp_gt_i32_e32 vcc, s0, v8
	s_and_b64 exec, exec, vcc
	s_cbranch_execz .LBB296_29
; %bb.8:
	s_load_dwordx8 s[4:11], s[2:3], 0x18
	v_ashrrev_i32_e32 v9, 31, v8
	s_cmp_lg_u32 s1, 0
	s_waitcnt lgkmcnt(0)
	v_lshl_add_u64 v[12:13], v[8:9], 2, s[4:5]
	global_load_dwordx2 v[20:21], v[12:13], off
	v_and_b32_e32 v9, 31, v10
	s_waitcnt vmcnt(0)
	v_subrev_u32_e32 v10, s16, v20
	v_subrev_u32_e32 v30, s16, v21
	v_add_u32_e32 v14, v10, v9
	v_cmp_lt_i32_e64 s[0:1], v14, v30
	s_cbranch_scc0 .LBB296_16
; %bb.9:
	v_mov_b64_e32 v[12:13], 0
	s_mov_b64 s[4:5], 0
	v_mov_b64_e32 v[18:19], v[12:13]
	v_mov_b64_e32 v[16:17], v[12:13]
	;; [unrolled: 1-line block ×3, first 2 shown]
	s_and_saveexec_b64 s[12:13], s[0:1]
	s_cbranch_execz .LBB296_15
; %bb.10:
	v_mad_u64_u32 v[22:23], s[14:15], v14, 30, 8
	v_mov_b64_e32 v[12:13], 0
	s_mov_b64 s[14:15], 0
	v_mov_b32_e32 v25, 0
	v_mov_b32_e32 v26, v14
	v_mov_b64_e32 v[18:19], v[12:13]
	v_mov_b64_e32 v[16:17], v[12:13]
	;; [unrolled: 1-line block ×3, first 2 shown]
.LBB296_11:                             ; =>This Loop Header: Depth=1
                                        ;     Child Loop BB296_12 Depth 2
	v_ashrrev_i32_e32 v27, 31, v26
	v_lshl_add_u64 v[28:29], v[26:27], 2, s[6:7]
	global_load_dword v15, v[28:29], off
	v_mov_b32_e32 v28, v22
	s_mov_b32 s17, 0
	s_waitcnt vmcnt(0)
	v_subrev_u32_e32 v15, s16, v15
	v_mul_lo_u32 v15, v15, 15
.LBB296_12:                             ;   Parent Loop BB296_11 Depth=1
                                        ; =>  This Inner Loop Header: Depth=2
	v_add_u32_e32 v24, -8, v28
	v_add_u32_e32 v32, -6, v28
	v_mov_b32_e32 v33, v25
	v_add_u32_e32 v34, -4, v28
	v_mov_b32_e32 v35, v25
	;; [unrolled: 2-line block ×3, first 2 shown]
	v_mov_b32_e32 v29, v25
	v_lshl_add_u64 v[40:41], v[24:25], 4, s[8:9]
	v_add_u32_e32 v24, s17, v15
	v_lshl_add_u64 v[48:49], v[32:33], 4, s[8:9]
	v_lshl_add_u64 v[56:57], v[34:35], 4, s[8:9]
	;; [unrolled: 1-line block ×5, first 2 shown]
	global_load_dwordx4 v[32:35], v[40:41], off offset:16
	global_load_dwordx4 v[36:39], v[40:41], off
	s_nop 0
	global_load_dwordx4 v[40:43], v[48:49], off offset:16
	global_load_dwordx4 v[44:47], v[48:49], off
	s_nop 0
	;; [unrolled: 3-line block ×4, first 2 shown]
	global_load_dwordx4 v[64:67], v[72:73], off offset:16
	global_load_dwordx4 v[68:71], v[72:73], off
	v_mov_b32_e32 v77, v25
	global_load_dwordx4 v[72:75], v[74:75], off
	v_add_u32_e32 v76, 1, v24
	v_mov_b32_e32 v79, v25
	v_mov_b32_e32 v81, v25
	v_add_u32_e32 v78, 2, v24
	v_add_u32_e32 v80, 3, v24
	v_add_u32_e32 v24, 4, v24
	v_lshl_add_u64 v[92:93], v[76:77], 4, s[10:11]
	v_lshl_add_u64 v[94:95], v[78:79], 4, s[10:11]
	;; [unrolled: 1-line block ×4, first 2 shown]
	global_load_dwordx4 v[76:79], v[92:93], off
	global_load_dwordx4 v[80:83], v[94:95], off
	;; [unrolled: 1-line block ×4, first 2 shown]
	s_add_i32 s17, s17, 5
	v_add_u32_e32 v28, 10, v28
	s_cmp_eq_u32 s17, 15
	s_waitcnt vmcnt(4)
	v_fmac_f64_e32 v[18:19], v[36:37], v[72:73]
	v_fmac_f64_e32 v[12:13], v[38:39], v[72:73]
	v_fmac_f64_e32 v[16:17], v[32:33], v[72:73]
	v_fmac_f64_e32 v[10:11], v[34:35], v[72:73]
	v_fma_f64 v[18:19], -v[38:39], v[74:75], v[18:19]
	v_fmac_f64_e32 v[12:13], v[36:37], v[74:75]
	v_fma_f64 v[16:17], -v[34:35], v[74:75], v[16:17]
	v_fmac_f64_e32 v[10:11], v[32:33], v[74:75]
	s_waitcnt vmcnt(3)
	v_fmac_f64_e32 v[18:19], v[44:45], v[76:77]
	v_fmac_f64_e32 v[12:13], v[46:47], v[76:77]
	v_fmac_f64_e32 v[16:17], v[40:41], v[76:77]
	v_fmac_f64_e32 v[10:11], v[42:43], v[76:77]
	v_fma_f64 v[18:19], -v[46:47], v[78:79], v[18:19]
	v_fmac_f64_e32 v[12:13], v[44:45], v[78:79]
	v_fma_f64 v[16:17], -v[42:43], v[78:79], v[16:17]
	v_fmac_f64_e32 v[10:11], v[40:41], v[78:79]
	s_waitcnt vmcnt(2)
	v_fmac_f64_e32 v[18:19], v[52:53], v[80:81]
	v_fmac_f64_e32 v[12:13], v[54:55], v[80:81]
	v_fmac_f64_e32 v[16:17], v[48:49], v[80:81]
	v_fmac_f64_e32 v[10:11], v[50:51], v[80:81]
	v_fma_f64 v[18:19], -v[54:55], v[82:83], v[18:19]
	v_fmac_f64_e32 v[12:13], v[52:53], v[82:83]
	v_fma_f64 v[16:17], -v[50:51], v[82:83], v[16:17]
	v_fmac_f64_e32 v[10:11], v[48:49], v[82:83]
	s_waitcnt vmcnt(1)
	v_fmac_f64_e32 v[18:19], v[60:61], v[84:85]
	v_fmac_f64_e32 v[12:13], v[62:63], v[84:85]
	v_fmac_f64_e32 v[16:17], v[56:57], v[84:85]
	v_fmac_f64_e32 v[10:11], v[58:59], v[84:85]
	v_fma_f64 v[18:19], -v[62:63], v[86:87], v[18:19]
	v_fmac_f64_e32 v[12:13], v[60:61], v[86:87]
	v_fma_f64 v[16:17], -v[58:59], v[86:87], v[16:17]
	v_fmac_f64_e32 v[10:11], v[56:57], v[86:87]
	s_waitcnt vmcnt(0)
	v_fmac_f64_e32 v[18:19], v[68:69], v[88:89]
	v_fmac_f64_e32 v[12:13], v[70:71], v[88:89]
	v_fmac_f64_e32 v[16:17], v[64:65], v[88:89]
	v_fmac_f64_e32 v[10:11], v[66:67], v[88:89]
	v_fma_f64 v[18:19], -v[70:71], v[90:91], v[18:19]
	v_fmac_f64_e32 v[12:13], v[68:69], v[90:91]
	v_fma_f64 v[16:17], -v[66:67], v[90:91], v[16:17]
	v_fmac_f64_e32 v[10:11], v[64:65], v[90:91]
	s_cbranch_scc0 .LBB296_12
; %bb.13:                               ;   in Loop: Header=BB296_11 Depth=1
	v_add_u32_e32 v26, 32, v26
	v_cmp_ge_i32_e32 vcc, v26, v30
	s_or_b64 s[14:15], vcc, s[14:15]
	v_add_u32_e32 v22, 0x3c0, v22
	s_andn2_b64 exec, exec, s[14:15]
	s_cbranch_execnz .LBB296_11
; %bb.14:
	s_or_b64 exec, exec, s[14:15]
.LBB296_15:
	s_or_b64 exec, exec, s[12:13]
	s_andn2_b64 vcc, exec, s[4:5]
	s_cbranch_vccz .LBB296_17
	s_branch .LBB296_24
.LBB296_16:
                                        ; implicit-def: $vgpr12_vgpr13
                                        ; implicit-def: $vgpr18_vgpr19
                                        ; implicit-def: $vgpr16_vgpr17
                                        ; implicit-def: $vgpr10_vgpr11
.LBB296_17:
	v_mov_b64_e32 v[12:13], 0
	v_mov_b64_e32 v[18:19], v[12:13]
	;; [unrolled: 1-line block ×4, first 2 shown]
	s_and_saveexec_b64 s[4:5], s[0:1]
	s_cbranch_execz .LBB296_23
; %bb.18:
	v_mul_lo_u32 v10, v20, 30
	v_mad_u32_u24 v10, v9, 30, v10
	s_mul_i32 s0, s16, 30
	v_mov_b64_e32 v[12:13], 0
	v_mul_lo_u32 v22, v14, 30
	v_subrev_u32_e32 v23, s0, v10
	s_mov_b64 s[0:1], 0
	v_mov_b32_e32 v21, 0
	v_mov_b64_e32 v[18:19], v[12:13]
	v_mov_b64_e32 v[16:17], v[12:13]
	;; [unrolled: 1-line block ×3, first 2 shown]
.LBB296_19:                             ; =>This Loop Header: Depth=1
                                        ;     Child Loop BB296_20 Depth 2
	v_ashrrev_i32_e32 v15, 31, v14
	v_lshl_add_u64 v[24:25], v[14:15], 2, s[6:7]
	global_load_dword v15, v[24:25], off
	s_mov_b32 s12, 0
	s_waitcnt vmcnt(0)
	v_subrev_u32_e32 v15, s16, v15
	v_mul_lo_u32 v15, v15, 15
.LBB296_20:                             ;   Parent Loop BB296_19 Depth=1
                                        ; =>  This Inner Loop Header: Depth=2
	v_add_u32_e32 v20, s12, v23
	v_add_u32_e32 v31, s12, v22
	v_lshl_add_u64 v[24:25], v[20:21], 4, s[8:9]
	v_add_u32_e32 v20, s12, v15
	v_mov_b32_e32 v29, v21
	v_mov_b32_e32 v33, v21
	;; [unrolled: 1-line block ×7, first 2 shown]
	v_add_u32_e32 v28, 15, v31
	v_add_u32_e32 v32, 1, v31
	;; [unrolled: 1-line block ×7, first 2 shown]
	global_load_dwordx4 v[24:27], v[24:25], off
	v_lshl_add_u64 v[48:49], v[20:21], 4, s[10:11]
	v_lshl_add_u64 v[28:29], v[28:29], 4, s[8:9]
	;; [unrolled: 1-line block ×8, first 2 shown]
	global_load_dwordx4 v[32:35], v[48:49], off
	global_load_dwordx4 v[36:39], v[28:29], off
	;; [unrolled: 1-line block ×3, first 2 shown]
	v_mov_b32_e32 v45, v21
	v_mov_b32_e32 v47, v21
	v_add_u32_e32 v46, 4, v31
	v_add_u32_e32 v44, 1, v20
	v_lshl_add_u64 v[70:71], v[46:47], 4, s[8:9]
	v_lshl_add_u64 v[28:29], v[44:45], 4, s[10:11]
	global_load_dwordx4 v[44:47], v[54:55], off
	global_load_dwordx4 v[48:51], v[56:57], off
	v_mov_b32_e32 v53, v21
	v_mov_b32_e32 v61, v21
	v_add_u32_e32 v52, 2, v20
	v_add_u32_e32 v60, 3, v20
	;; [unrolled: 1-line block ×3, first 2 shown]
	v_lshl_add_u64 v[84:85], v[52:53], 4, s[10:11]
	global_load_dwordx4 v[52:55], v[62:63], off
	global_load_dwordx4 v[56:59], v[64:65], off
	v_lshl_add_u64 v[86:87], v[60:61], 4, s[10:11]
	global_load_dwordx4 v[60:63], v[68:69], off
	global_load_dwordx4 v[64:67], v[70:71], off
	;; [unrolled: 3-line block ×3, first 2 shown]
	global_load_dwordx4 v[76:79], v[86:87], off
	global_load_dwordx4 v[80:83], v[88:89], off
	v_add_u32_e32 v20, 19, v31
	v_lshl_add_u64 v[28:29], v[20:21], 4, s[8:9]
	global_load_dwordx4 v[84:87], v[28:29], off
	s_add_i32 s12, s12, 5
	s_cmp_eq_u32 s12, 15
	s_waitcnt vmcnt(13)
	v_fmac_f64_e32 v[18:19], v[24:25], v[32:33]
	v_fmac_f64_e32 v[12:13], v[26:27], v[32:33]
	s_waitcnt vmcnt(12)
	v_fmac_f64_e32 v[16:17], v[36:37], v[32:33]
	v_fmac_f64_e32 v[10:11], v[38:39], v[32:33]
	v_fma_f64 v[18:19], -v[26:27], v[34:35], v[18:19]
	v_fmac_f64_e32 v[12:13], v[24:25], v[34:35]
	v_fma_f64 v[16:17], -v[38:39], v[34:35], v[16:17]
	v_fmac_f64_e32 v[10:11], v[36:37], v[34:35]
	s_waitcnt vmcnt(4)
	v_fmac_f64_e32 v[18:19], v[40:41], v[68:69]
	v_fmac_f64_e32 v[12:13], v[42:43], v[68:69]
	v_fmac_f64_e32 v[16:17], v[44:45], v[68:69]
	v_fmac_f64_e32 v[10:11], v[46:47], v[68:69]
	v_fma_f64 v[18:19], -v[42:43], v[70:71], v[18:19]
	v_fmac_f64_e32 v[12:13], v[40:41], v[70:71]
	v_fma_f64 v[16:17], -v[46:47], v[70:71], v[16:17]
	v_fmac_f64_e32 v[10:11], v[44:45], v[70:71]
	s_waitcnt vmcnt(3)
	v_fmac_f64_e32 v[18:19], v[48:49], v[72:73]
	v_fmac_f64_e32 v[12:13], v[50:51], v[72:73]
	;; [unrolled: 9-line block ×4, first 2 shown]
	s_waitcnt vmcnt(0)
	v_fmac_f64_e32 v[16:17], v[84:85], v[80:81]
	v_fmac_f64_e32 v[10:11], v[86:87], v[80:81]
	v_fma_f64 v[18:19], -v[66:67], v[82:83], v[18:19]
	v_fmac_f64_e32 v[12:13], v[64:65], v[82:83]
	v_fma_f64 v[16:17], -v[86:87], v[82:83], v[16:17]
	v_fmac_f64_e32 v[10:11], v[84:85], v[82:83]
	s_cbranch_scc0 .LBB296_20
; %bb.21:                               ;   in Loop: Header=BB296_19 Depth=1
	v_add_u32_e32 v14, 32, v14
	v_cmp_ge_i32_e32 vcc, v14, v30
	v_add_u32_e32 v22, 0x3c0, v22
	s_or_b64 s[0:1], vcc, s[0:1]
	v_add_u32_e32 v23, 0x3c0, v23
	s_andn2_b64 exec, exec, s[0:1]
	s_cbranch_execnz .LBB296_19
; %bb.22:
	s_or_b64 exec, exec, s[0:1]
.LBB296_23:
	s_or_b64 exec, exec, s[4:5]
.LBB296_24:
	v_mov_b32_dpp v22, v16 row_shr:1 row_mask:0xf bank_mask:0xf
	v_mov_b32_dpp v23, v17 row_shr:1 row_mask:0xf bank_mask:0xf
	v_add_f64 v[16:17], v[16:17], v[22:23]
	v_mov_b32_dpp v14, v18 row_shr:1 row_mask:0xf bank_mask:0xf
	v_mov_b32_dpp v15, v19 row_shr:1 row_mask:0xf bank_mask:0xf
	;; [unrolled: 1-line block ×4, first 2 shown]
	v_add_f64 v[16:17], v[16:17], v[22:23]
	v_mov_b32_dpp v20, v12 row_shr:1 row_mask:0xf bank_mask:0xf
	v_mov_b32_dpp v21, v13 row_shr:1 row_mask:0xf bank_mask:0xf
	;; [unrolled: 1-line block ×4, first 2 shown]
	v_add_f64 v[16:17], v[16:17], v[22:23]
	v_add_f64 v[14:15], v[18:19], v[14:15]
	;; [unrolled: 1-line block ×3, first 2 shown]
	v_mov_b32_dpp v22, v16 row_shr:8 row_mask:0xf bank_mask:0xc
	v_mov_b32_dpp v23, v17 row_shr:8 row_mask:0xf bank_mask:0xc
	v_add_f64 v[22:23], v[16:17], v[22:23]
	v_mov_b32_dpp v16, v10 row_shr:1 row_mask:0xf bank_mask:0xf
	v_mov_b32_dpp v17, v11 row_shr:1 row_mask:0xf bank_mask:0xf
	v_add_f64 v[10:11], v[10:11], v[16:17]
	v_mov_b32_dpp v18, v14 row_shr:2 row_mask:0xf bank_mask:0xf
	v_mov_b32_dpp v19, v15 row_shr:2 row_mask:0xf bank_mask:0xf
	v_mov_b32_dpp v20, v12 row_shr:2 row_mask:0xf bank_mask:0xf
	v_mov_b32_dpp v21, v13 row_shr:2 row_mask:0xf bank_mask:0xf
	v_mov_b32_dpp v16, v10 row_shr:2 row_mask:0xf bank_mask:0xf
	v_mov_b32_dpp v17, v11 row_shr:2 row_mask:0xf bank_mask:0xf
	v_add_f64 v[14:15], v[14:15], v[18:19]
	v_add_f64 v[12:13], v[12:13], v[20:21]
	v_add_f64 v[10:11], v[10:11], v[16:17]
	v_mov_b32_dpp v18, v14 row_shr:4 row_mask:0xf bank_mask:0xe
	v_mov_b32_dpp v19, v15 row_shr:4 row_mask:0xf bank_mask:0xe
	v_mov_b32_dpp v20, v12 row_shr:4 row_mask:0xf bank_mask:0xe
	v_mov_b32_dpp v21, v13 row_shr:4 row_mask:0xf bank_mask:0xe
	v_mov_b32_dpp v16, v10 row_shr:4 row_mask:0xf bank_mask:0xe
	v_mov_b32_dpp v17, v11 row_shr:4 row_mask:0xf bank_mask:0xe
	v_add_f64 v[14:15], v[14:15], v[18:19]
	v_add_f64 v[12:13], v[12:13], v[20:21]
	;; [unrolled: 9-line block ×3, first 2 shown]
	v_add_f64 v[26:27], v[10:11], v[16:17]
	v_mov_b32_dpp v18, v14 row_bcast:15 row_mask:0xa bank_mask:0xf
	v_mov_b32_dpp v19, v15 row_bcast:15 row_mask:0xa bank_mask:0xf
	;; [unrolled: 1-line block ×8, first 2 shown]
	v_cmp_eq_u32_e32 vcc, 31, v9
	s_and_b64 exec, exec, vcc
	s_cbranch_execz .LBB296_29
; %bb.25:
	s_load_dwordx2 s[2:3], s[2:3], 0x48
	v_cmp_eq_f64_e32 vcc, 0, v[4:5]
	v_cmp_eq_f64_e64 s[0:1], 0, v[6:7]
	v_add_f64 v[14:15], v[14:15], v[18:19]
	v_add_f64 v[16:17], v[12:13], v[20:21]
	;; [unrolled: 1-line block ×4, first 2 shown]
	s_and_b64 s[0:1], vcc, s[0:1]
	s_and_saveexec_b64 s[4:5], s[0:1]
	s_xor_b64 s[0:1], exec, s[4:5]
	s_cbranch_execz .LBB296_27
; %bb.26:
	v_lshlrev_b32_e32 v8, 1, v8
	v_mul_f64 v[4:5], v[16:17], -v[2:3]
	v_mul_f64 v[6:7], v[0:1], v[16:17]
	v_ashrrev_i32_e32 v9, 31, v8
	v_fmac_f64_e32 v[4:5], v[0:1], v[14:15]
	v_fmac_f64_e32 v[6:7], v[2:3], v[14:15]
	s_waitcnt lgkmcnt(0)
	v_lshl_add_u64 v[8:9], v[8:9], 4, s[2:3]
	global_store_dwordx4 v[8:9], v[4:7], off
                                        ; implicit-def: $vgpr14_vgpr15
                                        ; implicit-def: $vgpr16_vgpr17
	s_nop 1
	v_mul_f64 v[4:5], v[12:13], -v[2:3]
	v_mul_f64 v[6:7], v[0:1], v[12:13]
	v_fmac_f64_e32 v[4:5], v[0:1], v[10:11]
	v_fmac_f64_e32 v[6:7], v[2:3], v[10:11]
	global_store_dwordx4 v[8:9], v[4:7], off offset:16
                                        ; implicit-def: $vgpr0_vgpr1
                                        ; implicit-def: $vgpr2_vgpr3
                                        ; implicit-def: $vgpr4_vgpr5
                                        ; implicit-def: $vgpr6_vgpr7
                                        ; implicit-def: $vgpr8
                                        ; implicit-def: $vgpr10_vgpr11
                                        ; implicit-def: $vgpr12_vgpr13
.LBB296_27:
	s_andn2_saveexec_b64 s[0:1], s[0:1]
	s_cbranch_execz .LBB296_29
; %bb.28:
	v_lshlrev_b32_e32 v8, 1, v8
	v_ashrrev_i32_e32 v9, 31, v8
	s_waitcnt lgkmcnt(0)
	v_lshl_add_u64 v[26:27], v[8:9], 4, s[2:3]
	global_load_dwordx4 v[18:21], v[26:27], off
	global_load_dwordx4 v[22:25], v[26:27], off offset:16
	v_mul_f64 v[28:29], v[16:17], -v[2:3]
	v_mul_f64 v[16:17], v[0:1], v[16:17]
	v_mul_f64 v[30:31], v[12:13], -v[2:3]
	v_mul_f64 v[8:9], v[0:1], v[12:13]
	v_fmac_f64_e32 v[28:29], v[0:1], v[14:15]
	v_fmac_f64_e32 v[16:17], v[2:3], v[14:15]
	;; [unrolled: 1-line block ×4, first 2 shown]
	s_waitcnt vmcnt(1)
	v_fmac_f64_e32 v[28:29], v[4:5], v[18:19]
	v_fmac_f64_e32 v[16:17], v[6:7], v[18:19]
	s_waitcnt vmcnt(0)
	v_fmac_f64_e32 v[30:31], v[4:5], v[22:23]
	v_fmac_f64_e32 v[8:9], v[6:7], v[22:23]
	v_fma_f64 v[14:15], -v[6:7], v[20:21], v[28:29]
	v_fmac_f64_e32 v[16:17], v[4:5], v[20:21]
	v_fma_f64 v[6:7], -v[6:7], v[24:25], v[30:31]
	v_fmac_f64_e32 v[8:9], v[4:5], v[24:25]
	global_store_dwordx4 v[26:27], v[14:17], off
	global_store_dwordx4 v[26:27], v[6:9], off offset:16
.LBB296_29:
	s_endpgm
	.section	.rodata,"a",@progbits
	.p2align	6, 0x0
	.amdhsa_kernel _ZN9rocsparseL19gebsrmvn_2xn_kernelILj128ELj15ELj32E21rocsparse_complex_numIdEEEvi20rocsparse_direction_NS_24const_host_device_scalarIT2_EEPKiS8_PKS5_SA_S6_PS5_21rocsparse_index_base_b
		.amdhsa_group_segment_fixed_size 2048
		.amdhsa_private_segment_fixed_size 0
		.amdhsa_kernarg_size 88
		.amdhsa_user_sgpr_count 4
		.amdhsa_user_sgpr_dispatch_ptr 1
		.amdhsa_user_sgpr_queue_ptr 0
		.amdhsa_user_sgpr_kernarg_segment_ptr 1
		.amdhsa_user_sgpr_dispatch_id 0
		.amdhsa_user_sgpr_kernarg_preload_length 0
		.amdhsa_user_sgpr_kernarg_preload_offset 0
		.amdhsa_user_sgpr_private_segment_size 0
		.amdhsa_uses_dynamic_stack 0
		.amdhsa_enable_private_segment 0
		.amdhsa_system_sgpr_workgroup_id_x 1
		.amdhsa_system_sgpr_workgroup_id_y 0
		.amdhsa_system_sgpr_workgroup_id_z 0
		.amdhsa_system_sgpr_workgroup_info 0
		.amdhsa_system_vgpr_workitem_id 2
		.amdhsa_next_free_vgpr 100
		.amdhsa_next_free_sgpr 20
		.amdhsa_accum_offset 100
		.amdhsa_reserve_vcc 1
		.amdhsa_float_round_mode_32 0
		.amdhsa_float_round_mode_16_64 0
		.amdhsa_float_denorm_mode_32 3
		.amdhsa_float_denorm_mode_16_64 3
		.amdhsa_dx10_clamp 1
		.amdhsa_ieee_mode 1
		.amdhsa_fp16_overflow 0
		.amdhsa_tg_split 0
		.amdhsa_exception_fp_ieee_invalid_op 0
		.amdhsa_exception_fp_denorm_src 0
		.amdhsa_exception_fp_ieee_div_zero 0
		.amdhsa_exception_fp_ieee_overflow 0
		.amdhsa_exception_fp_ieee_underflow 0
		.amdhsa_exception_fp_ieee_inexact 0
		.amdhsa_exception_int_div_zero 0
	.end_amdhsa_kernel
	.section	.text._ZN9rocsparseL19gebsrmvn_2xn_kernelILj128ELj15ELj32E21rocsparse_complex_numIdEEEvi20rocsparse_direction_NS_24const_host_device_scalarIT2_EEPKiS8_PKS5_SA_S6_PS5_21rocsparse_index_base_b,"axG",@progbits,_ZN9rocsparseL19gebsrmvn_2xn_kernelILj128ELj15ELj32E21rocsparse_complex_numIdEEEvi20rocsparse_direction_NS_24const_host_device_scalarIT2_EEPKiS8_PKS5_SA_S6_PS5_21rocsparse_index_base_b,comdat
.Lfunc_end296:
	.size	_ZN9rocsparseL19gebsrmvn_2xn_kernelILj128ELj15ELj32E21rocsparse_complex_numIdEEEvi20rocsparse_direction_NS_24const_host_device_scalarIT2_EEPKiS8_PKS5_SA_S6_PS5_21rocsparse_index_base_b, .Lfunc_end296-_ZN9rocsparseL19gebsrmvn_2xn_kernelILj128ELj15ELj32E21rocsparse_complex_numIdEEEvi20rocsparse_direction_NS_24const_host_device_scalarIT2_EEPKiS8_PKS5_SA_S6_PS5_21rocsparse_index_base_b
                                        ; -- End function
	.section	.AMDGPU.csdata,"",@progbits
; Kernel info:
; codeLenInByte = 2600
; NumSgprs: 26
; NumVgprs: 100
; NumAgprs: 0
; TotalNumVgprs: 100
; ScratchSize: 0
; MemoryBound: 0
; FloatMode: 240
; IeeeMode: 1
; LDSByteSize: 2048 bytes/workgroup (compile time only)
; SGPRBlocks: 3
; VGPRBlocks: 12
; NumSGPRsForWavesPerEU: 26
; NumVGPRsForWavesPerEU: 100
; AccumOffset: 100
; Occupancy: 4
; WaveLimiterHint : 1
; COMPUTE_PGM_RSRC2:SCRATCH_EN: 0
; COMPUTE_PGM_RSRC2:USER_SGPR: 4
; COMPUTE_PGM_RSRC2:TRAP_HANDLER: 0
; COMPUTE_PGM_RSRC2:TGID_X_EN: 1
; COMPUTE_PGM_RSRC2:TGID_Y_EN: 0
; COMPUTE_PGM_RSRC2:TGID_Z_EN: 0
; COMPUTE_PGM_RSRC2:TIDIG_COMP_CNT: 2
; COMPUTE_PGM_RSRC3_GFX90A:ACCUM_OFFSET: 24
; COMPUTE_PGM_RSRC3_GFX90A:TG_SPLIT: 0
	.section	.text._ZN9rocsparseL19gebsrmvn_2xn_kernelILj128ELj15ELj64E21rocsparse_complex_numIdEEEvi20rocsparse_direction_NS_24const_host_device_scalarIT2_EEPKiS8_PKS5_SA_S6_PS5_21rocsparse_index_base_b,"axG",@progbits,_ZN9rocsparseL19gebsrmvn_2xn_kernelILj128ELj15ELj64E21rocsparse_complex_numIdEEEvi20rocsparse_direction_NS_24const_host_device_scalarIT2_EEPKiS8_PKS5_SA_S6_PS5_21rocsparse_index_base_b,comdat
	.globl	_ZN9rocsparseL19gebsrmvn_2xn_kernelILj128ELj15ELj64E21rocsparse_complex_numIdEEEvi20rocsparse_direction_NS_24const_host_device_scalarIT2_EEPKiS8_PKS5_SA_S6_PS5_21rocsparse_index_base_b ; -- Begin function _ZN9rocsparseL19gebsrmvn_2xn_kernelILj128ELj15ELj64E21rocsparse_complex_numIdEEEvi20rocsparse_direction_NS_24const_host_device_scalarIT2_EEPKiS8_PKS5_SA_S6_PS5_21rocsparse_index_base_b
	.p2align	8
	.type	_ZN9rocsparseL19gebsrmvn_2xn_kernelILj128ELj15ELj64E21rocsparse_complex_numIdEEEvi20rocsparse_direction_NS_24const_host_device_scalarIT2_EEPKiS8_PKS5_SA_S6_PS5_21rocsparse_index_base_b,@function
_ZN9rocsparseL19gebsrmvn_2xn_kernelILj128ELj15ELj64E21rocsparse_complex_numIdEEEvi20rocsparse_direction_NS_24const_host_device_scalarIT2_EEPKiS8_PKS5_SA_S6_PS5_21rocsparse_index_base_b: ; @_ZN9rocsparseL19gebsrmvn_2xn_kernelILj128ELj15ELj64E21rocsparse_complex_numIdEEEvi20rocsparse_direction_NS_24const_host_device_scalarIT2_EEPKiS8_PKS5_SA_S6_PS5_21rocsparse_index_base_b
; %bb.0:
	s_load_dwordx2 s[16:17], s[2:3], 0x50
	s_load_dwordx4 s[12:15], s[2:3], 0x8
	s_load_dwordx4 s[8:11], s[2:3], 0x38
	s_load_dwordx2 s[18:19], s[0:1], 0x4
	s_mov_b64 s[6:7], src_shared_base
	s_waitcnt lgkmcnt(0)
	s_bitcmp1_b32 s17, 0
	s_cselect_b64 s[0:1], -1, 0
	s_and_b64 vcc, s[0:1], exec
	s_cselect_b32 s5, s7, s13
	s_lshr_b32 s6, s18, 16
	v_bfe_u32 v1, v0, 10, 10
	v_and_b32_e32 v10, 0x3ff, v0
	s_mul_i32 s6, s6, s19
	v_mul_u32_u24_e32 v1, s19, v1
	v_mad_u32_u24 v1, s6, v10, v1
	v_bfe_u32 v0, v0, 20, 10
	v_add_lshl_u32 v4, v1, v0, 3
	v_mov_b32_e32 v5, s12
	v_add_u32_e32 v6, 0x400, v4
	v_mov_b64_e32 v[0:1], s[12:13]
	v_mov_b64_e32 v[2:3], s[8:9]
	ds_write2st64_b64 v4, v[2:3], v[0:1] offset1:2
	v_cndmask_b32_e64 v0, v5, v6, s[0:1]
	v_mov_b32_e32 v1, s5
	flat_load_dwordx2 v[0:1], v[0:1]
	s_xor_b64 s[18:19], s[0:1], -1
	v_mov_b64_e32 v[2:3], s[14:15]
	s_cbranch_vccnz .LBB297_2
; %bb.1:
	v_mov_b64_e32 v[2:3], s[12:13]
	flat_load_dwordx2 v[2:3], v[2:3] offset:8
.LBB297_2:
	s_and_b64 s[12:13], s[0:1], exec
	s_cselect_b32 s5, s7, s9
	v_mov_b32_e32 v5, s8
	v_cndmask_b32_e64 v4, v5, v4, s[0:1]
	v_mov_b32_e32 v5, s5
	flat_load_dwordx2 v[4:5], v[4:5]
	s_andn2_b64 vcc, exec, s[18:19]
	v_mov_b64_e32 v[6:7], s[10:11]
	s_cbranch_vccnz .LBB297_4
; %bb.3:
	v_mov_b64_e32 v[6:7], s[8:9]
	flat_load_dwordx2 v[6:7], v[6:7] offset:8
.LBB297_4:
	s_waitcnt vmcnt(0) lgkmcnt(0)
	v_cmp_eq_f64_e32 vcc, 0, v[0:1]
	v_cmp_eq_f64_e64 s[0:1], 0, v[2:3]
	s_and_b64 s[8:9], vcc, s[0:1]
	s_mov_b64 s[0:1], -1
	s_and_saveexec_b64 s[6:7], s[8:9]
; %bb.5:
	v_cmp_neq_f64_e32 vcc, 1.0, v[4:5]
	v_cmp_neq_f64_e64 s[0:1], 0, v[6:7]
	s_or_b64 s[0:1], vcc, s[0:1]
	s_orn2_b64 s[0:1], s[0:1], exec
; %bb.6:
	s_or_b64 exec, exec, s[6:7]
	s_and_saveexec_b64 s[6:7], s[0:1]
	s_cbranch_execz .LBB297_29
; %bb.7:
	s_load_dwordx2 s[0:1], s[2:3], 0x0
	v_lshrrev_b32_e32 v8, 6, v10
	v_lshl_or_b32 v8, s4, 1, v8
	s_waitcnt lgkmcnt(0)
	v_cmp_gt_i32_e32 vcc, s0, v8
	s_and_b64 exec, exec, vcc
	s_cbranch_execz .LBB297_29
; %bb.8:
	s_load_dwordx8 s[4:11], s[2:3], 0x18
	v_ashrrev_i32_e32 v9, 31, v8
	s_cmp_lg_u32 s1, 0
	s_waitcnt lgkmcnt(0)
	v_lshl_add_u64 v[12:13], v[8:9], 2, s[4:5]
	global_load_dwordx2 v[20:21], v[12:13], off
	v_and_b32_e32 v9, 63, v10
	s_waitcnt vmcnt(0)
	v_subrev_u32_e32 v10, s16, v20
	v_subrev_u32_e32 v30, s16, v21
	v_add_u32_e32 v14, v10, v9
	v_cmp_lt_i32_e64 s[0:1], v14, v30
	s_cbranch_scc0 .LBB297_16
; %bb.9:
	v_mov_b64_e32 v[12:13], 0
	s_mov_b64 s[4:5], 0
	v_mov_b64_e32 v[18:19], v[12:13]
	v_mov_b64_e32 v[16:17], v[12:13]
	;; [unrolled: 1-line block ×3, first 2 shown]
	s_and_saveexec_b64 s[12:13], s[0:1]
	s_cbranch_execz .LBB297_15
; %bb.10:
	v_mad_u64_u32 v[22:23], s[14:15], v14, 30, 8
	v_mov_b64_e32 v[12:13], 0
	s_mov_b64 s[14:15], 0
	v_mov_b32_e32 v25, 0
	v_mov_b32_e32 v26, v14
	v_mov_b64_e32 v[18:19], v[12:13]
	v_mov_b64_e32 v[16:17], v[12:13]
	;; [unrolled: 1-line block ×3, first 2 shown]
.LBB297_11:                             ; =>This Loop Header: Depth=1
                                        ;     Child Loop BB297_12 Depth 2
	v_ashrrev_i32_e32 v27, 31, v26
	v_lshl_add_u64 v[28:29], v[26:27], 2, s[6:7]
	global_load_dword v15, v[28:29], off
	v_mov_b32_e32 v28, v22
	s_mov_b32 s17, 0
	s_waitcnt vmcnt(0)
	v_subrev_u32_e32 v15, s16, v15
	v_mul_lo_u32 v15, v15, 15
.LBB297_12:                             ;   Parent Loop BB297_11 Depth=1
                                        ; =>  This Inner Loop Header: Depth=2
	v_add_u32_e32 v24, -8, v28
	v_add_u32_e32 v32, -6, v28
	v_mov_b32_e32 v33, v25
	v_add_u32_e32 v34, -4, v28
	v_mov_b32_e32 v35, v25
	;; [unrolled: 2-line block ×3, first 2 shown]
	v_mov_b32_e32 v29, v25
	v_lshl_add_u64 v[40:41], v[24:25], 4, s[8:9]
	v_add_u32_e32 v24, s17, v15
	v_lshl_add_u64 v[48:49], v[32:33], 4, s[8:9]
	v_lshl_add_u64 v[56:57], v[34:35], 4, s[8:9]
	;; [unrolled: 1-line block ×5, first 2 shown]
	global_load_dwordx4 v[32:35], v[40:41], off offset:16
	global_load_dwordx4 v[36:39], v[40:41], off
	s_nop 0
	global_load_dwordx4 v[40:43], v[48:49], off offset:16
	global_load_dwordx4 v[44:47], v[48:49], off
	s_nop 0
	;; [unrolled: 3-line block ×4, first 2 shown]
	global_load_dwordx4 v[64:67], v[72:73], off offset:16
	global_load_dwordx4 v[68:71], v[72:73], off
	v_mov_b32_e32 v77, v25
	global_load_dwordx4 v[72:75], v[74:75], off
	v_add_u32_e32 v76, 1, v24
	v_mov_b32_e32 v79, v25
	v_mov_b32_e32 v81, v25
	v_add_u32_e32 v78, 2, v24
	v_add_u32_e32 v80, 3, v24
	;; [unrolled: 1-line block ×3, first 2 shown]
	v_lshl_add_u64 v[92:93], v[76:77], 4, s[10:11]
	v_lshl_add_u64 v[94:95], v[78:79], 4, s[10:11]
	;; [unrolled: 1-line block ×4, first 2 shown]
	global_load_dwordx4 v[76:79], v[92:93], off
	global_load_dwordx4 v[80:83], v[94:95], off
	;; [unrolled: 1-line block ×4, first 2 shown]
	s_add_i32 s17, s17, 5
	v_add_u32_e32 v28, 10, v28
	s_cmp_eq_u32 s17, 15
	s_waitcnt vmcnt(4)
	v_fmac_f64_e32 v[18:19], v[36:37], v[72:73]
	v_fmac_f64_e32 v[12:13], v[38:39], v[72:73]
	v_fmac_f64_e32 v[16:17], v[32:33], v[72:73]
	v_fmac_f64_e32 v[10:11], v[34:35], v[72:73]
	v_fma_f64 v[18:19], -v[38:39], v[74:75], v[18:19]
	v_fmac_f64_e32 v[12:13], v[36:37], v[74:75]
	v_fma_f64 v[16:17], -v[34:35], v[74:75], v[16:17]
	v_fmac_f64_e32 v[10:11], v[32:33], v[74:75]
	s_waitcnt vmcnt(3)
	v_fmac_f64_e32 v[18:19], v[44:45], v[76:77]
	v_fmac_f64_e32 v[12:13], v[46:47], v[76:77]
	v_fmac_f64_e32 v[16:17], v[40:41], v[76:77]
	v_fmac_f64_e32 v[10:11], v[42:43], v[76:77]
	v_fma_f64 v[18:19], -v[46:47], v[78:79], v[18:19]
	v_fmac_f64_e32 v[12:13], v[44:45], v[78:79]
	v_fma_f64 v[16:17], -v[42:43], v[78:79], v[16:17]
	v_fmac_f64_e32 v[10:11], v[40:41], v[78:79]
	;; [unrolled: 9-line block ×5, first 2 shown]
	s_cbranch_scc0 .LBB297_12
; %bb.13:                               ;   in Loop: Header=BB297_11 Depth=1
	v_add_u32_e32 v26, 64, v26
	v_cmp_ge_i32_e32 vcc, v26, v30
	s_or_b64 s[14:15], vcc, s[14:15]
	v_add_u32_e32 v22, 0x780, v22
	s_andn2_b64 exec, exec, s[14:15]
	s_cbranch_execnz .LBB297_11
; %bb.14:
	s_or_b64 exec, exec, s[14:15]
.LBB297_15:
	s_or_b64 exec, exec, s[12:13]
	s_andn2_b64 vcc, exec, s[4:5]
	s_cbranch_vccz .LBB297_17
	s_branch .LBB297_24
.LBB297_16:
                                        ; implicit-def: $vgpr12_vgpr13
                                        ; implicit-def: $vgpr18_vgpr19
                                        ; implicit-def: $vgpr16_vgpr17
                                        ; implicit-def: $vgpr10_vgpr11
.LBB297_17:
	v_mov_b64_e32 v[12:13], 0
	v_mov_b64_e32 v[18:19], v[12:13]
	;; [unrolled: 1-line block ×4, first 2 shown]
	s_and_saveexec_b64 s[4:5], s[0:1]
	s_cbranch_execz .LBB297_23
; %bb.18:
	v_mul_lo_u32 v10, v20, 30
	v_mad_u32_u24 v10, v9, 30, v10
	s_mul_i32 s0, s16, 30
	v_mov_b64_e32 v[12:13], 0
	v_mul_lo_u32 v22, v14, 30
	v_subrev_u32_e32 v23, s0, v10
	s_mov_b64 s[0:1], 0
	v_mov_b32_e32 v21, 0
	v_mov_b64_e32 v[18:19], v[12:13]
	v_mov_b64_e32 v[16:17], v[12:13]
	;; [unrolled: 1-line block ×3, first 2 shown]
.LBB297_19:                             ; =>This Loop Header: Depth=1
                                        ;     Child Loop BB297_20 Depth 2
	v_ashrrev_i32_e32 v15, 31, v14
	v_lshl_add_u64 v[24:25], v[14:15], 2, s[6:7]
	global_load_dword v15, v[24:25], off
	s_mov_b32 s12, 0
	s_waitcnt vmcnt(0)
	v_subrev_u32_e32 v15, s16, v15
	v_mul_lo_u32 v15, v15, 15
.LBB297_20:                             ;   Parent Loop BB297_19 Depth=1
                                        ; =>  This Inner Loop Header: Depth=2
	v_add_u32_e32 v20, s12, v23
	v_add_u32_e32 v31, s12, v22
	v_lshl_add_u64 v[24:25], v[20:21], 4, s[8:9]
	v_add_u32_e32 v20, s12, v15
	v_mov_b32_e32 v29, v21
	v_mov_b32_e32 v33, v21
	;; [unrolled: 1-line block ×7, first 2 shown]
	v_add_u32_e32 v28, 15, v31
	v_add_u32_e32 v32, 1, v31
	;; [unrolled: 1-line block ×7, first 2 shown]
	global_load_dwordx4 v[24:27], v[24:25], off
	v_lshl_add_u64 v[48:49], v[20:21], 4, s[10:11]
	v_lshl_add_u64 v[28:29], v[28:29], 4, s[8:9]
	;; [unrolled: 1-line block ×8, first 2 shown]
	global_load_dwordx4 v[32:35], v[48:49], off
	global_load_dwordx4 v[36:39], v[28:29], off
	;; [unrolled: 1-line block ×3, first 2 shown]
	v_mov_b32_e32 v45, v21
	v_mov_b32_e32 v47, v21
	v_add_u32_e32 v46, 4, v31
	v_add_u32_e32 v44, 1, v20
	v_lshl_add_u64 v[70:71], v[46:47], 4, s[8:9]
	v_lshl_add_u64 v[28:29], v[44:45], 4, s[10:11]
	global_load_dwordx4 v[44:47], v[54:55], off
	global_load_dwordx4 v[48:51], v[56:57], off
	v_mov_b32_e32 v53, v21
	v_mov_b32_e32 v61, v21
	v_add_u32_e32 v52, 2, v20
	v_add_u32_e32 v60, 3, v20
	;; [unrolled: 1-line block ×3, first 2 shown]
	v_lshl_add_u64 v[84:85], v[52:53], 4, s[10:11]
	global_load_dwordx4 v[52:55], v[62:63], off
	global_load_dwordx4 v[56:59], v[64:65], off
	v_lshl_add_u64 v[86:87], v[60:61], 4, s[10:11]
	global_load_dwordx4 v[60:63], v[68:69], off
	global_load_dwordx4 v[64:67], v[70:71], off
	;; [unrolled: 3-line block ×3, first 2 shown]
	global_load_dwordx4 v[76:79], v[86:87], off
	global_load_dwordx4 v[80:83], v[88:89], off
	v_add_u32_e32 v20, 19, v31
	v_lshl_add_u64 v[28:29], v[20:21], 4, s[8:9]
	global_load_dwordx4 v[84:87], v[28:29], off
	s_add_i32 s12, s12, 5
	s_cmp_eq_u32 s12, 15
	s_waitcnt vmcnt(13)
	v_fmac_f64_e32 v[18:19], v[24:25], v[32:33]
	v_fmac_f64_e32 v[12:13], v[26:27], v[32:33]
	s_waitcnt vmcnt(12)
	v_fmac_f64_e32 v[16:17], v[36:37], v[32:33]
	v_fmac_f64_e32 v[10:11], v[38:39], v[32:33]
	v_fma_f64 v[18:19], -v[26:27], v[34:35], v[18:19]
	v_fmac_f64_e32 v[12:13], v[24:25], v[34:35]
	v_fma_f64 v[16:17], -v[38:39], v[34:35], v[16:17]
	v_fmac_f64_e32 v[10:11], v[36:37], v[34:35]
	s_waitcnt vmcnt(4)
	v_fmac_f64_e32 v[18:19], v[40:41], v[68:69]
	v_fmac_f64_e32 v[12:13], v[42:43], v[68:69]
	v_fmac_f64_e32 v[16:17], v[44:45], v[68:69]
	v_fmac_f64_e32 v[10:11], v[46:47], v[68:69]
	v_fma_f64 v[18:19], -v[42:43], v[70:71], v[18:19]
	v_fmac_f64_e32 v[12:13], v[40:41], v[70:71]
	v_fma_f64 v[16:17], -v[46:47], v[70:71], v[16:17]
	v_fmac_f64_e32 v[10:11], v[44:45], v[70:71]
	s_waitcnt vmcnt(3)
	v_fmac_f64_e32 v[18:19], v[48:49], v[72:73]
	v_fmac_f64_e32 v[12:13], v[50:51], v[72:73]
	;; [unrolled: 9-line block ×4, first 2 shown]
	s_waitcnt vmcnt(0)
	v_fmac_f64_e32 v[16:17], v[84:85], v[80:81]
	v_fmac_f64_e32 v[10:11], v[86:87], v[80:81]
	v_fma_f64 v[18:19], -v[66:67], v[82:83], v[18:19]
	v_fmac_f64_e32 v[12:13], v[64:65], v[82:83]
	v_fma_f64 v[16:17], -v[86:87], v[82:83], v[16:17]
	v_fmac_f64_e32 v[10:11], v[84:85], v[82:83]
	s_cbranch_scc0 .LBB297_20
; %bb.21:                               ;   in Loop: Header=BB297_19 Depth=1
	v_add_u32_e32 v14, 64, v14
	v_cmp_ge_i32_e32 vcc, v14, v30
	v_add_u32_e32 v22, 0x780, v22
	s_or_b64 s[0:1], vcc, s[0:1]
	v_add_u32_e32 v23, 0x780, v23
	s_andn2_b64 exec, exec, s[0:1]
	s_cbranch_execnz .LBB297_19
; %bb.22:
	s_or_b64 exec, exec, s[0:1]
.LBB297_23:
	s_or_b64 exec, exec, s[4:5]
.LBB297_24:
	v_mov_b32_dpp v22, v16 row_shr:1 row_mask:0xf bank_mask:0xf
	v_mov_b32_dpp v23, v17 row_shr:1 row_mask:0xf bank_mask:0xf
	v_add_f64 v[16:17], v[16:17], v[22:23]
	v_mov_b32_dpp v14, v18 row_shr:1 row_mask:0xf bank_mask:0xf
	v_mov_b32_dpp v15, v19 row_shr:1 row_mask:0xf bank_mask:0xf
	;; [unrolled: 1-line block ×4, first 2 shown]
	v_add_f64 v[16:17], v[16:17], v[22:23]
	v_mov_b32_dpp v20, v12 row_shr:1 row_mask:0xf bank_mask:0xf
	v_mov_b32_dpp v21, v13 row_shr:1 row_mask:0xf bank_mask:0xf
	v_mov_b32_dpp v22, v16 row_shr:4 row_mask:0xf bank_mask:0xe
	v_mov_b32_dpp v23, v17 row_shr:4 row_mask:0xf bank_mask:0xe
	v_add_f64 v[16:17], v[16:17], v[22:23]
	v_add_f64 v[14:15], v[18:19], v[14:15]
	;; [unrolled: 1-line block ×3, first 2 shown]
	v_mov_b32_dpp v22, v16 row_shr:8 row_mask:0xf bank_mask:0xc
	v_mov_b32_dpp v23, v17 row_shr:8 row_mask:0xf bank_mask:0xc
	v_add_f64 v[16:17], v[16:17], v[22:23]
	v_mov_b32_dpp v18, v14 row_shr:2 row_mask:0xf bank_mask:0xf
	v_mov_b32_dpp v19, v15 row_shr:2 row_mask:0xf bank_mask:0xf
	v_mov_b32_dpp v22, v16 row_bcast:15 row_mask:0xa bank_mask:0xf
	v_mov_b32_dpp v23, v17 row_bcast:15 row_mask:0xa bank_mask:0xf
	v_add_f64 v[22:23], v[16:17], v[22:23]
	v_mov_b32_dpp v16, v10 row_shr:1 row_mask:0xf bank_mask:0xf
	v_mov_b32_dpp v17, v11 row_shr:1 row_mask:0xf bank_mask:0xf
	v_add_f64 v[10:11], v[10:11], v[16:17]
	v_mov_b32_dpp v20, v12 row_shr:2 row_mask:0xf bank_mask:0xf
	v_mov_b32_dpp v21, v13 row_shr:2 row_mask:0xf bank_mask:0xf
	;; [unrolled: 1-line block ×4, first 2 shown]
	v_add_f64 v[14:15], v[14:15], v[18:19]
	v_add_f64 v[12:13], v[12:13], v[20:21]
	v_add_f64 v[10:11], v[10:11], v[16:17]
	v_mov_b32_dpp v18, v14 row_shr:4 row_mask:0xf bank_mask:0xe
	v_mov_b32_dpp v19, v15 row_shr:4 row_mask:0xf bank_mask:0xe
	;; [unrolled: 1-line block ×6, first 2 shown]
	v_add_f64 v[14:15], v[14:15], v[18:19]
	v_add_f64 v[12:13], v[12:13], v[20:21]
	;; [unrolled: 1-line block ×3, first 2 shown]
	v_mov_b32_dpp v18, v14 row_shr:8 row_mask:0xf bank_mask:0xc
	v_mov_b32_dpp v19, v15 row_shr:8 row_mask:0xf bank_mask:0xc
	;; [unrolled: 1-line block ×6, first 2 shown]
	v_add_f64 v[14:15], v[14:15], v[18:19]
	v_add_f64 v[12:13], v[12:13], v[20:21]
	;; [unrolled: 1-line block ×3, first 2 shown]
	v_mov_b32_dpp v18, v14 row_bcast:15 row_mask:0xa bank_mask:0xf
	v_mov_b32_dpp v19, v15 row_bcast:15 row_mask:0xa bank_mask:0xf
	;; [unrolled: 1-line block ×6, first 2 shown]
	v_add_f64 v[14:15], v[14:15], v[18:19]
	v_add_f64 v[12:13], v[12:13], v[20:21]
	;; [unrolled: 1-line block ×3, first 2 shown]
	v_mov_b32_dpp v18, v14 row_bcast:31 row_mask:0xc bank_mask:0xf
	v_mov_b32_dpp v19, v15 row_bcast:31 row_mask:0xc bank_mask:0xf
	;; [unrolled: 1-line block ×8, first 2 shown]
	v_cmp_eq_u32_e32 vcc, 63, v9
	s_and_b64 exec, exec, vcc
	s_cbranch_execz .LBB297_29
; %bb.25:
	s_load_dwordx2 s[2:3], s[2:3], 0x48
	v_cmp_eq_f64_e32 vcc, 0, v[4:5]
	v_cmp_eq_f64_e64 s[0:1], 0, v[6:7]
	v_add_f64 v[14:15], v[14:15], v[18:19]
	v_add_f64 v[16:17], v[12:13], v[20:21]
	;; [unrolled: 1-line block ×4, first 2 shown]
	s_and_b64 s[0:1], vcc, s[0:1]
	s_and_saveexec_b64 s[4:5], s[0:1]
	s_xor_b64 s[0:1], exec, s[4:5]
	s_cbranch_execz .LBB297_27
; %bb.26:
	v_lshlrev_b32_e32 v8, 1, v8
	v_mul_f64 v[4:5], v[16:17], -v[2:3]
	v_mul_f64 v[6:7], v[0:1], v[16:17]
	v_ashrrev_i32_e32 v9, 31, v8
	v_fmac_f64_e32 v[4:5], v[0:1], v[14:15]
	v_fmac_f64_e32 v[6:7], v[2:3], v[14:15]
	s_waitcnt lgkmcnt(0)
	v_lshl_add_u64 v[8:9], v[8:9], 4, s[2:3]
	global_store_dwordx4 v[8:9], v[4:7], off
                                        ; implicit-def: $vgpr14_vgpr15
                                        ; implicit-def: $vgpr16_vgpr17
	s_nop 1
	v_mul_f64 v[4:5], v[12:13], -v[2:3]
	v_mul_f64 v[6:7], v[0:1], v[12:13]
	v_fmac_f64_e32 v[4:5], v[0:1], v[10:11]
	v_fmac_f64_e32 v[6:7], v[2:3], v[10:11]
	global_store_dwordx4 v[8:9], v[4:7], off offset:16
                                        ; implicit-def: $vgpr0_vgpr1
                                        ; implicit-def: $vgpr2_vgpr3
                                        ; implicit-def: $vgpr4_vgpr5
                                        ; implicit-def: $vgpr6_vgpr7
                                        ; implicit-def: $vgpr8
                                        ; implicit-def: $vgpr10_vgpr11
                                        ; implicit-def: $vgpr12_vgpr13
.LBB297_27:
	s_andn2_saveexec_b64 s[0:1], s[0:1]
	s_cbranch_execz .LBB297_29
; %bb.28:
	v_lshlrev_b32_e32 v8, 1, v8
	v_ashrrev_i32_e32 v9, 31, v8
	s_waitcnt lgkmcnt(0)
	v_lshl_add_u64 v[26:27], v[8:9], 4, s[2:3]
	global_load_dwordx4 v[18:21], v[26:27], off
	global_load_dwordx4 v[22:25], v[26:27], off offset:16
	v_mul_f64 v[28:29], v[16:17], -v[2:3]
	v_mul_f64 v[16:17], v[0:1], v[16:17]
	v_mul_f64 v[30:31], v[12:13], -v[2:3]
	v_mul_f64 v[8:9], v[0:1], v[12:13]
	v_fmac_f64_e32 v[28:29], v[0:1], v[14:15]
	v_fmac_f64_e32 v[16:17], v[2:3], v[14:15]
	;; [unrolled: 1-line block ×4, first 2 shown]
	s_waitcnt vmcnt(1)
	v_fmac_f64_e32 v[28:29], v[4:5], v[18:19]
	v_fmac_f64_e32 v[16:17], v[6:7], v[18:19]
	s_waitcnt vmcnt(0)
	v_fmac_f64_e32 v[30:31], v[4:5], v[22:23]
	v_fmac_f64_e32 v[8:9], v[6:7], v[22:23]
	v_fma_f64 v[14:15], -v[6:7], v[20:21], v[28:29]
	v_fmac_f64_e32 v[16:17], v[4:5], v[20:21]
	v_fma_f64 v[6:7], -v[6:7], v[24:25], v[30:31]
	v_fmac_f64_e32 v[8:9], v[4:5], v[24:25]
	global_store_dwordx4 v[26:27], v[14:17], off
	global_store_dwordx4 v[26:27], v[6:9], off offset:16
.LBB297_29:
	s_endpgm
	.section	.rodata,"a",@progbits
	.p2align	6, 0x0
	.amdhsa_kernel _ZN9rocsparseL19gebsrmvn_2xn_kernelILj128ELj15ELj64E21rocsparse_complex_numIdEEEvi20rocsparse_direction_NS_24const_host_device_scalarIT2_EEPKiS8_PKS5_SA_S6_PS5_21rocsparse_index_base_b
		.amdhsa_group_segment_fixed_size 2048
		.amdhsa_private_segment_fixed_size 0
		.amdhsa_kernarg_size 88
		.amdhsa_user_sgpr_count 4
		.amdhsa_user_sgpr_dispatch_ptr 1
		.amdhsa_user_sgpr_queue_ptr 0
		.amdhsa_user_sgpr_kernarg_segment_ptr 1
		.amdhsa_user_sgpr_dispatch_id 0
		.amdhsa_user_sgpr_kernarg_preload_length 0
		.amdhsa_user_sgpr_kernarg_preload_offset 0
		.amdhsa_user_sgpr_private_segment_size 0
		.amdhsa_uses_dynamic_stack 0
		.amdhsa_enable_private_segment 0
		.amdhsa_system_sgpr_workgroup_id_x 1
		.amdhsa_system_sgpr_workgroup_id_y 0
		.amdhsa_system_sgpr_workgroup_id_z 0
		.amdhsa_system_sgpr_workgroup_info 0
		.amdhsa_system_vgpr_workitem_id 2
		.amdhsa_next_free_vgpr 100
		.amdhsa_next_free_sgpr 20
		.amdhsa_accum_offset 100
		.amdhsa_reserve_vcc 1
		.amdhsa_float_round_mode_32 0
		.amdhsa_float_round_mode_16_64 0
		.amdhsa_float_denorm_mode_32 3
		.amdhsa_float_denorm_mode_16_64 3
		.amdhsa_dx10_clamp 1
		.amdhsa_ieee_mode 1
		.amdhsa_fp16_overflow 0
		.amdhsa_tg_split 0
		.amdhsa_exception_fp_ieee_invalid_op 0
		.amdhsa_exception_fp_denorm_src 0
		.amdhsa_exception_fp_ieee_div_zero 0
		.amdhsa_exception_fp_ieee_overflow 0
		.amdhsa_exception_fp_ieee_underflow 0
		.amdhsa_exception_fp_ieee_inexact 0
		.amdhsa_exception_int_div_zero 0
	.end_amdhsa_kernel
	.section	.text._ZN9rocsparseL19gebsrmvn_2xn_kernelILj128ELj15ELj64E21rocsparse_complex_numIdEEEvi20rocsparse_direction_NS_24const_host_device_scalarIT2_EEPKiS8_PKS5_SA_S6_PS5_21rocsparse_index_base_b,"axG",@progbits,_ZN9rocsparseL19gebsrmvn_2xn_kernelILj128ELj15ELj64E21rocsparse_complex_numIdEEEvi20rocsparse_direction_NS_24const_host_device_scalarIT2_EEPKiS8_PKS5_SA_S6_PS5_21rocsparse_index_base_b,comdat
.Lfunc_end297:
	.size	_ZN9rocsparseL19gebsrmvn_2xn_kernelILj128ELj15ELj64E21rocsparse_complex_numIdEEEvi20rocsparse_direction_NS_24const_host_device_scalarIT2_EEPKiS8_PKS5_SA_S6_PS5_21rocsparse_index_base_b, .Lfunc_end297-_ZN9rocsparseL19gebsrmvn_2xn_kernelILj128ELj15ELj64E21rocsparse_complex_numIdEEEvi20rocsparse_direction_NS_24const_host_device_scalarIT2_EEPKiS8_PKS5_SA_S6_PS5_21rocsparse_index_base_b
                                        ; -- End function
	.section	.AMDGPU.csdata,"",@progbits
; Kernel info:
; codeLenInByte = 2696
; NumSgprs: 26
; NumVgprs: 100
; NumAgprs: 0
; TotalNumVgprs: 100
; ScratchSize: 0
; MemoryBound: 0
; FloatMode: 240
; IeeeMode: 1
; LDSByteSize: 2048 bytes/workgroup (compile time only)
; SGPRBlocks: 3
; VGPRBlocks: 12
; NumSGPRsForWavesPerEU: 26
; NumVGPRsForWavesPerEU: 100
; AccumOffset: 100
; Occupancy: 4
; WaveLimiterHint : 1
; COMPUTE_PGM_RSRC2:SCRATCH_EN: 0
; COMPUTE_PGM_RSRC2:USER_SGPR: 4
; COMPUTE_PGM_RSRC2:TRAP_HANDLER: 0
; COMPUTE_PGM_RSRC2:TGID_X_EN: 1
; COMPUTE_PGM_RSRC2:TGID_Y_EN: 0
; COMPUTE_PGM_RSRC2:TGID_Z_EN: 0
; COMPUTE_PGM_RSRC2:TIDIG_COMP_CNT: 2
; COMPUTE_PGM_RSRC3_GFX90A:ACCUM_OFFSET: 24
; COMPUTE_PGM_RSRC3_GFX90A:TG_SPLIT: 0
	.section	.text._ZN9rocsparseL19gebsrmvn_2xn_kernelILj128ELj16ELj4E21rocsparse_complex_numIdEEEvi20rocsparse_direction_NS_24const_host_device_scalarIT2_EEPKiS8_PKS5_SA_S6_PS5_21rocsparse_index_base_b,"axG",@progbits,_ZN9rocsparseL19gebsrmvn_2xn_kernelILj128ELj16ELj4E21rocsparse_complex_numIdEEEvi20rocsparse_direction_NS_24const_host_device_scalarIT2_EEPKiS8_PKS5_SA_S6_PS5_21rocsparse_index_base_b,comdat
	.globl	_ZN9rocsparseL19gebsrmvn_2xn_kernelILj128ELj16ELj4E21rocsparse_complex_numIdEEEvi20rocsparse_direction_NS_24const_host_device_scalarIT2_EEPKiS8_PKS5_SA_S6_PS5_21rocsparse_index_base_b ; -- Begin function _ZN9rocsparseL19gebsrmvn_2xn_kernelILj128ELj16ELj4E21rocsparse_complex_numIdEEEvi20rocsparse_direction_NS_24const_host_device_scalarIT2_EEPKiS8_PKS5_SA_S6_PS5_21rocsparse_index_base_b
	.p2align	8
	.type	_ZN9rocsparseL19gebsrmvn_2xn_kernelILj128ELj16ELj4E21rocsparse_complex_numIdEEEvi20rocsparse_direction_NS_24const_host_device_scalarIT2_EEPKiS8_PKS5_SA_S6_PS5_21rocsparse_index_base_b,@function
_ZN9rocsparseL19gebsrmvn_2xn_kernelILj128ELj16ELj4E21rocsparse_complex_numIdEEEvi20rocsparse_direction_NS_24const_host_device_scalarIT2_EEPKiS8_PKS5_SA_S6_PS5_21rocsparse_index_base_b: ; @_ZN9rocsparseL19gebsrmvn_2xn_kernelILj128ELj16ELj4E21rocsparse_complex_numIdEEEvi20rocsparse_direction_NS_24const_host_device_scalarIT2_EEPKiS8_PKS5_SA_S6_PS5_21rocsparse_index_base_b
; %bb.0:
	s_load_dwordx2 s[16:17], s[2:3], 0x50
	s_load_dwordx4 s[12:15], s[2:3], 0x8
	s_load_dwordx4 s[8:11], s[2:3], 0x38
	s_load_dwordx2 s[18:19], s[0:1], 0x4
	s_mov_b64 s[6:7], src_shared_base
	s_waitcnt lgkmcnt(0)
	s_bitcmp1_b32 s17, 0
	s_cselect_b64 s[0:1], -1, 0
	s_and_b64 vcc, s[0:1], exec
	s_cselect_b32 s5, s7, s13
	s_lshr_b32 s6, s18, 16
	v_bfe_u32 v1, v0, 10, 10
	v_and_b32_e32 v10, 0x3ff, v0
	s_mul_i32 s6, s6, s19
	v_mul_u32_u24_e32 v1, s19, v1
	v_mad_u32_u24 v1, s6, v10, v1
	v_bfe_u32 v0, v0, 20, 10
	v_add_lshl_u32 v4, v1, v0, 3
	v_mov_b32_e32 v5, s12
	v_add_u32_e32 v6, 0x400, v4
	v_mov_b64_e32 v[0:1], s[12:13]
	v_mov_b64_e32 v[2:3], s[8:9]
	ds_write2st64_b64 v4, v[2:3], v[0:1] offset1:2
	v_cndmask_b32_e64 v0, v5, v6, s[0:1]
	v_mov_b32_e32 v1, s5
	flat_load_dwordx2 v[0:1], v[0:1]
	s_xor_b64 s[18:19], s[0:1], -1
	v_mov_b64_e32 v[2:3], s[14:15]
	s_cbranch_vccnz .LBB298_2
; %bb.1:
	v_mov_b64_e32 v[2:3], s[12:13]
	flat_load_dwordx2 v[2:3], v[2:3] offset:8
.LBB298_2:
	s_and_b64 s[12:13], s[0:1], exec
	s_cselect_b32 s5, s7, s9
	v_mov_b32_e32 v5, s8
	v_cndmask_b32_e64 v4, v5, v4, s[0:1]
	v_mov_b32_e32 v5, s5
	flat_load_dwordx2 v[4:5], v[4:5]
	s_andn2_b64 vcc, exec, s[18:19]
	v_mov_b64_e32 v[6:7], s[10:11]
	s_cbranch_vccnz .LBB298_4
; %bb.3:
	v_mov_b64_e32 v[6:7], s[8:9]
	flat_load_dwordx2 v[6:7], v[6:7] offset:8
.LBB298_4:
	s_waitcnt vmcnt(0) lgkmcnt(0)
	v_cmp_eq_f64_e32 vcc, 0, v[0:1]
	v_cmp_eq_f64_e64 s[0:1], 0, v[2:3]
	s_and_b64 s[8:9], vcc, s[0:1]
	s_mov_b64 s[0:1], -1
	s_and_saveexec_b64 s[6:7], s[8:9]
; %bb.5:
	v_cmp_neq_f64_e32 vcc, 1.0, v[4:5]
	v_cmp_neq_f64_e64 s[0:1], 0, v[6:7]
	s_or_b64 s[0:1], vcc, s[0:1]
	s_orn2_b64 s[0:1], s[0:1], exec
; %bb.6:
	s_or_b64 exec, exec, s[6:7]
	s_and_saveexec_b64 s[6:7], s[0:1]
	s_cbranch_execz .LBB298_29
; %bb.7:
	s_load_dwordx2 s[0:1], s[2:3], 0x0
	v_lshrrev_b32_e32 v8, 2, v10
	v_lshl_or_b32 v8, s4, 5, v8
	s_waitcnt lgkmcnt(0)
	v_cmp_gt_i32_e32 vcc, s0, v8
	s_and_b64 exec, exec, vcc
	s_cbranch_execz .LBB298_29
; %bb.8:
	s_load_dwordx8 s[4:11], s[2:3], 0x18
	v_ashrrev_i32_e32 v9, 31, v8
	s_cmp_lg_u32 s1, 0
	s_waitcnt lgkmcnt(0)
	v_lshl_add_u64 v[12:13], v[8:9], 2, s[4:5]
	global_load_dwordx2 v[12:13], v[12:13], off
	v_and_b32_e32 v9, 3, v10
	s_waitcnt vmcnt(0)
	v_subrev_u32_e32 v10, s16, v12
	v_subrev_u32_e32 v32, s16, v13
	v_add_u32_e32 v12, v10, v9
	v_cmp_lt_i32_e64 s[0:1], v12, v32
	s_cbranch_scc0 .LBB298_16
; %bb.9:
	v_mov_b64_e32 v[10:11], 0
	s_mov_b64 s[4:5], 0
	v_mov_b64_e32 v[18:19], v[10:11]
	v_mov_b64_e32 v[16:17], v[10:11]
	;; [unrolled: 1-line block ×3, first 2 shown]
	s_and_saveexec_b64 s[12:13], s[0:1]
	s_cbranch_execz .LBB298_15
; %bb.10:
	v_lshlrev_b32_e32 v20, 5, v12
	s_add_u32 s14, s8, 16
	v_mov_b64_e32 v[10:11], 0
	v_or_b32_e32 v13, 6, v20
	s_addc_u32 s15, s9, 0
	s_mov_b64 s[18:19], 0
	s_mov_b64 s[20:21], 0x80
	v_mov_b32_e32 v23, 0
	v_mov_b32_e32 v24, v12
	v_mov_b64_e32 v[18:19], v[10:11]
	v_mov_b64_e32 v[16:17], v[10:11]
	;; [unrolled: 1-line block ×3, first 2 shown]
.LBB298_11:                             ; =>This Loop Header: Depth=1
                                        ;     Child Loop BB298_12 Depth 2
	v_ashrrev_i32_e32 v25, 31, v24
	v_lshl_add_u64 v[26:27], v[24:25], 2, s[6:7]
	global_load_dword v22, v[26:27], off
	v_mov_b32_e32 v21, v23
	v_lshl_add_u64 v[28:29], v[20:21], 4, s[14:15]
	v_mov_b32_e32 v26, v13
	s_mov_b64 s[22:23], 0
	s_waitcnt vmcnt(0)
	v_subrev_u32_e32 v21, s16, v22
	v_lshlrev_b32_e32 v22, 4, v21
	v_lshl_add_u64 v[30:31], v[22:23], 4, s[10:11]
.LBB298_12:                             ;   Parent Loop BB298_11 Depth=1
                                        ; =>  This Inner Loop Header: Depth=2
	global_load_dwordx4 v[34:37], v[28:29], off
	global_load_dwordx4 v[38:41], v[28:29], off offset:-16
	v_add_u32_e32 v22, -4, v26
	v_lshl_add_u64 v[58:59], v[30:31], 0, s[22:23]
	v_lshl_add_u64 v[66:67], v[22:23], 4, s[8:9]
	global_load_dwordx4 v[42:45], v[58:59], off
	global_load_dwordx4 v[46:49], v[58:59], off offset:16
	global_load_dwordx4 v[50:53], v[58:59], off offset:48
	global_load_dwordx4 v[54:57], v[58:59], off offset:32
	s_nop 0
	global_load_dwordx4 v[58:61], v[66:67], off
	global_load_dwordx4 v[62:65], v[66:67], off offset:16
	v_mov_b32_e32 v27, v23
	v_add_u32_e32 v22, -2, v26
	v_lshl_add_u64 v[82:83], v[26:27], 4, s[8:9]
	v_lshl_add_u64 v[84:85], v[22:23], 4, s[8:9]
	global_load_dwordx4 v[66:69], v[82:83], off
	global_load_dwordx4 v[70:73], v[84:85], off
	global_load_dwordx4 v[74:77], v[84:85], off offset:16
	global_load_dwordx4 v[78:81], v[82:83], off offset:16
	s_add_u32 s22, s22, 64
	s_addc_u32 s23, s23, 0
	v_lshl_add_u64 v[28:29], v[28:29], 0, s[20:21]
	v_add_u32_e32 v26, 8, v26
	s_cmpk_eq_i32 s22, 0x100
	s_waitcnt vmcnt(9)
	v_fmac_f64_e32 v[16:17], v[34:35], v[42:43]
	v_fmac_f64_e32 v[18:19], v[38:39], v[42:43]
	;; [unrolled: 1-line block ×4, first 2 shown]
	v_fma_f64 v[18:19], -v[40:41], v[44:45], v[18:19]
	v_fmac_f64_e32 v[10:11], v[38:39], v[44:45]
	v_fma_f64 v[16:17], -v[36:37], v[44:45], v[16:17]
	v_fmac_f64_e32 v[14:15], v[34:35], v[44:45]
	s_waitcnt vmcnt(5)
	v_fmac_f64_e32 v[18:19], v[58:59], v[46:47]
	v_fmac_f64_e32 v[10:11], v[60:61], v[46:47]
	s_waitcnt vmcnt(4)
	v_fmac_f64_e32 v[16:17], v[62:63], v[46:47]
	v_fmac_f64_e32 v[14:15], v[64:65], v[46:47]
	v_fma_f64 v[18:19], -v[60:61], v[48:49], v[18:19]
	v_fmac_f64_e32 v[10:11], v[58:59], v[48:49]
	v_fma_f64 v[16:17], -v[64:65], v[48:49], v[16:17]
	v_fmac_f64_e32 v[14:15], v[62:63], v[48:49]
	s_waitcnt vmcnt(2)
	v_fmac_f64_e32 v[18:19], v[70:71], v[54:55]
	v_fmac_f64_e32 v[10:11], v[72:73], v[54:55]
	s_waitcnt vmcnt(1)
	v_fmac_f64_e32 v[16:17], v[74:75], v[54:55]
	v_fmac_f64_e32 v[14:15], v[76:77], v[54:55]
	v_fma_f64 v[18:19], -v[72:73], v[56:57], v[18:19]
	v_fmac_f64_e32 v[10:11], v[70:71], v[56:57]
	v_fma_f64 v[16:17], -v[76:77], v[56:57], v[16:17]
	v_fmac_f64_e32 v[14:15], v[74:75], v[56:57]
	v_fmac_f64_e32 v[18:19], v[66:67], v[50:51]
	;; [unrolled: 1-line block ×3, first 2 shown]
	s_waitcnt vmcnt(0)
	v_fmac_f64_e32 v[16:17], v[78:79], v[50:51]
	v_fmac_f64_e32 v[14:15], v[80:81], v[50:51]
	v_fma_f64 v[18:19], -v[68:69], v[52:53], v[18:19]
	v_fmac_f64_e32 v[10:11], v[66:67], v[52:53]
	v_fma_f64 v[16:17], -v[80:81], v[52:53], v[16:17]
	v_fmac_f64_e32 v[14:15], v[78:79], v[52:53]
	s_cbranch_scc0 .LBB298_12
; %bb.13:                               ;   in Loop: Header=BB298_11 Depth=1
	v_add_u32_e32 v24, 4, v24
	v_cmp_ge_i32_e32 vcc, v24, v32
	v_add_u32_e32 v13, 0x80, v13
	s_or_b64 s[18:19], vcc, s[18:19]
	v_add_u32_e32 v20, 0x80, v20
	s_andn2_b64 exec, exec, s[18:19]
	s_cbranch_execnz .LBB298_11
; %bb.14:
	s_or_b64 exec, exec, s[18:19]
.LBB298_15:
	s_or_b64 exec, exec, s[12:13]
	s_andn2_b64 vcc, exec, s[4:5]
	s_cbranch_vccz .LBB298_17
	s_branch .LBB298_24
.LBB298_16:
                                        ; implicit-def: $vgpr10_vgpr11
                                        ; implicit-def: $vgpr18_vgpr19
                                        ; implicit-def: $vgpr16_vgpr17
                                        ; implicit-def: $vgpr14_vgpr15
.LBB298_17:
	v_mov_b64_e32 v[10:11], 0
	v_mov_b64_e32 v[18:19], v[10:11]
	;; [unrolled: 1-line block ×4, first 2 shown]
	s_and_saveexec_b64 s[4:5], s[0:1]
	s_cbranch_execz .LBB298_23
; %bb.18:
	v_mov_b64_e32 v[10:11], 0
	v_lshlrev_b32_e32 v20, 5, v12
	s_mov_b64 s[0:1], 0
	v_mov_b32_e32 v21, 0
	v_mov_b64_e32 v[18:19], v[10:11]
	v_mov_b64_e32 v[16:17], v[10:11]
	;; [unrolled: 1-line block ×3, first 2 shown]
.LBB298_19:                             ; =>This Loop Header: Depth=1
                                        ;     Child Loop BB298_20 Depth 2
	v_ashrrev_i32_e32 v13, 31, v12
	v_lshl_add_u64 v[22:23], v[12:13], 2, s[6:7]
	global_load_dword v13, v[22:23], off
	v_mov_b32_e32 v25, v21
	v_lshl_add_u64 v[22:23], v[20:21], 4, s[8:9]
	s_mov_b64 s[12:13], 0
	s_waitcnt vmcnt(0)
	v_subrev_u32_e32 v13, s16, v13
	v_lshlrev_b32_e32 v24, 4, v13
	v_lshl_add_u64 v[24:25], v[24:25], 4, s[10:11]
.LBB298_20:                             ;   Parent Loop BB298_19 Depth=1
                                        ; =>  This Inner Loop Header: Depth=2
	v_lshl_add_u64 v[30:31], v[22:23], 0, s[12:13]
	v_lshl_add_u64 v[78:79], v[24:25], 0, s[12:13]
	global_load_dwordx4 v[26:29], v[30:31], off
	global_load_dwordx4 v[34:37], v[78:79], off
	global_load_dwordx4 v[38:41], v[30:31], off offset:256
	global_load_dwordx4 v[42:45], v[30:31], off offset:16
	;; [unrolled: 1-line block ×10, first 2 shown]
	s_add_u32 s12, s12, 64
	s_addc_u32 s13, s13, 0
	s_cmpk_eq_i32 s12, 0x100
	s_waitcnt vmcnt(10)
	v_fmac_f64_e32 v[18:19], v[26:27], v[34:35]
	v_fmac_f64_e32 v[10:11], v[28:29], v[34:35]
	s_waitcnt vmcnt(9)
	v_fmac_f64_e32 v[16:17], v[38:39], v[34:35]
	v_fmac_f64_e32 v[14:15], v[40:41], v[34:35]
	v_fma_f64 v[18:19], -v[28:29], v[36:37], v[18:19]
	v_fmac_f64_e32 v[10:11], v[26:27], v[36:37]
	v_fma_f64 v[16:17], -v[40:41], v[36:37], v[16:17]
	v_fmac_f64_e32 v[14:15], v[38:39], v[36:37]
	s_waitcnt vmcnt(7)
	v_fmac_f64_e32 v[18:19], v[42:43], v[46:47]
	v_fmac_f64_e32 v[10:11], v[44:45], v[46:47]
	s_waitcnt vmcnt(6)
	v_fmac_f64_e32 v[16:17], v[50:51], v[46:47]
	v_fmac_f64_e32 v[14:15], v[52:53], v[46:47]
	v_fma_f64 v[18:19], -v[44:45], v[48:49], v[18:19]
	v_fmac_f64_e32 v[10:11], v[42:43], v[48:49]
	v_fma_f64 v[16:17], -v[52:53], v[48:49], v[16:17]
	v_fmac_f64_e32 v[14:15], v[50:51], v[48:49]
	;; [unrolled: 10-line block ×4, first 2 shown]
	s_cbranch_scc0 .LBB298_20
; %bb.21:                               ;   in Loop: Header=BB298_19 Depth=1
	v_add_u32_e32 v12, 4, v12
	v_cmp_ge_i32_e32 vcc, v12, v32
	s_or_b64 s[0:1], vcc, s[0:1]
	v_add_u32_e32 v20, 0x80, v20
	s_andn2_b64 exec, exec, s[0:1]
	s_cbranch_execnz .LBB298_19
; %bb.22:
	s_or_b64 exec, exec, s[0:1]
.LBB298_23:
	s_or_b64 exec, exec, s[4:5]
.LBB298_24:
	v_mov_b32_dpp v22, v16 row_shr:1 row_mask:0xf bank_mask:0xf
	v_mov_b32_dpp v23, v17 row_shr:1 row_mask:0xf bank_mask:0xf
	;; [unrolled: 1-line block ×6, first 2 shown]
	v_add_f64 v[22:23], v[16:17], v[22:23]
	v_mov_b32_dpp v16, v14 row_shr:1 row_mask:0xf bank_mask:0xf
	v_mov_b32_dpp v17, v15 row_shr:1 row_mask:0xf bank_mask:0xf
	v_add_f64 v[12:13], v[18:19], v[12:13]
	v_add_f64 v[10:11], v[10:11], v[20:21]
	;; [unrolled: 1-line block ×3, first 2 shown]
	v_mov_b32_dpp v18, v12 row_shr:2 row_mask:0xf bank_mask:0xf
	v_mov_b32_dpp v19, v13 row_shr:2 row_mask:0xf bank_mask:0xf
	;; [unrolled: 1-line block ×8, first 2 shown]
	v_cmp_eq_u32_e32 vcc, 3, v9
	s_and_b64 exec, exec, vcc
	s_cbranch_execz .LBB298_29
; %bb.25:
	s_load_dwordx2 s[2:3], s[2:3], 0x48
	v_cmp_eq_f64_e32 vcc, 0, v[4:5]
	v_cmp_eq_f64_e64 s[0:1], 0, v[6:7]
	v_add_f64 v[14:15], v[12:13], v[18:19]
	v_add_f64 v[16:17], v[10:11], v[20:21]
	;; [unrolled: 1-line block ×4, first 2 shown]
	s_and_b64 s[0:1], vcc, s[0:1]
	s_and_saveexec_b64 s[4:5], s[0:1]
	s_xor_b64 s[0:1], exec, s[4:5]
	s_cbranch_execz .LBB298_27
; %bb.26:
	v_lshlrev_b32_e32 v8, 1, v8
	v_mul_f64 v[4:5], v[16:17], -v[2:3]
	v_mul_f64 v[6:7], v[0:1], v[16:17]
	v_ashrrev_i32_e32 v9, 31, v8
	v_fmac_f64_e32 v[4:5], v[0:1], v[14:15]
	v_fmac_f64_e32 v[6:7], v[2:3], v[14:15]
	s_waitcnt lgkmcnt(0)
	v_lshl_add_u64 v[8:9], v[8:9], 4, s[2:3]
	global_store_dwordx4 v[8:9], v[4:7], off
                                        ; implicit-def: $vgpr14_vgpr15
                                        ; implicit-def: $vgpr16_vgpr17
	s_nop 1
	v_mul_f64 v[4:5], v[12:13], -v[2:3]
	v_mul_f64 v[6:7], v[0:1], v[12:13]
	v_fmac_f64_e32 v[4:5], v[0:1], v[10:11]
	v_fmac_f64_e32 v[6:7], v[2:3], v[10:11]
	global_store_dwordx4 v[8:9], v[4:7], off offset:16
                                        ; implicit-def: $vgpr0_vgpr1
                                        ; implicit-def: $vgpr2_vgpr3
                                        ; implicit-def: $vgpr4_vgpr5
                                        ; implicit-def: $vgpr6_vgpr7
                                        ; implicit-def: $vgpr8
                                        ; implicit-def: $vgpr10_vgpr11
                                        ; implicit-def: $vgpr12_vgpr13
.LBB298_27:
	s_andn2_saveexec_b64 s[0:1], s[0:1]
	s_cbranch_execz .LBB298_29
; %bb.28:
	v_lshlrev_b32_e32 v8, 1, v8
	v_ashrrev_i32_e32 v9, 31, v8
	s_waitcnt lgkmcnt(0)
	v_lshl_add_u64 v[26:27], v[8:9], 4, s[2:3]
	global_load_dwordx4 v[18:21], v[26:27], off
	global_load_dwordx4 v[22:25], v[26:27], off offset:16
	v_mul_f64 v[28:29], v[16:17], -v[2:3]
	v_mul_f64 v[16:17], v[0:1], v[16:17]
	v_mul_f64 v[30:31], v[12:13], -v[2:3]
	v_mul_f64 v[8:9], v[0:1], v[12:13]
	v_fmac_f64_e32 v[28:29], v[0:1], v[14:15]
	v_fmac_f64_e32 v[16:17], v[2:3], v[14:15]
	;; [unrolled: 1-line block ×4, first 2 shown]
	s_waitcnt vmcnt(1)
	v_fmac_f64_e32 v[28:29], v[4:5], v[18:19]
	v_fmac_f64_e32 v[16:17], v[6:7], v[18:19]
	s_waitcnt vmcnt(0)
	v_fmac_f64_e32 v[30:31], v[4:5], v[22:23]
	v_fmac_f64_e32 v[8:9], v[6:7], v[22:23]
	v_fma_f64 v[14:15], -v[6:7], v[20:21], v[28:29]
	v_fmac_f64_e32 v[16:17], v[4:5], v[20:21]
	v_fma_f64 v[6:7], -v[6:7], v[24:25], v[30:31]
	v_fmac_f64_e32 v[8:9], v[4:5], v[24:25]
	global_store_dwordx4 v[26:27], v[14:17], off
	global_store_dwordx4 v[26:27], v[6:9], off offset:16
.LBB298_29:
	s_endpgm
	.section	.rodata,"a",@progbits
	.p2align	6, 0x0
	.amdhsa_kernel _ZN9rocsparseL19gebsrmvn_2xn_kernelILj128ELj16ELj4E21rocsparse_complex_numIdEEEvi20rocsparse_direction_NS_24const_host_device_scalarIT2_EEPKiS8_PKS5_SA_S6_PS5_21rocsparse_index_base_b
		.amdhsa_group_segment_fixed_size 2048
		.amdhsa_private_segment_fixed_size 0
		.amdhsa_kernarg_size 88
		.amdhsa_user_sgpr_count 4
		.amdhsa_user_sgpr_dispatch_ptr 1
		.amdhsa_user_sgpr_queue_ptr 0
		.amdhsa_user_sgpr_kernarg_segment_ptr 1
		.amdhsa_user_sgpr_dispatch_id 0
		.amdhsa_user_sgpr_kernarg_preload_length 0
		.amdhsa_user_sgpr_kernarg_preload_offset 0
		.amdhsa_user_sgpr_private_segment_size 0
		.amdhsa_uses_dynamic_stack 0
		.amdhsa_enable_private_segment 0
		.amdhsa_system_sgpr_workgroup_id_x 1
		.amdhsa_system_sgpr_workgroup_id_y 0
		.amdhsa_system_sgpr_workgroup_id_z 0
		.amdhsa_system_sgpr_workgroup_info 0
		.amdhsa_system_vgpr_workitem_id 2
		.amdhsa_next_free_vgpr 86
		.amdhsa_next_free_sgpr 24
		.amdhsa_accum_offset 88
		.amdhsa_reserve_vcc 1
		.amdhsa_float_round_mode_32 0
		.amdhsa_float_round_mode_16_64 0
		.amdhsa_float_denorm_mode_32 3
		.amdhsa_float_denorm_mode_16_64 3
		.amdhsa_dx10_clamp 1
		.amdhsa_ieee_mode 1
		.amdhsa_fp16_overflow 0
		.amdhsa_tg_split 0
		.amdhsa_exception_fp_ieee_invalid_op 0
		.amdhsa_exception_fp_denorm_src 0
		.amdhsa_exception_fp_ieee_div_zero 0
		.amdhsa_exception_fp_ieee_overflow 0
		.amdhsa_exception_fp_ieee_underflow 0
		.amdhsa_exception_fp_ieee_inexact 0
		.amdhsa_exception_int_div_zero 0
	.end_amdhsa_kernel
	.section	.text._ZN9rocsparseL19gebsrmvn_2xn_kernelILj128ELj16ELj4E21rocsparse_complex_numIdEEEvi20rocsparse_direction_NS_24const_host_device_scalarIT2_EEPKiS8_PKS5_SA_S6_PS5_21rocsparse_index_base_b,"axG",@progbits,_ZN9rocsparseL19gebsrmvn_2xn_kernelILj128ELj16ELj4E21rocsparse_complex_numIdEEEvi20rocsparse_direction_NS_24const_host_device_scalarIT2_EEPKiS8_PKS5_SA_S6_PS5_21rocsparse_index_base_b,comdat
.Lfunc_end298:
	.size	_ZN9rocsparseL19gebsrmvn_2xn_kernelILj128ELj16ELj4E21rocsparse_complex_numIdEEEvi20rocsparse_direction_NS_24const_host_device_scalarIT2_EEPKiS8_PKS5_SA_S6_PS5_21rocsparse_index_base_b, .Lfunc_end298-_ZN9rocsparseL19gebsrmvn_2xn_kernelILj128ELj16ELj4E21rocsparse_complex_numIdEEEvi20rocsparse_direction_NS_24const_host_device_scalarIT2_EEPKiS8_PKS5_SA_S6_PS5_21rocsparse_index_base_b
                                        ; -- End function
	.section	.AMDGPU.csdata,"",@progbits
; Kernel info:
; codeLenInByte = 1904
; NumSgprs: 30
; NumVgprs: 86
; NumAgprs: 0
; TotalNumVgprs: 86
; ScratchSize: 0
; MemoryBound: 1
; FloatMode: 240
; IeeeMode: 1
; LDSByteSize: 2048 bytes/workgroup (compile time only)
; SGPRBlocks: 3
; VGPRBlocks: 10
; NumSGPRsForWavesPerEU: 30
; NumVGPRsForWavesPerEU: 86
; AccumOffset: 88
; Occupancy: 5
; WaveLimiterHint : 1
; COMPUTE_PGM_RSRC2:SCRATCH_EN: 0
; COMPUTE_PGM_RSRC2:USER_SGPR: 4
; COMPUTE_PGM_RSRC2:TRAP_HANDLER: 0
; COMPUTE_PGM_RSRC2:TGID_X_EN: 1
; COMPUTE_PGM_RSRC2:TGID_Y_EN: 0
; COMPUTE_PGM_RSRC2:TGID_Z_EN: 0
; COMPUTE_PGM_RSRC2:TIDIG_COMP_CNT: 2
; COMPUTE_PGM_RSRC3_GFX90A:ACCUM_OFFSET: 21
; COMPUTE_PGM_RSRC3_GFX90A:TG_SPLIT: 0
	.section	.text._ZN9rocsparseL19gebsrmvn_2xn_kernelILj128ELj16ELj8E21rocsparse_complex_numIdEEEvi20rocsparse_direction_NS_24const_host_device_scalarIT2_EEPKiS8_PKS5_SA_S6_PS5_21rocsparse_index_base_b,"axG",@progbits,_ZN9rocsparseL19gebsrmvn_2xn_kernelILj128ELj16ELj8E21rocsparse_complex_numIdEEEvi20rocsparse_direction_NS_24const_host_device_scalarIT2_EEPKiS8_PKS5_SA_S6_PS5_21rocsparse_index_base_b,comdat
	.globl	_ZN9rocsparseL19gebsrmvn_2xn_kernelILj128ELj16ELj8E21rocsparse_complex_numIdEEEvi20rocsparse_direction_NS_24const_host_device_scalarIT2_EEPKiS8_PKS5_SA_S6_PS5_21rocsparse_index_base_b ; -- Begin function _ZN9rocsparseL19gebsrmvn_2xn_kernelILj128ELj16ELj8E21rocsparse_complex_numIdEEEvi20rocsparse_direction_NS_24const_host_device_scalarIT2_EEPKiS8_PKS5_SA_S6_PS5_21rocsparse_index_base_b
	.p2align	8
	.type	_ZN9rocsparseL19gebsrmvn_2xn_kernelILj128ELj16ELj8E21rocsparse_complex_numIdEEEvi20rocsparse_direction_NS_24const_host_device_scalarIT2_EEPKiS8_PKS5_SA_S6_PS5_21rocsparse_index_base_b,@function
_ZN9rocsparseL19gebsrmvn_2xn_kernelILj128ELj16ELj8E21rocsparse_complex_numIdEEEvi20rocsparse_direction_NS_24const_host_device_scalarIT2_EEPKiS8_PKS5_SA_S6_PS5_21rocsparse_index_base_b: ; @_ZN9rocsparseL19gebsrmvn_2xn_kernelILj128ELj16ELj8E21rocsparse_complex_numIdEEEvi20rocsparse_direction_NS_24const_host_device_scalarIT2_EEPKiS8_PKS5_SA_S6_PS5_21rocsparse_index_base_b
; %bb.0:
	s_load_dwordx2 s[16:17], s[2:3], 0x50
	s_load_dwordx4 s[12:15], s[2:3], 0x8
	s_load_dwordx4 s[8:11], s[2:3], 0x38
	s_load_dwordx2 s[18:19], s[0:1], 0x4
	s_mov_b64 s[6:7], src_shared_base
	s_waitcnt lgkmcnt(0)
	s_bitcmp1_b32 s17, 0
	s_cselect_b64 s[0:1], -1, 0
	s_and_b64 vcc, s[0:1], exec
	s_cselect_b32 s5, s7, s13
	s_lshr_b32 s6, s18, 16
	v_bfe_u32 v1, v0, 10, 10
	v_and_b32_e32 v10, 0x3ff, v0
	s_mul_i32 s6, s6, s19
	v_mul_u32_u24_e32 v1, s19, v1
	v_mad_u32_u24 v1, s6, v10, v1
	v_bfe_u32 v0, v0, 20, 10
	v_add_lshl_u32 v4, v1, v0, 3
	v_mov_b32_e32 v5, s12
	v_add_u32_e32 v6, 0x400, v4
	v_mov_b64_e32 v[0:1], s[12:13]
	v_mov_b64_e32 v[2:3], s[8:9]
	ds_write2st64_b64 v4, v[2:3], v[0:1] offset1:2
	v_cndmask_b32_e64 v0, v5, v6, s[0:1]
	v_mov_b32_e32 v1, s5
	flat_load_dwordx2 v[0:1], v[0:1]
	s_xor_b64 s[18:19], s[0:1], -1
	v_mov_b64_e32 v[2:3], s[14:15]
	s_cbranch_vccnz .LBB299_2
; %bb.1:
	v_mov_b64_e32 v[2:3], s[12:13]
	flat_load_dwordx2 v[2:3], v[2:3] offset:8
.LBB299_2:
	s_and_b64 s[12:13], s[0:1], exec
	s_cselect_b32 s5, s7, s9
	v_mov_b32_e32 v5, s8
	v_cndmask_b32_e64 v4, v5, v4, s[0:1]
	v_mov_b32_e32 v5, s5
	flat_load_dwordx2 v[4:5], v[4:5]
	s_andn2_b64 vcc, exec, s[18:19]
	v_mov_b64_e32 v[6:7], s[10:11]
	s_cbranch_vccnz .LBB299_4
; %bb.3:
	v_mov_b64_e32 v[6:7], s[8:9]
	flat_load_dwordx2 v[6:7], v[6:7] offset:8
.LBB299_4:
	s_waitcnt vmcnt(0) lgkmcnt(0)
	v_cmp_eq_f64_e32 vcc, 0, v[0:1]
	v_cmp_eq_f64_e64 s[0:1], 0, v[2:3]
	s_and_b64 s[8:9], vcc, s[0:1]
	s_mov_b64 s[0:1], -1
	s_and_saveexec_b64 s[6:7], s[8:9]
; %bb.5:
	v_cmp_neq_f64_e32 vcc, 1.0, v[4:5]
	v_cmp_neq_f64_e64 s[0:1], 0, v[6:7]
	s_or_b64 s[0:1], vcc, s[0:1]
	s_orn2_b64 s[0:1], s[0:1], exec
; %bb.6:
	s_or_b64 exec, exec, s[6:7]
	s_and_saveexec_b64 s[6:7], s[0:1]
	s_cbranch_execz .LBB299_29
; %bb.7:
	s_load_dwordx2 s[0:1], s[2:3], 0x0
	v_lshrrev_b32_e32 v8, 3, v10
	v_lshl_or_b32 v8, s4, 4, v8
	s_waitcnt lgkmcnt(0)
	v_cmp_gt_i32_e32 vcc, s0, v8
	s_and_b64 exec, exec, vcc
	s_cbranch_execz .LBB299_29
; %bb.8:
	s_load_dwordx8 s[4:11], s[2:3], 0x18
	v_ashrrev_i32_e32 v9, 31, v8
	s_cmp_lg_u32 s1, 0
	s_waitcnt lgkmcnt(0)
	v_lshl_add_u64 v[12:13], v[8:9], 2, s[4:5]
	global_load_dwordx2 v[12:13], v[12:13], off
	v_and_b32_e32 v9, 7, v10
	s_waitcnt vmcnt(0)
	v_subrev_u32_e32 v10, s16, v12
	v_subrev_u32_e32 v32, s16, v13
	v_add_u32_e32 v14, v10, v9
	v_cmp_lt_i32_e64 s[0:1], v14, v32
	s_cbranch_scc0 .LBB299_16
; %bb.9:
	v_mov_b64_e32 v[10:11], 0
	s_mov_b64 s[4:5], 0
	v_mov_b64_e32 v[18:19], v[10:11]
	v_mov_b64_e32 v[16:17], v[10:11]
	;; [unrolled: 1-line block ×3, first 2 shown]
	s_and_saveexec_b64 s[12:13], s[0:1]
	s_cbranch_execz .LBB299_15
; %bb.10:
	v_lshlrev_b32_e32 v20, 5, v14
	s_add_u32 s14, s8, 16
	v_mov_b64_e32 v[10:11], 0
	v_or_b32_e32 v15, 6, v20
	s_addc_u32 s15, s9, 0
	s_mov_b64 s[18:19], 0
	s_mov_b64 s[20:21], 0x80
	v_mov_b32_e32 v23, 0
	v_mov_b32_e32 v24, v14
	v_mov_b64_e32 v[18:19], v[10:11]
	v_mov_b64_e32 v[16:17], v[10:11]
	;; [unrolled: 1-line block ×3, first 2 shown]
.LBB299_11:                             ; =>This Loop Header: Depth=1
                                        ;     Child Loop BB299_12 Depth 2
	v_ashrrev_i32_e32 v25, 31, v24
	v_lshl_add_u64 v[26:27], v[24:25], 2, s[6:7]
	global_load_dword v22, v[26:27], off
	v_mov_b32_e32 v21, v23
	v_lshl_add_u64 v[28:29], v[20:21], 4, s[14:15]
	v_mov_b32_e32 v26, v15
	s_mov_b64 s[22:23], 0
	s_waitcnt vmcnt(0)
	v_subrev_u32_e32 v21, s16, v22
	v_lshlrev_b32_e32 v22, 4, v21
	v_lshl_add_u64 v[30:31], v[22:23], 4, s[10:11]
.LBB299_12:                             ;   Parent Loop BB299_11 Depth=1
                                        ; =>  This Inner Loop Header: Depth=2
	global_load_dwordx4 v[34:37], v[28:29], off
	global_load_dwordx4 v[38:41], v[28:29], off offset:-16
	v_add_u32_e32 v22, -4, v26
	v_lshl_add_u64 v[58:59], v[30:31], 0, s[22:23]
	v_lshl_add_u64 v[66:67], v[22:23], 4, s[8:9]
	global_load_dwordx4 v[42:45], v[58:59], off
	global_load_dwordx4 v[46:49], v[58:59], off offset:16
	global_load_dwordx4 v[50:53], v[58:59], off offset:48
	;; [unrolled: 1-line block ×3, first 2 shown]
	s_nop 0
	global_load_dwordx4 v[58:61], v[66:67], off
	global_load_dwordx4 v[62:65], v[66:67], off offset:16
	v_mov_b32_e32 v27, v23
	v_add_u32_e32 v22, -2, v26
	v_lshl_add_u64 v[82:83], v[26:27], 4, s[8:9]
	v_lshl_add_u64 v[84:85], v[22:23], 4, s[8:9]
	global_load_dwordx4 v[66:69], v[82:83], off
	global_load_dwordx4 v[70:73], v[84:85], off
	global_load_dwordx4 v[74:77], v[84:85], off offset:16
	global_load_dwordx4 v[78:81], v[82:83], off offset:16
	s_add_u32 s22, s22, 64
	s_addc_u32 s23, s23, 0
	v_lshl_add_u64 v[28:29], v[28:29], 0, s[20:21]
	v_add_u32_e32 v26, 8, v26
	s_cmpk_eq_i32 s22, 0x100
	s_waitcnt vmcnt(9)
	v_fmac_f64_e32 v[16:17], v[34:35], v[42:43]
	v_fmac_f64_e32 v[18:19], v[38:39], v[42:43]
	;; [unrolled: 1-line block ×4, first 2 shown]
	v_fma_f64 v[18:19], -v[40:41], v[44:45], v[18:19]
	v_fmac_f64_e32 v[10:11], v[38:39], v[44:45]
	v_fma_f64 v[16:17], -v[36:37], v[44:45], v[16:17]
	v_fmac_f64_e32 v[12:13], v[34:35], v[44:45]
	s_waitcnt vmcnt(5)
	v_fmac_f64_e32 v[18:19], v[58:59], v[46:47]
	v_fmac_f64_e32 v[10:11], v[60:61], v[46:47]
	s_waitcnt vmcnt(4)
	v_fmac_f64_e32 v[16:17], v[62:63], v[46:47]
	v_fmac_f64_e32 v[12:13], v[64:65], v[46:47]
	v_fma_f64 v[18:19], -v[60:61], v[48:49], v[18:19]
	v_fmac_f64_e32 v[10:11], v[58:59], v[48:49]
	v_fma_f64 v[16:17], -v[64:65], v[48:49], v[16:17]
	v_fmac_f64_e32 v[12:13], v[62:63], v[48:49]
	s_waitcnt vmcnt(2)
	v_fmac_f64_e32 v[18:19], v[70:71], v[54:55]
	v_fmac_f64_e32 v[10:11], v[72:73], v[54:55]
	s_waitcnt vmcnt(1)
	v_fmac_f64_e32 v[16:17], v[74:75], v[54:55]
	v_fmac_f64_e32 v[12:13], v[76:77], v[54:55]
	v_fma_f64 v[18:19], -v[72:73], v[56:57], v[18:19]
	v_fmac_f64_e32 v[10:11], v[70:71], v[56:57]
	v_fma_f64 v[16:17], -v[76:77], v[56:57], v[16:17]
	v_fmac_f64_e32 v[12:13], v[74:75], v[56:57]
	v_fmac_f64_e32 v[18:19], v[66:67], v[50:51]
	;; [unrolled: 1-line block ×3, first 2 shown]
	s_waitcnt vmcnt(0)
	v_fmac_f64_e32 v[16:17], v[78:79], v[50:51]
	v_fmac_f64_e32 v[12:13], v[80:81], v[50:51]
	v_fma_f64 v[18:19], -v[68:69], v[52:53], v[18:19]
	v_fmac_f64_e32 v[10:11], v[66:67], v[52:53]
	v_fma_f64 v[16:17], -v[80:81], v[52:53], v[16:17]
	v_fmac_f64_e32 v[12:13], v[78:79], v[52:53]
	s_cbranch_scc0 .LBB299_12
; %bb.13:                               ;   in Loop: Header=BB299_11 Depth=1
	v_add_u32_e32 v24, 8, v24
	v_cmp_ge_i32_e32 vcc, v24, v32
	v_add_u32_e32 v15, 0x100, v15
	s_or_b64 s[18:19], vcc, s[18:19]
	v_add_u32_e32 v20, 0x100, v20
	s_andn2_b64 exec, exec, s[18:19]
	s_cbranch_execnz .LBB299_11
; %bb.14:
	s_or_b64 exec, exec, s[18:19]
.LBB299_15:
	s_or_b64 exec, exec, s[12:13]
	s_andn2_b64 vcc, exec, s[4:5]
	s_cbranch_vccz .LBB299_17
	s_branch .LBB299_24
.LBB299_16:
                                        ; implicit-def: $vgpr10_vgpr11
                                        ; implicit-def: $vgpr18_vgpr19
                                        ; implicit-def: $vgpr16_vgpr17
                                        ; implicit-def: $vgpr12_vgpr13
.LBB299_17:
	v_mov_b64_e32 v[10:11], 0
	v_mov_b64_e32 v[18:19], v[10:11]
	;; [unrolled: 1-line block ×4, first 2 shown]
	s_and_saveexec_b64 s[4:5], s[0:1]
	s_cbranch_execz .LBB299_23
; %bb.18:
	v_mov_b64_e32 v[10:11], 0
	v_lshlrev_b32_e32 v20, 5, v14
	s_mov_b64 s[0:1], 0
	v_mov_b32_e32 v21, 0
	v_mov_b64_e32 v[18:19], v[10:11]
	v_mov_b64_e32 v[16:17], v[10:11]
	;; [unrolled: 1-line block ×3, first 2 shown]
.LBB299_19:                             ; =>This Loop Header: Depth=1
                                        ;     Child Loop BB299_20 Depth 2
	v_ashrrev_i32_e32 v15, 31, v14
	v_lshl_add_u64 v[22:23], v[14:15], 2, s[6:7]
	global_load_dword v15, v[22:23], off
	v_mov_b32_e32 v25, v21
	v_lshl_add_u64 v[22:23], v[20:21], 4, s[8:9]
	s_mov_b64 s[12:13], 0
	s_waitcnt vmcnt(0)
	v_subrev_u32_e32 v15, s16, v15
	v_lshlrev_b32_e32 v24, 4, v15
	v_lshl_add_u64 v[24:25], v[24:25], 4, s[10:11]
.LBB299_20:                             ;   Parent Loop BB299_19 Depth=1
                                        ; =>  This Inner Loop Header: Depth=2
	v_lshl_add_u64 v[30:31], v[22:23], 0, s[12:13]
	v_lshl_add_u64 v[78:79], v[24:25], 0, s[12:13]
	global_load_dwordx4 v[26:29], v[30:31], off
	global_load_dwordx4 v[34:37], v[78:79], off
	global_load_dwordx4 v[38:41], v[30:31], off offset:256
	global_load_dwordx4 v[42:45], v[30:31], off offset:16
	global_load_dwordx4 v[46:49], v[78:79], off offset:16
	global_load_dwordx4 v[50:53], v[30:31], off offset:272
	global_load_dwordx4 v[54:57], v[30:31], off offset:32
	global_load_dwordx4 v[58:61], v[78:79], off offset:32
	global_load_dwordx4 v[62:65], v[30:31], off offset:288
	global_load_dwordx4 v[66:69], v[30:31], off offset:48
	global_load_dwordx4 v[70:73], v[78:79], off offset:48
	global_load_dwordx4 v[74:77], v[30:31], off offset:304
	s_add_u32 s12, s12, 64
	s_addc_u32 s13, s13, 0
	s_cmpk_eq_i32 s12, 0x100
	s_waitcnt vmcnt(10)
	v_fmac_f64_e32 v[18:19], v[26:27], v[34:35]
	v_fmac_f64_e32 v[10:11], v[28:29], v[34:35]
	s_waitcnt vmcnt(9)
	v_fmac_f64_e32 v[16:17], v[38:39], v[34:35]
	v_fmac_f64_e32 v[12:13], v[40:41], v[34:35]
	v_fma_f64 v[18:19], -v[28:29], v[36:37], v[18:19]
	v_fmac_f64_e32 v[10:11], v[26:27], v[36:37]
	v_fma_f64 v[16:17], -v[40:41], v[36:37], v[16:17]
	v_fmac_f64_e32 v[12:13], v[38:39], v[36:37]
	s_waitcnt vmcnt(7)
	v_fmac_f64_e32 v[18:19], v[42:43], v[46:47]
	v_fmac_f64_e32 v[10:11], v[44:45], v[46:47]
	s_waitcnt vmcnt(6)
	v_fmac_f64_e32 v[16:17], v[50:51], v[46:47]
	v_fmac_f64_e32 v[12:13], v[52:53], v[46:47]
	v_fma_f64 v[18:19], -v[44:45], v[48:49], v[18:19]
	v_fmac_f64_e32 v[10:11], v[42:43], v[48:49]
	v_fma_f64 v[16:17], -v[52:53], v[48:49], v[16:17]
	v_fmac_f64_e32 v[12:13], v[50:51], v[48:49]
	;; [unrolled: 10-line block ×4, first 2 shown]
	s_cbranch_scc0 .LBB299_20
; %bb.21:                               ;   in Loop: Header=BB299_19 Depth=1
	v_add_u32_e32 v14, 8, v14
	v_cmp_ge_i32_e32 vcc, v14, v32
	s_or_b64 s[0:1], vcc, s[0:1]
	v_add_u32_e32 v20, 0x100, v20
	s_andn2_b64 exec, exec, s[0:1]
	s_cbranch_execnz .LBB299_19
; %bb.22:
	s_or_b64 exec, exec, s[0:1]
.LBB299_23:
	s_or_b64 exec, exec, s[4:5]
.LBB299_24:
	v_mov_b32_dpp v22, v16 row_shr:1 row_mask:0xf bank_mask:0xf
	v_mov_b32_dpp v23, v17 row_shr:1 row_mask:0xf bank_mask:0xf
	v_add_f64 v[16:17], v[16:17], v[22:23]
	v_mov_b32_dpp v14, v18 row_shr:1 row_mask:0xf bank_mask:0xf
	v_mov_b32_dpp v15, v19 row_shr:1 row_mask:0xf bank_mask:0xf
	;; [unrolled: 1-line block ×6, first 2 shown]
	v_add_f64 v[22:23], v[16:17], v[22:23]
	v_mov_b32_dpp v16, v12 row_shr:1 row_mask:0xf bank_mask:0xf
	v_mov_b32_dpp v17, v13 row_shr:1 row_mask:0xf bank_mask:0xf
	v_add_f64 v[14:15], v[18:19], v[14:15]
	v_add_f64 v[10:11], v[10:11], v[20:21]
	;; [unrolled: 1-line block ×3, first 2 shown]
	v_mov_b32_dpp v18, v14 row_shr:2 row_mask:0xf bank_mask:0xf
	v_mov_b32_dpp v19, v15 row_shr:2 row_mask:0xf bank_mask:0xf
	;; [unrolled: 1-line block ×6, first 2 shown]
	v_add_f64 v[14:15], v[14:15], v[18:19]
	v_add_f64 v[10:11], v[10:11], v[20:21]
	;; [unrolled: 1-line block ×3, first 2 shown]
	v_mov_b32_dpp v18, v14 row_shr:4 row_mask:0xf bank_mask:0xe
	v_mov_b32_dpp v19, v15 row_shr:4 row_mask:0xf bank_mask:0xe
	;; [unrolled: 1-line block ×8, first 2 shown]
	v_cmp_eq_u32_e32 vcc, 7, v9
	s_and_b64 exec, exec, vcc
	s_cbranch_execz .LBB299_29
; %bb.25:
	s_load_dwordx2 s[2:3], s[2:3], 0x48
	v_cmp_eq_f64_e32 vcc, 0, v[4:5]
	v_cmp_eq_f64_e64 s[0:1], 0, v[6:7]
	v_add_f64 v[14:15], v[14:15], v[18:19]
	v_add_f64 v[16:17], v[10:11], v[20:21]
	;; [unrolled: 1-line block ×4, first 2 shown]
	s_and_b64 s[0:1], vcc, s[0:1]
	s_and_saveexec_b64 s[4:5], s[0:1]
	s_xor_b64 s[0:1], exec, s[4:5]
	s_cbranch_execz .LBB299_27
; %bb.26:
	v_lshlrev_b32_e32 v8, 1, v8
	v_mul_f64 v[4:5], v[16:17], -v[2:3]
	v_mul_f64 v[6:7], v[0:1], v[16:17]
	v_ashrrev_i32_e32 v9, 31, v8
	v_fmac_f64_e32 v[4:5], v[0:1], v[14:15]
	v_fmac_f64_e32 v[6:7], v[2:3], v[14:15]
	s_waitcnt lgkmcnt(0)
	v_lshl_add_u64 v[8:9], v[8:9], 4, s[2:3]
	global_store_dwordx4 v[8:9], v[4:7], off
                                        ; implicit-def: $vgpr14_vgpr15
                                        ; implicit-def: $vgpr16_vgpr17
	s_nop 1
	v_mul_f64 v[4:5], v[12:13], -v[2:3]
	v_mul_f64 v[6:7], v[0:1], v[12:13]
	v_fmac_f64_e32 v[4:5], v[0:1], v[10:11]
	v_fmac_f64_e32 v[6:7], v[2:3], v[10:11]
	global_store_dwordx4 v[8:9], v[4:7], off offset:16
                                        ; implicit-def: $vgpr0_vgpr1
                                        ; implicit-def: $vgpr2_vgpr3
                                        ; implicit-def: $vgpr4_vgpr5
                                        ; implicit-def: $vgpr6_vgpr7
                                        ; implicit-def: $vgpr8
                                        ; implicit-def: $vgpr10_vgpr11
                                        ; implicit-def: $vgpr12_vgpr13
.LBB299_27:
	s_andn2_saveexec_b64 s[0:1], s[0:1]
	s_cbranch_execz .LBB299_29
; %bb.28:
	v_lshlrev_b32_e32 v8, 1, v8
	v_ashrrev_i32_e32 v9, 31, v8
	s_waitcnt lgkmcnt(0)
	v_lshl_add_u64 v[26:27], v[8:9], 4, s[2:3]
	global_load_dwordx4 v[18:21], v[26:27], off
	global_load_dwordx4 v[22:25], v[26:27], off offset:16
	v_mul_f64 v[28:29], v[16:17], -v[2:3]
	v_mul_f64 v[16:17], v[0:1], v[16:17]
	v_mul_f64 v[30:31], v[12:13], -v[2:3]
	v_mul_f64 v[8:9], v[0:1], v[12:13]
	v_fmac_f64_e32 v[28:29], v[0:1], v[14:15]
	v_fmac_f64_e32 v[16:17], v[2:3], v[14:15]
	;; [unrolled: 1-line block ×4, first 2 shown]
	s_waitcnt vmcnt(1)
	v_fmac_f64_e32 v[28:29], v[4:5], v[18:19]
	v_fmac_f64_e32 v[16:17], v[6:7], v[18:19]
	s_waitcnt vmcnt(0)
	v_fmac_f64_e32 v[30:31], v[4:5], v[22:23]
	v_fmac_f64_e32 v[8:9], v[6:7], v[22:23]
	v_fma_f64 v[14:15], -v[6:7], v[20:21], v[28:29]
	v_fmac_f64_e32 v[16:17], v[4:5], v[20:21]
	v_fma_f64 v[6:7], -v[6:7], v[24:25], v[30:31]
	v_fmac_f64_e32 v[8:9], v[4:5], v[24:25]
	global_store_dwordx4 v[26:27], v[14:17], off
	global_store_dwordx4 v[26:27], v[6:9], off offset:16
.LBB299_29:
	s_endpgm
	.section	.rodata,"a",@progbits
	.p2align	6, 0x0
	.amdhsa_kernel _ZN9rocsparseL19gebsrmvn_2xn_kernelILj128ELj16ELj8E21rocsparse_complex_numIdEEEvi20rocsparse_direction_NS_24const_host_device_scalarIT2_EEPKiS8_PKS5_SA_S6_PS5_21rocsparse_index_base_b
		.amdhsa_group_segment_fixed_size 2048
		.amdhsa_private_segment_fixed_size 0
		.amdhsa_kernarg_size 88
		.amdhsa_user_sgpr_count 4
		.amdhsa_user_sgpr_dispatch_ptr 1
		.amdhsa_user_sgpr_queue_ptr 0
		.amdhsa_user_sgpr_kernarg_segment_ptr 1
		.amdhsa_user_sgpr_dispatch_id 0
		.amdhsa_user_sgpr_kernarg_preload_length 0
		.amdhsa_user_sgpr_kernarg_preload_offset 0
		.amdhsa_user_sgpr_private_segment_size 0
		.amdhsa_uses_dynamic_stack 0
		.amdhsa_enable_private_segment 0
		.amdhsa_system_sgpr_workgroup_id_x 1
		.amdhsa_system_sgpr_workgroup_id_y 0
		.amdhsa_system_sgpr_workgroup_id_z 0
		.amdhsa_system_sgpr_workgroup_info 0
		.amdhsa_system_vgpr_workitem_id 2
		.amdhsa_next_free_vgpr 86
		.amdhsa_next_free_sgpr 24
		.amdhsa_accum_offset 88
		.amdhsa_reserve_vcc 1
		.amdhsa_float_round_mode_32 0
		.amdhsa_float_round_mode_16_64 0
		.amdhsa_float_denorm_mode_32 3
		.amdhsa_float_denorm_mode_16_64 3
		.amdhsa_dx10_clamp 1
		.amdhsa_ieee_mode 1
		.amdhsa_fp16_overflow 0
		.amdhsa_tg_split 0
		.amdhsa_exception_fp_ieee_invalid_op 0
		.amdhsa_exception_fp_denorm_src 0
		.amdhsa_exception_fp_ieee_div_zero 0
		.amdhsa_exception_fp_ieee_overflow 0
		.amdhsa_exception_fp_ieee_underflow 0
		.amdhsa_exception_fp_ieee_inexact 0
		.amdhsa_exception_int_div_zero 0
	.end_amdhsa_kernel
	.section	.text._ZN9rocsparseL19gebsrmvn_2xn_kernelILj128ELj16ELj8E21rocsparse_complex_numIdEEEvi20rocsparse_direction_NS_24const_host_device_scalarIT2_EEPKiS8_PKS5_SA_S6_PS5_21rocsparse_index_base_b,"axG",@progbits,_ZN9rocsparseL19gebsrmvn_2xn_kernelILj128ELj16ELj8E21rocsparse_complex_numIdEEEvi20rocsparse_direction_NS_24const_host_device_scalarIT2_EEPKiS8_PKS5_SA_S6_PS5_21rocsparse_index_base_b,comdat
.Lfunc_end299:
	.size	_ZN9rocsparseL19gebsrmvn_2xn_kernelILj128ELj16ELj8E21rocsparse_complex_numIdEEEvi20rocsparse_direction_NS_24const_host_device_scalarIT2_EEPKiS8_PKS5_SA_S6_PS5_21rocsparse_index_base_b, .Lfunc_end299-_ZN9rocsparseL19gebsrmvn_2xn_kernelILj128ELj16ELj8E21rocsparse_complex_numIdEEEvi20rocsparse_direction_NS_24const_host_device_scalarIT2_EEPKiS8_PKS5_SA_S6_PS5_21rocsparse_index_base_b
                                        ; -- End function
	.section	.AMDGPU.csdata,"",@progbits
; Kernel info:
; codeLenInByte = 2000
; NumSgprs: 30
; NumVgprs: 86
; NumAgprs: 0
; TotalNumVgprs: 86
; ScratchSize: 0
; MemoryBound: 1
; FloatMode: 240
; IeeeMode: 1
; LDSByteSize: 2048 bytes/workgroup (compile time only)
; SGPRBlocks: 3
; VGPRBlocks: 10
; NumSGPRsForWavesPerEU: 30
; NumVGPRsForWavesPerEU: 86
; AccumOffset: 88
; Occupancy: 5
; WaveLimiterHint : 1
; COMPUTE_PGM_RSRC2:SCRATCH_EN: 0
; COMPUTE_PGM_RSRC2:USER_SGPR: 4
; COMPUTE_PGM_RSRC2:TRAP_HANDLER: 0
; COMPUTE_PGM_RSRC2:TGID_X_EN: 1
; COMPUTE_PGM_RSRC2:TGID_Y_EN: 0
; COMPUTE_PGM_RSRC2:TGID_Z_EN: 0
; COMPUTE_PGM_RSRC2:TIDIG_COMP_CNT: 2
; COMPUTE_PGM_RSRC3_GFX90A:ACCUM_OFFSET: 21
; COMPUTE_PGM_RSRC3_GFX90A:TG_SPLIT: 0
	.section	.text._ZN9rocsparseL19gebsrmvn_2xn_kernelILj128ELj16ELj16E21rocsparse_complex_numIdEEEvi20rocsparse_direction_NS_24const_host_device_scalarIT2_EEPKiS8_PKS5_SA_S6_PS5_21rocsparse_index_base_b,"axG",@progbits,_ZN9rocsparseL19gebsrmvn_2xn_kernelILj128ELj16ELj16E21rocsparse_complex_numIdEEEvi20rocsparse_direction_NS_24const_host_device_scalarIT2_EEPKiS8_PKS5_SA_S6_PS5_21rocsparse_index_base_b,comdat
	.globl	_ZN9rocsparseL19gebsrmvn_2xn_kernelILj128ELj16ELj16E21rocsparse_complex_numIdEEEvi20rocsparse_direction_NS_24const_host_device_scalarIT2_EEPKiS8_PKS5_SA_S6_PS5_21rocsparse_index_base_b ; -- Begin function _ZN9rocsparseL19gebsrmvn_2xn_kernelILj128ELj16ELj16E21rocsparse_complex_numIdEEEvi20rocsparse_direction_NS_24const_host_device_scalarIT2_EEPKiS8_PKS5_SA_S6_PS5_21rocsparse_index_base_b
	.p2align	8
	.type	_ZN9rocsparseL19gebsrmvn_2xn_kernelILj128ELj16ELj16E21rocsparse_complex_numIdEEEvi20rocsparse_direction_NS_24const_host_device_scalarIT2_EEPKiS8_PKS5_SA_S6_PS5_21rocsparse_index_base_b,@function
_ZN9rocsparseL19gebsrmvn_2xn_kernelILj128ELj16ELj16E21rocsparse_complex_numIdEEEvi20rocsparse_direction_NS_24const_host_device_scalarIT2_EEPKiS8_PKS5_SA_S6_PS5_21rocsparse_index_base_b: ; @_ZN9rocsparseL19gebsrmvn_2xn_kernelILj128ELj16ELj16E21rocsparse_complex_numIdEEEvi20rocsparse_direction_NS_24const_host_device_scalarIT2_EEPKiS8_PKS5_SA_S6_PS5_21rocsparse_index_base_b
; %bb.0:
	s_load_dwordx2 s[16:17], s[2:3], 0x50
	s_load_dwordx4 s[12:15], s[2:3], 0x8
	s_load_dwordx4 s[8:11], s[2:3], 0x38
	s_load_dwordx2 s[18:19], s[0:1], 0x4
	s_mov_b64 s[6:7], src_shared_base
	s_waitcnt lgkmcnt(0)
	s_bitcmp1_b32 s17, 0
	s_cselect_b64 s[0:1], -1, 0
	s_and_b64 vcc, s[0:1], exec
	s_cselect_b32 s5, s7, s13
	s_lshr_b32 s6, s18, 16
	v_bfe_u32 v1, v0, 10, 10
	v_and_b32_e32 v10, 0x3ff, v0
	s_mul_i32 s6, s6, s19
	v_mul_u32_u24_e32 v1, s19, v1
	v_mad_u32_u24 v1, s6, v10, v1
	v_bfe_u32 v0, v0, 20, 10
	v_add_lshl_u32 v4, v1, v0, 3
	v_mov_b32_e32 v5, s12
	v_add_u32_e32 v6, 0x400, v4
	v_mov_b64_e32 v[0:1], s[12:13]
	v_mov_b64_e32 v[2:3], s[8:9]
	ds_write2st64_b64 v4, v[2:3], v[0:1] offset1:2
	v_cndmask_b32_e64 v0, v5, v6, s[0:1]
	v_mov_b32_e32 v1, s5
	flat_load_dwordx2 v[0:1], v[0:1]
	s_xor_b64 s[18:19], s[0:1], -1
	v_mov_b64_e32 v[2:3], s[14:15]
	s_cbranch_vccnz .LBB300_2
; %bb.1:
	v_mov_b64_e32 v[2:3], s[12:13]
	flat_load_dwordx2 v[2:3], v[2:3] offset:8
.LBB300_2:
	s_and_b64 s[12:13], s[0:1], exec
	s_cselect_b32 s5, s7, s9
	v_mov_b32_e32 v5, s8
	v_cndmask_b32_e64 v4, v5, v4, s[0:1]
	v_mov_b32_e32 v5, s5
	flat_load_dwordx2 v[4:5], v[4:5]
	s_andn2_b64 vcc, exec, s[18:19]
	v_mov_b64_e32 v[6:7], s[10:11]
	s_cbranch_vccnz .LBB300_4
; %bb.3:
	v_mov_b64_e32 v[6:7], s[8:9]
	flat_load_dwordx2 v[6:7], v[6:7] offset:8
.LBB300_4:
	s_waitcnt vmcnt(0) lgkmcnt(0)
	v_cmp_eq_f64_e32 vcc, 0, v[0:1]
	v_cmp_eq_f64_e64 s[0:1], 0, v[2:3]
	s_and_b64 s[8:9], vcc, s[0:1]
	s_mov_b64 s[0:1], -1
	s_and_saveexec_b64 s[6:7], s[8:9]
; %bb.5:
	v_cmp_neq_f64_e32 vcc, 1.0, v[4:5]
	v_cmp_neq_f64_e64 s[0:1], 0, v[6:7]
	s_or_b64 s[0:1], vcc, s[0:1]
	s_orn2_b64 s[0:1], s[0:1], exec
; %bb.6:
	s_or_b64 exec, exec, s[6:7]
	s_and_saveexec_b64 s[6:7], s[0:1]
	s_cbranch_execz .LBB300_29
; %bb.7:
	s_load_dwordx2 s[0:1], s[2:3], 0x0
	v_lshrrev_b32_e32 v8, 4, v10
	v_lshl_or_b32 v8, s4, 3, v8
	s_waitcnt lgkmcnt(0)
	v_cmp_gt_i32_e32 vcc, s0, v8
	s_and_b64 exec, exec, vcc
	s_cbranch_execz .LBB300_29
; %bb.8:
	s_load_dwordx8 s[4:11], s[2:3], 0x18
	v_ashrrev_i32_e32 v9, 31, v8
	s_cmp_lg_u32 s1, 0
	s_waitcnt lgkmcnt(0)
	v_lshl_add_u64 v[12:13], v[8:9], 2, s[4:5]
	global_load_dwordx2 v[12:13], v[12:13], off
	v_and_b32_e32 v9, 15, v10
	s_waitcnt vmcnt(0)
	v_subrev_u32_e32 v10, s16, v12
	v_subrev_u32_e32 v32, s16, v13
	v_add_u32_e32 v14, v10, v9
	v_cmp_lt_i32_e64 s[0:1], v14, v32
	s_cbranch_scc0 .LBB300_16
; %bb.9:
	v_mov_b64_e32 v[12:13], 0
	s_mov_b64 s[4:5], 0
	v_mov_b64_e32 v[18:19], v[12:13]
	v_mov_b64_e32 v[16:17], v[12:13]
	v_mov_b64_e32 v[10:11], v[12:13]
	s_and_saveexec_b64 s[12:13], s[0:1]
	s_cbranch_execz .LBB300_15
; %bb.10:
	v_lshlrev_b32_e32 v20, 5, v14
	s_add_u32 s14, s8, 16
	v_mov_b64_e32 v[12:13], 0
	v_or_b32_e32 v15, 6, v20
	s_addc_u32 s15, s9, 0
	s_mov_b64 s[18:19], 0
	s_mov_b64 s[20:21], 0x80
	v_mov_b32_e32 v23, 0
	v_mov_b32_e32 v24, v14
	v_mov_b64_e32 v[18:19], v[12:13]
	v_mov_b64_e32 v[16:17], v[12:13]
	;; [unrolled: 1-line block ×3, first 2 shown]
.LBB300_11:                             ; =>This Loop Header: Depth=1
                                        ;     Child Loop BB300_12 Depth 2
	v_ashrrev_i32_e32 v25, 31, v24
	v_lshl_add_u64 v[26:27], v[24:25], 2, s[6:7]
	global_load_dword v22, v[26:27], off
	v_mov_b32_e32 v21, v23
	v_lshl_add_u64 v[28:29], v[20:21], 4, s[14:15]
	v_mov_b32_e32 v26, v15
	s_mov_b64 s[22:23], 0
	s_waitcnt vmcnt(0)
	v_subrev_u32_e32 v21, s16, v22
	v_lshlrev_b32_e32 v22, 4, v21
	v_lshl_add_u64 v[30:31], v[22:23], 4, s[10:11]
.LBB300_12:                             ;   Parent Loop BB300_11 Depth=1
                                        ; =>  This Inner Loop Header: Depth=2
	global_load_dwordx4 v[34:37], v[28:29], off
	global_load_dwordx4 v[38:41], v[28:29], off offset:-16
	v_add_u32_e32 v22, -4, v26
	v_lshl_add_u64 v[58:59], v[30:31], 0, s[22:23]
	v_lshl_add_u64 v[66:67], v[22:23], 4, s[8:9]
	global_load_dwordx4 v[42:45], v[58:59], off
	global_load_dwordx4 v[46:49], v[58:59], off offset:16
	global_load_dwordx4 v[50:53], v[58:59], off offset:48
	;; [unrolled: 1-line block ×3, first 2 shown]
	s_nop 0
	global_load_dwordx4 v[58:61], v[66:67], off
	global_load_dwordx4 v[62:65], v[66:67], off offset:16
	v_mov_b32_e32 v27, v23
	v_add_u32_e32 v22, -2, v26
	v_lshl_add_u64 v[82:83], v[26:27], 4, s[8:9]
	v_lshl_add_u64 v[84:85], v[22:23], 4, s[8:9]
	global_load_dwordx4 v[66:69], v[82:83], off
	global_load_dwordx4 v[70:73], v[84:85], off
	global_load_dwordx4 v[74:77], v[84:85], off offset:16
	global_load_dwordx4 v[78:81], v[82:83], off offset:16
	s_add_u32 s22, s22, 64
	s_addc_u32 s23, s23, 0
	v_lshl_add_u64 v[28:29], v[28:29], 0, s[20:21]
	v_add_u32_e32 v26, 8, v26
	s_cmpk_eq_i32 s22, 0x100
	s_waitcnt vmcnt(9)
	v_fmac_f64_e32 v[16:17], v[34:35], v[42:43]
	v_fmac_f64_e32 v[18:19], v[38:39], v[42:43]
	v_fmac_f64_e32 v[12:13], v[40:41], v[42:43]
	v_fmac_f64_e32 v[10:11], v[36:37], v[42:43]
	v_fma_f64 v[18:19], -v[40:41], v[44:45], v[18:19]
	v_fmac_f64_e32 v[12:13], v[38:39], v[44:45]
	v_fma_f64 v[16:17], -v[36:37], v[44:45], v[16:17]
	v_fmac_f64_e32 v[10:11], v[34:35], v[44:45]
	s_waitcnt vmcnt(5)
	v_fmac_f64_e32 v[18:19], v[58:59], v[46:47]
	v_fmac_f64_e32 v[12:13], v[60:61], v[46:47]
	s_waitcnt vmcnt(4)
	v_fmac_f64_e32 v[16:17], v[62:63], v[46:47]
	v_fmac_f64_e32 v[10:11], v[64:65], v[46:47]
	v_fma_f64 v[18:19], -v[60:61], v[48:49], v[18:19]
	v_fmac_f64_e32 v[12:13], v[58:59], v[48:49]
	v_fma_f64 v[16:17], -v[64:65], v[48:49], v[16:17]
	v_fmac_f64_e32 v[10:11], v[62:63], v[48:49]
	s_waitcnt vmcnt(2)
	v_fmac_f64_e32 v[18:19], v[70:71], v[54:55]
	v_fmac_f64_e32 v[12:13], v[72:73], v[54:55]
	s_waitcnt vmcnt(1)
	v_fmac_f64_e32 v[16:17], v[74:75], v[54:55]
	v_fmac_f64_e32 v[10:11], v[76:77], v[54:55]
	v_fma_f64 v[18:19], -v[72:73], v[56:57], v[18:19]
	v_fmac_f64_e32 v[12:13], v[70:71], v[56:57]
	v_fma_f64 v[16:17], -v[76:77], v[56:57], v[16:17]
	v_fmac_f64_e32 v[10:11], v[74:75], v[56:57]
	v_fmac_f64_e32 v[18:19], v[66:67], v[50:51]
	;; [unrolled: 1-line block ×3, first 2 shown]
	s_waitcnt vmcnt(0)
	v_fmac_f64_e32 v[16:17], v[78:79], v[50:51]
	v_fmac_f64_e32 v[10:11], v[80:81], v[50:51]
	v_fma_f64 v[18:19], -v[68:69], v[52:53], v[18:19]
	v_fmac_f64_e32 v[12:13], v[66:67], v[52:53]
	v_fma_f64 v[16:17], -v[80:81], v[52:53], v[16:17]
	v_fmac_f64_e32 v[10:11], v[78:79], v[52:53]
	s_cbranch_scc0 .LBB300_12
; %bb.13:                               ;   in Loop: Header=BB300_11 Depth=1
	v_add_u32_e32 v24, 16, v24
	v_cmp_ge_i32_e32 vcc, v24, v32
	v_add_u32_e32 v15, 0x200, v15
	s_or_b64 s[18:19], vcc, s[18:19]
	v_add_u32_e32 v20, 0x200, v20
	s_andn2_b64 exec, exec, s[18:19]
	s_cbranch_execnz .LBB300_11
; %bb.14:
	s_or_b64 exec, exec, s[18:19]
.LBB300_15:
	s_or_b64 exec, exec, s[12:13]
	s_andn2_b64 vcc, exec, s[4:5]
	s_cbranch_vccz .LBB300_17
	s_branch .LBB300_24
.LBB300_16:
                                        ; implicit-def: $vgpr12_vgpr13
                                        ; implicit-def: $vgpr18_vgpr19
                                        ; implicit-def: $vgpr16_vgpr17
                                        ; implicit-def: $vgpr10_vgpr11
.LBB300_17:
	v_mov_b64_e32 v[12:13], 0
	v_mov_b64_e32 v[18:19], v[12:13]
	v_mov_b64_e32 v[16:17], v[12:13]
	v_mov_b64_e32 v[10:11], v[12:13]
	s_and_saveexec_b64 s[4:5], s[0:1]
	s_cbranch_execz .LBB300_23
; %bb.18:
	v_mov_b64_e32 v[12:13], 0
	v_lshlrev_b32_e32 v20, 5, v14
	s_mov_b64 s[0:1], 0
	v_mov_b32_e32 v21, 0
	v_mov_b64_e32 v[18:19], v[12:13]
	v_mov_b64_e32 v[16:17], v[12:13]
	;; [unrolled: 1-line block ×3, first 2 shown]
.LBB300_19:                             ; =>This Loop Header: Depth=1
                                        ;     Child Loop BB300_20 Depth 2
	v_ashrrev_i32_e32 v15, 31, v14
	v_lshl_add_u64 v[22:23], v[14:15], 2, s[6:7]
	global_load_dword v15, v[22:23], off
	v_mov_b32_e32 v25, v21
	v_lshl_add_u64 v[22:23], v[20:21], 4, s[8:9]
	s_mov_b64 s[12:13], 0
	s_waitcnt vmcnt(0)
	v_subrev_u32_e32 v15, s16, v15
	v_lshlrev_b32_e32 v24, 4, v15
	v_lshl_add_u64 v[24:25], v[24:25], 4, s[10:11]
.LBB300_20:                             ;   Parent Loop BB300_19 Depth=1
                                        ; =>  This Inner Loop Header: Depth=2
	v_lshl_add_u64 v[30:31], v[22:23], 0, s[12:13]
	v_lshl_add_u64 v[78:79], v[24:25], 0, s[12:13]
	global_load_dwordx4 v[26:29], v[30:31], off
	global_load_dwordx4 v[34:37], v[78:79], off
	global_load_dwordx4 v[38:41], v[30:31], off offset:256
	global_load_dwordx4 v[42:45], v[30:31], off offset:16
	;; [unrolled: 1-line block ×10, first 2 shown]
	s_add_u32 s12, s12, 64
	s_addc_u32 s13, s13, 0
	s_cmpk_eq_i32 s12, 0x100
	s_waitcnt vmcnt(10)
	v_fmac_f64_e32 v[18:19], v[26:27], v[34:35]
	v_fmac_f64_e32 v[12:13], v[28:29], v[34:35]
	s_waitcnt vmcnt(9)
	v_fmac_f64_e32 v[16:17], v[38:39], v[34:35]
	v_fmac_f64_e32 v[10:11], v[40:41], v[34:35]
	v_fma_f64 v[18:19], -v[28:29], v[36:37], v[18:19]
	v_fmac_f64_e32 v[12:13], v[26:27], v[36:37]
	v_fma_f64 v[16:17], -v[40:41], v[36:37], v[16:17]
	v_fmac_f64_e32 v[10:11], v[38:39], v[36:37]
	s_waitcnt vmcnt(7)
	v_fmac_f64_e32 v[18:19], v[42:43], v[46:47]
	v_fmac_f64_e32 v[12:13], v[44:45], v[46:47]
	s_waitcnt vmcnt(6)
	v_fmac_f64_e32 v[16:17], v[50:51], v[46:47]
	v_fmac_f64_e32 v[10:11], v[52:53], v[46:47]
	v_fma_f64 v[18:19], -v[44:45], v[48:49], v[18:19]
	v_fmac_f64_e32 v[12:13], v[42:43], v[48:49]
	v_fma_f64 v[16:17], -v[52:53], v[48:49], v[16:17]
	v_fmac_f64_e32 v[10:11], v[50:51], v[48:49]
	;; [unrolled: 10-line block ×4, first 2 shown]
	s_cbranch_scc0 .LBB300_20
; %bb.21:                               ;   in Loop: Header=BB300_19 Depth=1
	v_add_u32_e32 v14, 16, v14
	v_cmp_ge_i32_e32 vcc, v14, v32
	s_or_b64 s[0:1], vcc, s[0:1]
	v_add_u32_e32 v20, 0x200, v20
	s_andn2_b64 exec, exec, s[0:1]
	s_cbranch_execnz .LBB300_19
; %bb.22:
	s_or_b64 exec, exec, s[0:1]
.LBB300_23:
	s_or_b64 exec, exec, s[4:5]
.LBB300_24:
	v_mov_b32_dpp v22, v16 row_shr:1 row_mask:0xf bank_mask:0xf
	v_mov_b32_dpp v23, v17 row_shr:1 row_mask:0xf bank_mask:0xf
	v_add_f64 v[16:17], v[16:17], v[22:23]
	v_mov_b32_dpp v14, v18 row_shr:1 row_mask:0xf bank_mask:0xf
	v_mov_b32_dpp v15, v19 row_shr:1 row_mask:0xf bank_mask:0xf
	v_mov_b32_dpp v22, v16 row_shr:2 row_mask:0xf bank_mask:0xf
	v_mov_b32_dpp v23, v17 row_shr:2 row_mask:0xf bank_mask:0xf
	v_add_f64 v[16:17], v[16:17], v[22:23]
	v_mov_b32_dpp v20, v12 row_shr:1 row_mask:0xf bank_mask:0xf
	v_mov_b32_dpp v21, v13 row_shr:1 row_mask:0xf bank_mask:0xf
	;; [unrolled: 5-line block ×3, first 2 shown]
	v_add_f64 v[14:15], v[18:19], v[14:15]
	v_add_f64 v[12:13], v[12:13], v[20:21]
	v_add_f64 v[10:11], v[10:11], v[16:17]
	v_mov_b32_dpp v18, v14 row_shr:2 row_mask:0xf bank_mask:0xf
	v_mov_b32_dpp v19, v15 row_shr:2 row_mask:0xf bank_mask:0xf
	v_mov_b32_dpp v20, v12 row_shr:2 row_mask:0xf bank_mask:0xf
	v_mov_b32_dpp v21, v13 row_shr:2 row_mask:0xf bank_mask:0xf
	v_mov_b32_dpp v16, v10 row_shr:2 row_mask:0xf bank_mask:0xf
	v_mov_b32_dpp v17, v11 row_shr:2 row_mask:0xf bank_mask:0xf
	v_add_f64 v[14:15], v[14:15], v[18:19]
	v_add_f64 v[12:13], v[12:13], v[20:21]
	v_add_f64 v[10:11], v[10:11], v[16:17]
	v_mov_b32_dpp v18, v14 row_shr:4 row_mask:0xf bank_mask:0xe
	v_mov_b32_dpp v19, v15 row_shr:4 row_mask:0xf bank_mask:0xe
	v_mov_b32_dpp v20, v12 row_shr:4 row_mask:0xf bank_mask:0xe
	v_mov_b32_dpp v21, v13 row_shr:4 row_mask:0xf bank_mask:0xe
	v_mov_b32_dpp v16, v10 row_shr:4 row_mask:0xf bank_mask:0xe
	v_mov_b32_dpp v17, v11 row_shr:4 row_mask:0xf bank_mask:0xe
	;; [unrolled: 9-line block ×3, first 2 shown]
	v_mov_b32_dpp v28, v26 row_shr:8 row_mask:0xf bank_mask:0xc
	v_mov_b32_dpp v29, v27 row_shr:8 row_mask:0xf bank_mask:0xc
	v_cmp_eq_u32_e32 vcc, 15, v9
	s_and_b64 exec, exec, vcc
	s_cbranch_execz .LBB300_29
; %bb.25:
	s_load_dwordx2 s[2:3], s[2:3], 0x48
	v_cmp_eq_f64_e32 vcc, 0, v[4:5]
	v_cmp_eq_f64_e64 s[0:1], 0, v[6:7]
	v_add_f64 v[14:15], v[14:15], v[18:19]
	v_add_f64 v[16:17], v[12:13], v[20:21]
	;; [unrolled: 1-line block ×4, first 2 shown]
	s_and_b64 s[0:1], vcc, s[0:1]
	s_and_saveexec_b64 s[4:5], s[0:1]
	s_xor_b64 s[0:1], exec, s[4:5]
	s_cbranch_execz .LBB300_27
; %bb.26:
	v_lshlrev_b32_e32 v8, 1, v8
	v_mul_f64 v[4:5], v[16:17], -v[2:3]
	v_mul_f64 v[6:7], v[0:1], v[16:17]
	v_ashrrev_i32_e32 v9, 31, v8
	v_fmac_f64_e32 v[4:5], v[0:1], v[14:15]
	v_fmac_f64_e32 v[6:7], v[2:3], v[14:15]
	s_waitcnt lgkmcnt(0)
	v_lshl_add_u64 v[8:9], v[8:9], 4, s[2:3]
	global_store_dwordx4 v[8:9], v[4:7], off
                                        ; implicit-def: $vgpr14_vgpr15
                                        ; implicit-def: $vgpr16_vgpr17
	s_nop 1
	v_mul_f64 v[4:5], v[12:13], -v[2:3]
	v_mul_f64 v[6:7], v[0:1], v[12:13]
	v_fmac_f64_e32 v[4:5], v[0:1], v[10:11]
	v_fmac_f64_e32 v[6:7], v[2:3], v[10:11]
	global_store_dwordx4 v[8:9], v[4:7], off offset:16
                                        ; implicit-def: $vgpr0_vgpr1
                                        ; implicit-def: $vgpr2_vgpr3
                                        ; implicit-def: $vgpr4_vgpr5
                                        ; implicit-def: $vgpr6_vgpr7
                                        ; implicit-def: $vgpr8
                                        ; implicit-def: $vgpr10_vgpr11
                                        ; implicit-def: $vgpr12_vgpr13
.LBB300_27:
	s_andn2_saveexec_b64 s[0:1], s[0:1]
	s_cbranch_execz .LBB300_29
; %bb.28:
	v_lshlrev_b32_e32 v8, 1, v8
	v_ashrrev_i32_e32 v9, 31, v8
	s_waitcnt lgkmcnt(0)
	v_lshl_add_u64 v[26:27], v[8:9], 4, s[2:3]
	global_load_dwordx4 v[18:21], v[26:27], off
	global_load_dwordx4 v[22:25], v[26:27], off offset:16
	v_mul_f64 v[28:29], v[16:17], -v[2:3]
	v_mul_f64 v[16:17], v[0:1], v[16:17]
	v_mul_f64 v[30:31], v[12:13], -v[2:3]
	v_mul_f64 v[8:9], v[0:1], v[12:13]
	v_fmac_f64_e32 v[28:29], v[0:1], v[14:15]
	v_fmac_f64_e32 v[16:17], v[2:3], v[14:15]
	;; [unrolled: 1-line block ×4, first 2 shown]
	s_waitcnt vmcnt(1)
	v_fmac_f64_e32 v[28:29], v[4:5], v[18:19]
	v_fmac_f64_e32 v[16:17], v[6:7], v[18:19]
	s_waitcnt vmcnt(0)
	v_fmac_f64_e32 v[30:31], v[4:5], v[22:23]
	v_fmac_f64_e32 v[8:9], v[6:7], v[22:23]
	v_fma_f64 v[14:15], -v[6:7], v[20:21], v[28:29]
	v_fmac_f64_e32 v[16:17], v[4:5], v[20:21]
	v_fma_f64 v[6:7], -v[6:7], v[24:25], v[30:31]
	v_fmac_f64_e32 v[8:9], v[4:5], v[24:25]
	global_store_dwordx4 v[26:27], v[14:17], off
	global_store_dwordx4 v[26:27], v[6:9], off offset:16
.LBB300_29:
	s_endpgm
	.section	.rodata,"a",@progbits
	.p2align	6, 0x0
	.amdhsa_kernel _ZN9rocsparseL19gebsrmvn_2xn_kernelILj128ELj16ELj16E21rocsparse_complex_numIdEEEvi20rocsparse_direction_NS_24const_host_device_scalarIT2_EEPKiS8_PKS5_SA_S6_PS5_21rocsparse_index_base_b
		.amdhsa_group_segment_fixed_size 2048
		.amdhsa_private_segment_fixed_size 0
		.amdhsa_kernarg_size 88
		.amdhsa_user_sgpr_count 4
		.amdhsa_user_sgpr_dispatch_ptr 1
		.amdhsa_user_sgpr_queue_ptr 0
		.amdhsa_user_sgpr_kernarg_segment_ptr 1
		.amdhsa_user_sgpr_dispatch_id 0
		.amdhsa_user_sgpr_kernarg_preload_length 0
		.amdhsa_user_sgpr_kernarg_preload_offset 0
		.amdhsa_user_sgpr_private_segment_size 0
		.amdhsa_uses_dynamic_stack 0
		.amdhsa_enable_private_segment 0
		.amdhsa_system_sgpr_workgroup_id_x 1
		.amdhsa_system_sgpr_workgroup_id_y 0
		.amdhsa_system_sgpr_workgroup_id_z 0
		.amdhsa_system_sgpr_workgroup_info 0
		.amdhsa_system_vgpr_workitem_id 2
		.amdhsa_next_free_vgpr 86
		.amdhsa_next_free_sgpr 24
		.amdhsa_accum_offset 88
		.amdhsa_reserve_vcc 1
		.amdhsa_float_round_mode_32 0
		.amdhsa_float_round_mode_16_64 0
		.amdhsa_float_denorm_mode_32 3
		.amdhsa_float_denorm_mode_16_64 3
		.amdhsa_dx10_clamp 1
		.amdhsa_ieee_mode 1
		.amdhsa_fp16_overflow 0
		.amdhsa_tg_split 0
		.amdhsa_exception_fp_ieee_invalid_op 0
		.amdhsa_exception_fp_denorm_src 0
		.amdhsa_exception_fp_ieee_div_zero 0
		.amdhsa_exception_fp_ieee_overflow 0
		.amdhsa_exception_fp_ieee_underflow 0
		.amdhsa_exception_fp_ieee_inexact 0
		.amdhsa_exception_int_div_zero 0
	.end_amdhsa_kernel
	.section	.text._ZN9rocsparseL19gebsrmvn_2xn_kernelILj128ELj16ELj16E21rocsparse_complex_numIdEEEvi20rocsparse_direction_NS_24const_host_device_scalarIT2_EEPKiS8_PKS5_SA_S6_PS5_21rocsparse_index_base_b,"axG",@progbits,_ZN9rocsparseL19gebsrmvn_2xn_kernelILj128ELj16ELj16E21rocsparse_complex_numIdEEEvi20rocsparse_direction_NS_24const_host_device_scalarIT2_EEPKiS8_PKS5_SA_S6_PS5_21rocsparse_index_base_b,comdat
.Lfunc_end300:
	.size	_ZN9rocsparseL19gebsrmvn_2xn_kernelILj128ELj16ELj16E21rocsparse_complex_numIdEEEvi20rocsparse_direction_NS_24const_host_device_scalarIT2_EEPKiS8_PKS5_SA_S6_PS5_21rocsparse_index_base_b, .Lfunc_end300-_ZN9rocsparseL19gebsrmvn_2xn_kernelILj128ELj16ELj16E21rocsparse_complex_numIdEEEvi20rocsparse_direction_NS_24const_host_device_scalarIT2_EEPKiS8_PKS5_SA_S6_PS5_21rocsparse_index_base_b
                                        ; -- End function
	.section	.AMDGPU.csdata,"",@progbits
; Kernel info:
; codeLenInByte = 2096
; NumSgprs: 30
; NumVgprs: 86
; NumAgprs: 0
; TotalNumVgprs: 86
; ScratchSize: 0
; MemoryBound: 1
; FloatMode: 240
; IeeeMode: 1
; LDSByteSize: 2048 bytes/workgroup (compile time only)
; SGPRBlocks: 3
; VGPRBlocks: 10
; NumSGPRsForWavesPerEU: 30
; NumVGPRsForWavesPerEU: 86
; AccumOffset: 88
; Occupancy: 5
; WaveLimiterHint : 1
; COMPUTE_PGM_RSRC2:SCRATCH_EN: 0
; COMPUTE_PGM_RSRC2:USER_SGPR: 4
; COMPUTE_PGM_RSRC2:TRAP_HANDLER: 0
; COMPUTE_PGM_RSRC2:TGID_X_EN: 1
; COMPUTE_PGM_RSRC2:TGID_Y_EN: 0
; COMPUTE_PGM_RSRC2:TGID_Z_EN: 0
; COMPUTE_PGM_RSRC2:TIDIG_COMP_CNT: 2
; COMPUTE_PGM_RSRC3_GFX90A:ACCUM_OFFSET: 21
; COMPUTE_PGM_RSRC3_GFX90A:TG_SPLIT: 0
	.section	.text._ZN9rocsparseL19gebsrmvn_2xn_kernelILj128ELj16ELj32E21rocsparse_complex_numIdEEEvi20rocsparse_direction_NS_24const_host_device_scalarIT2_EEPKiS8_PKS5_SA_S6_PS5_21rocsparse_index_base_b,"axG",@progbits,_ZN9rocsparseL19gebsrmvn_2xn_kernelILj128ELj16ELj32E21rocsparse_complex_numIdEEEvi20rocsparse_direction_NS_24const_host_device_scalarIT2_EEPKiS8_PKS5_SA_S6_PS5_21rocsparse_index_base_b,comdat
	.globl	_ZN9rocsparseL19gebsrmvn_2xn_kernelILj128ELj16ELj32E21rocsparse_complex_numIdEEEvi20rocsparse_direction_NS_24const_host_device_scalarIT2_EEPKiS8_PKS5_SA_S6_PS5_21rocsparse_index_base_b ; -- Begin function _ZN9rocsparseL19gebsrmvn_2xn_kernelILj128ELj16ELj32E21rocsparse_complex_numIdEEEvi20rocsparse_direction_NS_24const_host_device_scalarIT2_EEPKiS8_PKS5_SA_S6_PS5_21rocsparse_index_base_b
	.p2align	8
	.type	_ZN9rocsparseL19gebsrmvn_2xn_kernelILj128ELj16ELj32E21rocsparse_complex_numIdEEEvi20rocsparse_direction_NS_24const_host_device_scalarIT2_EEPKiS8_PKS5_SA_S6_PS5_21rocsparse_index_base_b,@function
_ZN9rocsparseL19gebsrmvn_2xn_kernelILj128ELj16ELj32E21rocsparse_complex_numIdEEEvi20rocsparse_direction_NS_24const_host_device_scalarIT2_EEPKiS8_PKS5_SA_S6_PS5_21rocsparse_index_base_b: ; @_ZN9rocsparseL19gebsrmvn_2xn_kernelILj128ELj16ELj32E21rocsparse_complex_numIdEEEvi20rocsparse_direction_NS_24const_host_device_scalarIT2_EEPKiS8_PKS5_SA_S6_PS5_21rocsparse_index_base_b
; %bb.0:
	s_load_dwordx2 s[16:17], s[2:3], 0x50
	s_load_dwordx4 s[12:15], s[2:3], 0x8
	s_load_dwordx4 s[8:11], s[2:3], 0x38
	s_load_dwordx2 s[18:19], s[0:1], 0x4
	s_mov_b64 s[6:7], src_shared_base
	s_waitcnt lgkmcnt(0)
	s_bitcmp1_b32 s17, 0
	s_cselect_b64 s[0:1], -1, 0
	s_and_b64 vcc, s[0:1], exec
	s_cselect_b32 s5, s7, s13
	s_lshr_b32 s6, s18, 16
	v_bfe_u32 v1, v0, 10, 10
	v_and_b32_e32 v10, 0x3ff, v0
	s_mul_i32 s6, s6, s19
	v_mul_u32_u24_e32 v1, s19, v1
	v_mad_u32_u24 v1, s6, v10, v1
	v_bfe_u32 v0, v0, 20, 10
	v_add_lshl_u32 v4, v1, v0, 3
	v_mov_b32_e32 v5, s12
	v_add_u32_e32 v6, 0x400, v4
	v_mov_b64_e32 v[0:1], s[12:13]
	v_mov_b64_e32 v[2:3], s[8:9]
	ds_write2st64_b64 v4, v[2:3], v[0:1] offset1:2
	v_cndmask_b32_e64 v0, v5, v6, s[0:1]
	v_mov_b32_e32 v1, s5
	flat_load_dwordx2 v[0:1], v[0:1]
	s_xor_b64 s[18:19], s[0:1], -1
	v_mov_b64_e32 v[2:3], s[14:15]
	s_cbranch_vccnz .LBB301_2
; %bb.1:
	v_mov_b64_e32 v[2:3], s[12:13]
	flat_load_dwordx2 v[2:3], v[2:3] offset:8
.LBB301_2:
	s_and_b64 s[12:13], s[0:1], exec
	s_cselect_b32 s5, s7, s9
	v_mov_b32_e32 v5, s8
	v_cndmask_b32_e64 v4, v5, v4, s[0:1]
	v_mov_b32_e32 v5, s5
	flat_load_dwordx2 v[4:5], v[4:5]
	s_andn2_b64 vcc, exec, s[18:19]
	v_mov_b64_e32 v[6:7], s[10:11]
	s_cbranch_vccnz .LBB301_4
; %bb.3:
	v_mov_b64_e32 v[6:7], s[8:9]
	flat_load_dwordx2 v[6:7], v[6:7] offset:8
.LBB301_4:
	s_waitcnt vmcnt(0) lgkmcnt(0)
	v_cmp_eq_f64_e32 vcc, 0, v[0:1]
	v_cmp_eq_f64_e64 s[0:1], 0, v[2:3]
	s_and_b64 s[8:9], vcc, s[0:1]
	s_mov_b64 s[0:1], -1
	s_and_saveexec_b64 s[6:7], s[8:9]
; %bb.5:
	v_cmp_neq_f64_e32 vcc, 1.0, v[4:5]
	v_cmp_neq_f64_e64 s[0:1], 0, v[6:7]
	s_or_b64 s[0:1], vcc, s[0:1]
	s_orn2_b64 s[0:1], s[0:1], exec
; %bb.6:
	s_or_b64 exec, exec, s[6:7]
	s_and_saveexec_b64 s[6:7], s[0:1]
	s_cbranch_execz .LBB301_29
; %bb.7:
	s_load_dwordx2 s[0:1], s[2:3], 0x0
	v_lshrrev_b32_e32 v8, 5, v10
	v_lshl_or_b32 v8, s4, 2, v8
	s_waitcnt lgkmcnt(0)
	v_cmp_gt_i32_e32 vcc, s0, v8
	s_and_b64 exec, exec, vcc
	s_cbranch_execz .LBB301_29
; %bb.8:
	s_load_dwordx8 s[4:11], s[2:3], 0x18
	v_ashrrev_i32_e32 v9, 31, v8
	s_cmp_lg_u32 s1, 0
	s_waitcnt lgkmcnt(0)
	v_lshl_add_u64 v[12:13], v[8:9], 2, s[4:5]
	global_load_dwordx2 v[12:13], v[12:13], off
	v_and_b32_e32 v9, 31, v10
	s_waitcnt vmcnt(0)
	v_subrev_u32_e32 v10, s16, v12
	v_subrev_u32_e32 v32, s16, v13
	v_add_u32_e32 v14, v10, v9
	v_cmp_lt_i32_e64 s[0:1], v14, v32
	s_cbranch_scc0 .LBB301_16
; %bb.9:
	v_mov_b64_e32 v[12:13], 0
	s_mov_b64 s[4:5], 0
	v_mov_b64_e32 v[18:19], v[12:13]
	v_mov_b64_e32 v[16:17], v[12:13]
	;; [unrolled: 1-line block ×3, first 2 shown]
	s_and_saveexec_b64 s[12:13], s[0:1]
	s_cbranch_execz .LBB301_15
; %bb.10:
	v_lshlrev_b32_e32 v20, 5, v14
	s_add_u32 s14, s8, 16
	v_mov_b64_e32 v[12:13], 0
	v_or_b32_e32 v15, 6, v20
	s_addc_u32 s15, s9, 0
	s_mov_b64 s[18:19], 0
	s_mov_b64 s[20:21], 0x80
	v_mov_b32_e32 v23, 0
	v_mov_b32_e32 v24, v14
	v_mov_b64_e32 v[18:19], v[12:13]
	v_mov_b64_e32 v[16:17], v[12:13]
	;; [unrolled: 1-line block ×3, first 2 shown]
.LBB301_11:                             ; =>This Loop Header: Depth=1
                                        ;     Child Loop BB301_12 Depth 2
	v_ashrrev_i32_e32 v25, 31, v24
	v_lshl_add_u64 v[26:27], v[24:25], 2, s[6:7]
	global_load_dword v22, v[26:27], off
	v_mov_b32_e32 v21, v23
	v_lshl_add_u64 v[28:29], v[20:21], 4, s[14:15]
	v_mov_b32_e32 v26, v15
	s_mov_b64 s[22:23], 0
	s_waitcnt vmcnt(0)
	v_subrev_u32_e32 v21, s16, v22
	v_lshlrev_b32_e32 v22, 4, v21
	v_lshl_add_u64 v[30:31], v[22:23], 4, s[10:11]
.LBB301_12:                             ;   Parent Loop BB301_11 Depth=1
                                        ; =>  This Inner Loop Header: Depth=2
	global_load_dwordx4 v[34:37], v[28:29], off
	global_load_dwordx4 v[38:41], v[28:29], off offset:-16
	v_add_u32_e32 v22, -4, v26
	v_lshl_add_u64 v[58:59], v[30:31], 0, s[22:23]
	v_lshl_add_u64 v[66:67], v[22:23], 4, s[8:9]
	global_load_dwordx4 v[42:45], v[58:59], off
	global_load_dwordx4 v[46:49], v[58:59], off offset:16
	global_load_dwordx4 v[50:53], v[58:59], off offset:48
	;; [unrolled: 1-line block ×3, first 2 shown]
	s_nop 0
	global_load_dwordx4 v[58:61], v[66:67], off
	global_load_dwordx4 v[62:65], v[66:67], off offset:16
	v_mov_b32_e32 v27, v23
	v_add_u32_e32 v22, -2, v26
	v_lshl_add_u64 v[82:83], v[26:27], 4, s[8:9]
	v_lshl_add_u64 v[84:85], v[22:23], 4, s[8:9]
	global_load_dwordx4 v[66:69], v[82:83], off
	global_load_dwordx4 v[70:73], v[84:85], off
	global_load_dwordx4 v[74:77], v[84:85], off offset:16
	global_load_dwordx4 v[78:81], v[82:83], off offset:16
	s_add_u32 s22, s22, 64
	s_addc_u32 s23, s23, 0
	v_lshl_add_u64 v[28:29], v[28:29], 0, s[20:21]
	v_add_u32_e32 v26, 8, v26
	s_cmpk_eq_i32 s22, 0x100
	s_waitcnt vmcnt(9)
	v_fmac_f64_e32 v[16:17], v[34:35], v[42:43]
	v_fmac_f64_e32 v[18:19], v[38:39], v[42:43]
	;; [unrolled: 1-line block ×4, first 2 shown]
	v_fma_f64 v[18:19], -v[40:41], v[44:45], v[18:19]
	v_fmac_f64_e32 v[12:13], v[38:39], v[44:45]
	v_fma_f64 v[16:17], -v[36:37], v[44:45], v[16:17]
	v_fmac_f64_e32 v[10:11], v[34:35], v[44:45]
	s_waitcnt vmcnt(5)
	v_fmac_f64_e32 v[18:19], v[58:59], v[46:47]
	v_fmac_f64_e32 v[12:13], v[60:61], v[46:47]
	s_waitcnt vmcnt(4)
	v_fmac_f64_e32 v[16:17], v[62:63], v[46:47]
	v_fmac_f64_e32 v[10:11], v[64:65], v[46:47]
	v_fma_f64 v[18:19], -v[60:61], v[48:49], v[18:19]
	v_fmac_f64_e32 v[12:13], v[58:59], v[48:49]
	v_fma_f64 v[16:17], -v[64:65], v[48:49], v[16:17]
	v_fmac_f64_e32 v[10:11], v[62:63], v[48:49]
	s_waitcnt vmcnt(2)
	v_fmac_f64_e32 v[18:19], v[70:71], v[54:55]
	v_fmac_f64_e32 v[12:13], v[72:73], v[54:55]
	s_waitcnt vmcnt(1)
	v_fmac_f64_e32 v[16:17], v[74:75], v[54:55]
	v_fmac_f64_e32 v[10:11], v[76:77], v[54:55]
	v_fma_f64 v[18:19], -v[72:73], v[56:57], v[18:19]
	v_fmac_f64_e32 v[12:13], v[70:71], v[56:57]
	v_fma_f64 v[16:17], -v[76:77], v[56:57], v[16:17]
	v_fmac_f64_e32 v[10:11], v[74:75], v[56:57]
	v_fmac_f64_e32 v[18:19], v[66:67], v[50:51]
	v_fmac_f64_e32 v[12:13], v[68:69], v[50:51]
	s_waitcnt vmcnt(0)
	v_fmac_f64_e32 v[16:17], v[78:79], v[50:51]
	v_fmac_f64_e32 v[10:11], v[80:81], v[50:51]
	v_fma_f64 v[18:19], -v[68:69], v[52:53], v[18:19]
	v_fmac_f64_e32 v[12:13], v[66:67], v[52:53]
	v_fma_f64 v[16:17], -v[80:81], v[52:53], v[16:17]
	v_fmac_f64_e32 v[10:11], v[78:79], v[52:53]
	s_cbranch_scc0 .LBB301_12
; %bb.13:                               ;   in Loop: Header=BB301_11 Depth=1
	v_add_u32_e32 v24, 32, v24
	v_cmp_ge_i32_e32 vcc, v24, v32
	v_add_u32_e32 v15, 0x400, v15
	s_or_b64 s[18:19], vcc, s[18:19]
	v_add_u32_e32 v20, 0x400, v20
	s_andn2_b64 exec, exec, s[18:19]
	s_cbranch_execnz .LBB301_11
; %bb.14:
	s_or_b64 exec, exec, s[18:19]
.LBB301_15:
	s_or_b64 exec, exec, s[12:13]
	s_andn2_b64 vcc, exec, s[4:5]
	s_cbranch_vccz .LBB301_17
	s_branch .LBB301_24
.LBB301_16:
                                        ; implicit-def: $vgpr12_vgpr13
                                        ; implicit-def: $vgpr18_vgpr19
                                        ; implicit-def: $vgpr16_vgpr17
                                        ; implicit-def: $vgpr10_vgpr11
.LBB301_17:
	v_mov_b64_e32 v[12:13], 0
	v_mov_b64_e32 v[18:19], v[12:13]
	;; [unrolled: 1-line block ×4, first 2 shown]
	s_and_saveexec_b64 s[4:5], s[0:1]
	s_cbranch_execz .LBB301_23
; %bb.18:
	v_mov_b64_e32 v[12:13], 0
	v_lshlrev_b32_e32 v20, 5, v14
	s_mov_b64 s[0:1], 0
	v_mov_b32_e32 v21, 0
	v_mov_b64_e32 v[18:19], v[12:13]
	v_mov_b64_e32 v[16:17], v[12:13]
	;; [unrolled: 1-line block ×3, first 2 shown]
.LBB301_19:                             ; =>This Loop Header: Depth=1
                                        ;     Child Loop BB301_20 Depth 2
	v_ashrrev_i32_e32 v15, 31, v14
	v_lshl_add_u64 v[22:23], v[14:15], 2, s[6:7]
	global_load_dword v15, v[22:23], off
	v_mov_b32_e32 v25, v21
	v_lshl_add_u64 v[22:23], v[20:21], 4, s[8:9]
	s_mov_b64 s[12:13], 0
	s_waitcnt vmcnt(0)
	v_subrev_u32_e32 v15, s16, v15
	v_lshlrev_b32_e32 v24, 4, v15
	v_lshl_add_u64 v[24:25], v[24:25], 4, s[10:11]
.LBB301_20:                             ;   Parent Loop BB301_19 Depth=1
                                        ; =>  This Inner Loop Header: Depth=2
	v_lshl_add_u64 v[30:31], v[22:23], 0, s[12:13]
	v_lshl_add_u64 v[78:79], v[24:25], 0, s[12:13]
	global_load_dwordx4 v[26:29], v[30:31], off
	global_load_dwordx4 v[34:37], v[78:79], off
	global_load_dwordx4 v[38:41], v[30:31], off offset:256
	global_load_dwordx4 v[42:45], v[30:31], off offset:16
	;; [unrolled: 1-line block ×10, first 2 shown]
	s_add_u32 s12, s12, 64
	s_addc_u32 s13, s13, 0
	s_cmpk_eq_i32 s12, 0x100
	s_waitcnt vmcnt(10)
	v_fmac_f64_e32 v[18:19], v[26:27], v[34:35]
	v_fmac_f64_e32 v[12:13], v[28:29], v[34:35]
	s_waitcnt vmcnt(9)
	v_fmac_f64_e32 v[16:17], v[38:39], v[34:35]
	v_fmac_f64_e32 v[10:11], v[40:41], v[34:35]
	v_fma_f64 v[18:19], -v[28:29], v[36:37], v[18:19]
	v_fmac_f64_e32 v[12:13], v[26:27], v[36:37]
	v_fma_f64 v[16:17], -v[40:41], v[36:37], v[16:17]
	v_fmac_f64_e32 v[10:11], v[38:39], v[36:37]
	s_waitcnt vmcnt(7)
	v_fmac_f64_e32 v[18:19], v[42:43], v[46:47]
	v_fmac_f64_e32 v[12:13], v[44:45], v[46:47]
	s_waitcnt vmcnt(6)
	v_fmac_f64_e32 v[16:17], v[50:51], v[46:47]
	v_fmac_f64_e32 v[10:11], v[52:53], v[46:47]
	v_fma_f64 v[18:19], -v[44:45], v[48:49], v[18:19]
	v_fmac_f64_e32 v[12:13], v[42:43], v[48:49]
	v_fma_f64 v[16:17], -v[52:53], v[48:49], v[16:17]
	v_fmac_f64_e32 v[10:11], v[50:51], v[48:49]
	s_waitcnt vmcnt(4)
	v_fmac_f64_e32 v[18:19], v[54:55], v[58:59]
	v_fmac_f64_e32 v[12:13], v[56:57], v[58:59]
	s_waitcnt vmcnt(3)
	v_fmac_f64_e32 v[16:17], v[62:63], v[58:59]
	v_fmac_f64_e32 v[10:11], v[64:65], v[58:59]
	v_fma_f64 v[18:19], -v[56:57], v[60:61], v[18:19]
	v_fmac_f64_e32 v[12:13], v[54:55], v[60:61]
	v_fma_f64 v[16:17], -v[64:65], v[60:61], v[16:17]
	v_fmac_f64_e32 v[10:11], v[62:63], v[60:61]
	s_waitcnt vmcnt(1)
	v_fmac_f64_e32 v[18:19], v[66:67], v[70:71]
	v_fmac_f64_e32 v[12:13], v[68:69], v[70:71]
	s_waitcnt vmcnt(0)
	v_fmac_f64_e32 v[16:17], v[74:75], v[70:71]
	v_fmac_f64_e32 v[10:11], v[76:77], v[70:71]
	v_fma_f64 v[18:19], -v[68:69], v[72:73], v[18:19]
	v_fmac_f64_e32 v[12:13], v[66:67], v[72:73]
	v_fma_f64 v[16:17], -v[76:77], v[72:73], v[16:17]
	v_fmac_f64_e32 v[10:11], v[74:75], v[72:73]
	s_cbranch_scc0 .LBB301_20
; %bb.21:                               ;   in Loop: Header=BB301_19 Depth=1
	v_add_u32_e32 v14, 32, v14
	v_cmp_ge_i32_e32 vcc, v14, v32
	s_or_b64 s[0:1], vcc, s[0:1]
	v_add_u32_e32 v20, 0x400, v20
	s_andn2_b64 exec, exec, s[0:1]
	s_cbranch_execnz .LBB301_19
; %bb.22:
	s_or_b64 exec, exec, s[0:1]
.LBB301_23:
	s_or_b64 exec, exec, s[4:5]
.LBB301_24:
	v_mov_b32_dpp v22, v16 row_shr:1 row_mask:0xf bank_mask:0xf
	v_mov_b32_dpp v23, v17 row_shr:1 row_mask:0xf bank_mask:0xf
	v_add_f64 v[16:17], v[16:17], v[22:23]
	v_mov_b32_dpp v14, v18 row_shr:1 row_mask:0xf bank_mask:0xf
	v_mov_b32_dpp v15, v19 row_shr:1 row_mask:0xf bank_mask:0xf
	;; [unrolled: 1-line block ×4, first 2 shown]
	v_add_f64 v[16:17], v[16:17], v[22:23]
	v_mov_b32_dpp v20, v12 row_shr:1 row_mask:0xf bank_mask:0xf
	v_mov_b32_dpp v21, v13 row_shr:1 row_mask:0xf bank_mask:0xf
	;; [unrolled: 1-line block ×4, first 2 shown]
	v_add_f64 v[16:17], v[16:17], v[22:23]
	v_add_f64 v[14:15], v[18:19], v[14:15]
	;; [unrolled: 1-line block ×3, first 2 shown]
	v_mov_b32_dpp v22, v16 row_shr:8 row_mask:0xf bank_mask:0xc
	v_mov_b32_dpp v23, v17 row_shr:8 row_mask:0xf bank_mask:0xc
	v_add_f64 v[22:23], v[16:17], v[22:23]
	v_mov_b32_dpp v16, v10 row_shr:1 row_mask:0xf bank_mask:0xf
	v_mov_b32_dpp v17, v11 row_shr:1 row_mask:0xf bank_mask:0xf
	v_add_f64 v[10:11], v[10:11], v[16:17]
	v_mov_b32_dpp v18, v14 row_shr:2 row_mask:0xf bank_mask:0xf
	v_mov_b32_dpp v19, v15 row_shr:2 row_mask:0xf bank_mask:0xf
	v_mov_b32_dpp v20, v12 row_shr:2 row_mask:0xf bank_mask:0xf
	v_mov_b32_dpp v21, v13 row_shr:2 row_mask:0xf bank_mask:0xf
	v_mov_b32_dpp v16, v10 row_shr:2 row_mask:0xf bank_mask:0xf
	v_mov_b32_dpp v17, v11 row_shr:2 row_mask:0xf bank_mask:0xf
	v_add_f64 v[14:15], v[14:15], v[18:19]
	v_add_f64 v[12:13], v[12:13], v[20:21]
	v_add_f64 v[10:11], v[10:11], v[16:17]
	v_mov_b32_dpp v18, v14 row_shr:4 row_mask:0xf bank_mask:0xe
	v_mov_b32_dpp v19, v15 row_shr:4 row_mask:0xf bank_mask:0xe
	v_mov_b32_dpp v20, v12 row_shr:4 row_mask:0xf bank_mask:0xe
	v_mov_b32_dpp v21, v13 row_shr:4 row_mask:0xf bank_mask:0xe
	v_mov_b32_dpp v16, v10 row_shr:4 row_mask:0xf bank_mask:0xe
	v_mov_b32_dpp v17, v11 row_shr:4 row_mask:0xf bank_mask:0xe
	v_add_f64 v[14:15], v[14:15], v[18:19]
	v_add_f64 v[12:13], v[12:13], v[20:21]
	v_add_f64 v[10:11], v[10:11], v[16:17]
	v_mov_b32_dpp v18, v14 row_shr:8 row_mask:0xf bank_mask:0xc
	v_mov_b32_dpp v19, v15 row_shr:8 row_mask:0xf bank_mask:0xc
	v_mov_b32_dpp v20, v12 row_shr:8 row_mask:0xf bank_mask:0xc
	v_mov_b32_dpp v21, v13 row_shr:8 row_mask:0xf bank_mask:0xc
	v_mov_b32_dpp v16, v10 row_shr:8 row_mask:0xf bank_mask:0xc
	v_mov_b32_dpp v17, v11 row_shr:8 row_mask:0xf bank_mask:0xc
	v_add_f64 v[14:15], v[14:15], v[18:19]
	v_add_f64 v[12:13], v[12:13], v[20:21]
	v_add_f64 v[26:27], v[10:11], v[16:17]
	v_mov_b32_dpp v18, v14 row_bcast:15 row_mask:0xa bank_mask:0xf
	v_mov_b32_dpp v19, v15 row_bcast:15 row_mask:0xa bank_mask:0xf
	;; [unrolled: 1-line block ×8, first 2 shown]
	v_cmp_eq_u32_e32 vcc, 31, v9
	s_and_b64 exec, exec, vcc
	s_cbranch_execz .LBB301_29
; %bb.25:
	s_load_dwordx2 s[2:3], s[2:3], 0x48
	v_cmp_eq_f64_e32 vcc, 0, v[4:5]
	v_cmp_eq_f64_e64 s[0:1], 0, v[6:7]
	v_add_f64 v[14:15], v[14:15], v[18:19]
	v_add_f64 v[16:17], v[12:13], v[20:21]
	v_add_f64 v[10:11], v[22:23], v[24:25]
	v_add_f64 v[12:13], v[26:27], v[28:29]
	s_and_b64 s[0:1], vcc, s[0:1]
	s_and_saveexec_b64 s[4:5], s[0:1]
	s_xor_b64 s[0:1], exec, s[4:5]
	s_cbranch_execz .LBB301_27
; %bb.26:
	v_lshlrev_b32_e32 v8, 1, v8
	v_mul_f64 v[4:5], v[16:17], -v[2:3]
	v_mul_f64 v[6:7], v[0:1], v[16:17]
	v_ashrrev_i32_e32 v9, 31, v8
	v_fmac_f64_e32 v[4:5], v[0:1], v[14:15]
	v_fmac_f64_e32 v[6:7], v[2:3], v[14:15]
	s_waitcnt lgkmcnt(0)
	v_lshl_add_u64 v[8:9], v[8:9], 4, s[2:3]
	global_store_dwordx4 v[8:9], v[4:7], off
                                        ; implicit-def: $vgpr14_vgpr15
                                        ; implicit-def: $vgpr16_vgpr17
	s_nop 1
	v_mul_f64 v[4:5], v[12:13], -v[2:3]
	v_mul_f64 v[6:7], v[0:1], v[12:13]
	v_fmac_f64_e32 v[4:5], v[0:1], v[10:11]
	v_fmac_f64_e32 v[6:7], v[2:3], v[10:11]
	global_store_dwordx4 v[8:9], v[4:7], off offset:16
                                        ; implicit-def: $vgpr0_vgpr1
                                        ; implicit-def: $vgpr2_vgpr3
                                        ; implicit-def: $vgpr4_vgpr5
                                        ; implicit-def: $vgpr6_vgpr7
                                        ; implicit-def: $vgpr8
                                        ; implicit-def: $vgpr10_vgpr11
                                        ; implicit-def: $vgpr12_vgpr13
.LBB301_27:
	s_andn2_saveexec_b64 s[0:1], s[0:1]
	s_cbranch_execz .LBB301_29
; %bb.28:
	v_lshlrev_b32_e32 v8, 1, v8
	v_ashrrev_i32_e32 v9, 31, v8
	s_waitcnt lgkmcnt(0)
	v_lshl_add_u64 v[26:27], v[8:9], 4, s[2:3]
	global_load_dwordx4 v[18:21], v[26:27], off
	global_load_dwordx4 v[22:25], v[26:27], off offset:16
	v_mul_f64 v[28:29], v[16:17], -v[2:3]
	v_mul_f64 v[16:17], v[0:1], v[16:17]
	v_mul_f64 v[30:31], v[12:13], -v[2:3]
	v_mul_f64 v[8:9], v[0:1], v[12:13]
	v_fmac_f64_e32 v[28:29], v[0:1], v[14:15]
	v_fmac_f64_e32 v[16:17], v[2:3], v[14:15]
	;; [unrolled: 1-line block ×4, first 2 shown]
	s_waitcnt vmcnt(1)
	v_fmac_f64_e32 v[28:29], v[4:5], v[18:19]
	v_fmac_f64_e32 v[16:17], v[6:7], v[18:19]
	s_waitcnt vmcnt(0)
	v_fmac_f64_e32 v[30:31], v[4:5], v[22:23]
	v_fmac_f64_e32 v[8:9], v[6:7], v[22:23]
	v_fma_f64 v[14:15], -v[6:7], v[20:21], v[28:29]
	v_fmac_f64_e32 v[16:17], v[4:5], v[20:21]
	v_fma_f64 v[6:7], -v[6:7], v[24:25], v[30:31]
	v_fmac_f64_e32 v[8:9], v[4:5], v[24:25]
	global_store_dwordx4 v[26:27], v[14:17], off
	global_store_dwordx4 v[26:27], v[6:9], off offset:16
.LBB301_29:
	s_endpgm
	.section	.rodata,"a",@progbits
	.p2align	6, 0x0
	.amdhsa_kernel _ZN9rocsparseL19gebsrmvn_2xn_kernelILj128ELj16ELj32E21rocsparse_complex_numIdEEEvi20rocsparse_direction_NS_24const_host_device_scalarIT2_EEPKiS8_PKS5_SA_S6_PS5_21rocsparse_index_base_b
		.amdhsa_group_segment_fixed_size 2048
		.amdhsa_private_segment_fixed_size 0
		.amdhsa_kernarg_size 88
		.amdhsa_user_sgpr_count 4
		.amdhsa_user_sgpr_dispatch_ptr 1
		.amdhsa_user_sgpr_queue_ptr 0
		.amdhsa_user_sgpr_kernarg_segment_ptr 1
		.amdhsa_user_sgpr_dispatch_id 0
		.amdhsa_user_sgpr_kernarg_preload_length 0
		.amdhsa_user_sgpr_kernarg_preload_offset 0
		.amdhsa_user_sgpr_private_segment_size 0
		.amdhsa_uses_dynamic_stack 0
		.amdhsa_enable_private_segment 0
		.amdhsa_system_sgpr_workgroup_id_x 1
		.amdhsa_system_sgpr_workgroup_id_y 0
		.amdhsa_system_sgpr_workgroup_id_z 0
		.amdhsa_system_sgpr_workgroup_info 0
		.amdhsa_system_vgpr_workitem_id 2
		.amdhsa_next_free_vgpr 86
		.amdhsa_next_free_sgpr 24
		.amdhsa_accum_offset 88
		.amdhsa_reserve_vcc 1
		.amdhsa_float_round_mode_32 0
		.amdhsa_float_round_mode_16_64 0
		.amdhsa_float_denorm_mode_32 3
		.amdhsa_float_denorm_mode_16_64 3
		.amdhsa_dx10_clamp 1
		.amdhsa_ieee_mode 1
		.amdhsa_fp16_overflow 0
		.amdhsa_tg_split 0
		.amdhsa_exception_fp_ieee_invalid_op 0
		.amdhsa_exception_fp_denorm_src 0
		.amdhsa_exception_fp_ieee_div_zero 0
		.amdhsa_exception_fp_ieee_overflow 0
		.amdhsa_exception_fp_ieee_underflow 0
		.amdhsa_exception_fp_ieee_inexact 0
		.amdhsa_exception_int_div_zero 0
	.end_amdhsa_kernel
	.section	.text._ZN9rocsparseL19gebsrmvn_2xn_kernelILj128ELj16ELj32E21rocsparse_complex_numIdEEEvi20rocsparse_direction_NS_24const_host_device_scalarIT2_EEPKiS8_PKS5_SA_S6_PS5_21rocsparse_index_base_b,"axG",@progbits,_ZN9rocsparseL19gebsrmvn_2xn_kernelILj128ELj16ELj32E21rocsparse_complex_numIdEEEvi20rocsparse_direction_NS_24const_host_device_scalarIT2_EEPKiS8_PKS5_SA_S6_PS5_21rocsparse_index_base_b,comdat
.Lfunc_end301:
	.size	_ZN9rocsparseL19gebsrmvn_2xn_kernelILj128ELj16ELj32E21rocsparse_complex_numIdEEEvi20rocsparse_direction_NS_24const_host_device_scalarIT2_EEPKiS8_PKS5_SA_S6_PS5_21rocsparse_index_base_b, .Lfunc_end301-_ZN9rocsparseL19gebsrmvn_2xn_kernelILj128ELj16ELj32E21rocsparse_complex_numIdEEEvi20rocsparse_direction_NS_24const_host_device_scalarIT2_EEPKiS8_PKS5_SA_S6_PS5_21rocsparse_index_base_b
                                        ; -- End function
	.section	.AMDGPU.csdata,"",@progbits
; Kernel info:
; codeLenInByte = 2192
; NumSgprs: 30
; NumVgprs: 86
; NumAgprs: 0
; TotalNumVgprs: 86
; ScratchSize: 0
; MemoryBound: 1
; FloatMode: 240
; IeeeMode: 1
; LDSByteSize: 2048 bytes/workgroup (compile time only)
; SGPRBlocks: 3
; VGPRBlocks: 10
; NumSGPRsForWavesPerEU: 30
; NumVGPRsForWavesPerEU: 86
; AccumOffset: 88
; Occupancy: 5
; WaveLimiterHint : 1
; COMPUTE_PGM_RSRC2:SCRATCH_EN: 0
; COMPUTE_PGM_RSRC2:USER_SGPR: 4
; COMPUTE_PGM_RSRC2:TRAP_HANDLER: 0
; COMPUTE_PGM_RSRC2:TGID_X_EN: 1
; COMPUTE_PGM_RSRC2:TGID_Y_EN: 0
; COMPUTE_PGM_RSRC2:TGID_Z_EN: 0
; COMPUTE_PGM_RSRC2:TIDIG_COMP_CNT: 2
; COMPUTE_PGM_RSRC3_GFX90A:ACCUM_OFFSET: 21
; COMPUTE_PGM_RSRC3_GFX90A:TG_SPLIT: 0
	.section	.text._ZN9rocsparseL19gebsrmvn_2xn_kernelILj128ELj16ELj64E21rocsparse_complex_numIdEEEvi20rocsparse_direction_NS_24const_host_device_scalarIT2_EEPKiS8_PKS5_SA_S6_PS5_21rocsparse_index_base_b,"axG",@progbits,_ZN9rocsparseL19gebsrmvn_2xn_kernelILj128ELj16ELj64E21rocsparse_complex_numIdEEEvi20rocsparse_direction_NS_24const_host_device_scalarIT2_EEPKiS8_PKS5_SA_S6_PS5_21rocsparse_index_base_b,comdat
	.globl	_ZN9rocsparseL19gebsrmvn_2xn_kernelILj128ELj16ELj64E21rocsparse_complex_numIdEEEvi20rocsparse_direction_NS_24const_host_device_scalarIT2_EEPKiS8_PKS5_SA_S6_PS5_21rocsparse_index_base_b ; -- Begin function _ZN9rocsparseL19gebsrmvn_2xn_kernelILj128ELj16ELj64E21rocsparse_complex_numIdEEEvi20rocsparse_direction_NS_24const_host_device_scalarIT2_EEPKiS8_PKS5_SA_S6_PS5_21rocsparse_index_base_b
	.p2align	8
	.type	_ZN9rocsparseL19gebsrmvn_2xn_kernelILj128ELj16ELj64E21rocsparse_complex_numIdEEEvi20rocsparse_direction_NS_24const_host_device_scalarIT2_EEPKiS8_PKS5_SA_S6_PS5_21rocsparse_index_base_b,@function
_ZN9rocsparseL19gebsrmvn_2xn_kernelILj128ELj16ELj64E21rocsparse_complex_numIdEEEvi20rocsparse_direction_NS_24const_host_device_scalarIT2_EEPKiS8_PKS5_SA_S6_PS5_21rocsparse_index_base_b: ; @_ZN9rocsparseL19gebsrmvn_2xn_kernelILj128ELj16ELj64E21rocsparse_complex_numIdEEEvi20rocsparse_direction_NS_24const_host_device_scalarIT2_EEPKiS8_PKS5_SA_S6_PS5_21rocsparse_index_base_b
; %bb.0:
	s_load_dwordx2 s[16:17], s[2:3], 0x50
	s_load_dwordx4 s[12:15], s[2:3], 0x8
	s_load_dwordx4 s[8:11], s[2:3], 0x38
	s_load_dwordx2 s[18:19], s[0:1], 0x4
	s_mov_b64 s[6:7], src_shared_base
	s_waitcnt lgkmcnt(0)
	s_bitcmp1_b32 s17, 0
	s_cselect_b64 s[0:1], -1, 0
	s_and_b64 vcc, s[0:1], exec
	s_cselect_b32 s5, s7, s13
	s_lshr_b32 s6, s18, 16
	v_bfe_u32 v1, v0, 10, 10
	v_and_b32_e32 v10, 0x3ff, v0
	s_mul_i32 s6, s6, s19
	v_mul_u32_u24_e32 v1, s19, v1
	v_mad_u32_u24 v1, s6, v10, v1
	v_bfe_u32 v0, v0, 20, 10
	v_add_lshl_u32 v4, v1, v0, 3
	v_mov_b32_e32 v5, s12
	v_add_u32_e32 v6, 0x400, v4
	v_mov_b64_e32 v[0:1], s[12:13]
	v_mov_b64_e32 v[2:3], s[8:9]
	ds_write2st64_b64 v4, v[2:3], v[0:1] offset1:2
	v_cndmask_b32_e64 v0, v5, v6, s[0:1]
	v_mov_b32_e32 v1, s5
	flat_load_dwordx2 v[0:1], v[0:1]
	s_xor_b64 s[18:19], s[0:1], -1
	v_mov_b64_e32 v[2:3], s[14:15]
	s_cbranch_vccnz .LBB302_2
; %bb.1:
	v_mov_b64_e32 v[2:3], s[12:13]
	flat_load_dwordx2 v[2:3], v[2:3] offset:8
.LBB302_2:
	s_and_b64 s[12:13], s[0:1], exec
	s_cselect_b32 s5, s7, s9
	v_mov_b32_e32 v5, s8
	v_cndmask_b32_e64 v4, v5, v4, s[0:1]
	v_mov_b32_e32 v5, s5
	flat_load_dwordx2 v[4:5], v[4:5]
	s_andn2_b64 vcc, exec, s[18:19]
	v_mov_b64_e32 v[6:7], s[10:11]
	s_cbranch_vccnz .LBB302_4
; %bb.3:
	v_mov_b64_e32 v[6:7], s[8:9]
	flat_load_dwordx2 v[6:7], v[6:7] offset:8
.LBB302_4:
	s_waitcnt vmcnt(0) lgkmcnt(0)
	v_cmp_eq_f64_e32 vcc, 0, v[0:1]
	v_cmp_eq_f64_e64 s[0:1], 0, v[2:3]
	s_and_b64 s[8:9], vcc, s[0:1]
	s_mov_b64 s[0:1], -1
	s_and_saveexec_b64 s[6:7], s[8:9]
; %bb.5:
	v_cmp_neq_f64_e32 vcc, 1.0, v[4:5]
	v_cmp_neq_f64_e64 s[0:1], 0, v[6:7]
	s_or_b64 s[0:1], vcc, s[0:1]
	s_orn2_b64 s[0:1], s[0:1], exec
; %bb.6:
	s_or_b64 exec, exec, s[6:7]
	s_and_saveexec_b64 s[6:7], s[0:1]
	s_cbranch_execz .LBB302_29
; %bb.7:
	s_load_dwordx2 s[0:1], s[2:3], 0x0
	v_lshrrev_b32_e32 v8, 6, v10
	v_lshl_or_b32 v8, s4, 1, v8
	s_waitcnt lgkmcnt(0)
	v_cmp_gt_i32_e32 vcc, s0, v8
	s_and_b64 exec, exec, vcc
	s_cbranch_execz .LBB302_29
; %bb.8:
	s_load_dwordx8 s[4:11], s[2:3], 0x18
	v_ashrrev_i32_e32 v9, 31, v8
	s_cmp_lg_u32 s1, 0
	s_waitcnt lgkmcnt(0)
	v_lshl_add_u64 v[12:13], v[8:9], 2, s[4:5]
	global_load_dwordx2 v[12:13], v[12:13], off
	v_and_b32_e32 v9, 63, v10
	s_waitcnt vmcnt(0)
	v_subrev_u32_e32 v10, s16, v12
	v_subrev_u32_e32 v32, s16, v13
	v_add_u32_e32 v14, v10, v9
	v_cmp_lt_i32_e64 s[0:1], v14, v32
	s_cbranch_scc0 .LBB302_16
; %bb.9:
	v_mov_b64_e32 v[12:13], 0
	s_mov_b64 s[4:5], 0
	v_mov_b64_e32 v[18:19], v[12:13]
	v_mov_b64_e32 v[16:17], v[12:13]
	;; [unrolled: 1-line block ×3, first 2 shown]
	s_and_saveexec_b64 s[12:13], s[0:1]
	s_cbranch_execz .LBB302_15
; %bb.10:
	v_lshlrev_b32_e32 v20, 5, v14
	s_add_u32 s14, s8, 16
	v_mov_b64_e32 v[12:13], 0
	v_or_b32_e32 v15, 6, v20
	s_addc_u32 s15, s9, 0
	s_mov_b64 s[18:19], 0
	s_mov_b64 s[20:21], 0x80
	v_mov_b32_e32 v23, 0
	v_mov_b32_e32 v24, v14
	v_mov_b64_e32 v[18:19], v[12:13]
	v_mov_b64_e32 v[16:17], v[12:13]
	v_mov_b64_e32 v[10:11], v[12:13]
.LBB302_11:                             ; =>This Loop Header: Depth=1
                                        ;     Child Loop BB302_12 Depth 2
	v_ashrrev_i32_e32 v25, 31, v24
	v_lshl_add_u64 v[26:27], v[24:25], 2, s[6:7]
	global_load_dword v22, v[26:27], off
	v_mov_b32_e32 v21, v23
	v_lshl_add_u64 v[28:29], v[20:21], 4, s[14:15]
	v_mov_b32_e32 v26, v15
	s_mov_b64 s[22:23], 0
	s_waitcnt vmcnt(0)
	v_subrev_u32_e32 v21, s16, v22
	v_lshlrev_b32_e32 v22, 4, v21
	v_lshl_add_u64 v[30:31], v[22:23], 4, s[10:11]
.LBB302_12:                             ;   Parent Loop BB302_11 Depth=1
                                        ; =>  This Inner Loop Header: Depth=2
	global_load_dwordx4 v[34:37], v[28:29], off
	global_load_dwordx4 v[38:41], v[28:29], off offset:-16
	v_add_u32_e32 v22, -4, v26
	v_lshl_add_u64 v[58:59], v[30:31], 0, s[22:23]
	v_lshl_add_u64 v[66:67], v[22:23], 4, s[8:9]
	global_load_dwordx4 v[42:45], v[58:59], off
	global_load_dwordx4 v[46:49], v[58:59], off offset:16
	global_load_dwordx4 v[50:53], v[58:59], off offset:48
	;; [unrolled: 1-line block ×3, first 2 shown]
	s_nop 0
	global_load_dwordx4 v[58:61], v[66:67], off
	global_load_dwordx4 v[62:65], v[66:67], off offset:16
	v_mov_b32_e32 v27, v23
	v_add_u32_e32 v22, -2, v26
	v_lshl_add_u64 v[82:83], v[26:27], 4, s[8:9]
	v_lshl_add_u64 v[84:85], v[22:23], 4, s[8:9]
	global_load_dwordx4 v[66:69], v[82:83], off
	global_load_dwordx4 v[70:73], v[84:85], off
	global_load_dwordx4 v[74:77], v[84:85], off offset:16
	global_load_dwordx4 v[78:81], v[82:83], off offset:16
	s_add_u32 s22, s22, 64
	s_addc_u32 s23, s23, 0
	v_lshl_add_u64 v[28:29], v[28:29], 0, s[20:21]
	v_add_u32_e32 v26, 8, v26
	s_cmpk_eq_i32 s22, 0x100
	s_waitcnt vmcnt(9)
	v_fmac_f64_e32 v[16:17], v[34:35], v[42:43]
	v_fmac_f64_e32 v[18:19], v[38:39], v[42:43]
	;; [unrolled: 1-line block ×4, first 2 shown]
	v_fma_f64 v[18:19], -v[40:41], v[44:45], v[18:19]
	v_fmac_f64_e32 v[12:13], v[38:39], v[44:45]
	v_fma_f64 v[16:17], -v[36:37], v[44:45], v[16:17]
	v_fmac_f64_e32 v[10:11], v[34:35], v[44:45]
	s_waitcnt vmcnt(5)
	v_fmac_f64_e32 v[18:19], v[58:59], v[46:47]
	v_fmac_f64_e32 v[12:13], v[60:61], v[46:47]
	s_waitcnt vmcnt(4)
	v_fmac_f64_e32 v[16:17], v[62:63], v[46:47]
	v_fmac_f64_e32 v[10:11], v[64:65], v[46:47]
	v_fma_f64 v[18:19], -v[60:61], v[48:49], v[18:19]
	v_fmac_f64_e32 v[12:13], v[58:59], v[48:49]
	v_fma_f64 v[16:17], -v[64:65], v[48:49], v[16:17]
	v_fmac_f64_e32 v[10:11], v[62:63], v[48:49]
	s_waitcnt vmcnt(2)
	v_fmac_f64_e32 v[18:19], v[70:71], v[54:55]
	v_fmac_f64_e32 v[12:13], v[72:73], v[54:55]
	s_waitcnt vmcnt(1)
	v_fmac_f64_e32 v[16:17], v[74:75], v[54:55]
	v_fmac_f64_e32 v[10:11], v[76:77], v[54:55]
	v_fma_f64 v[18:19], -v[72:73], v[56:57], v[18:19]
	v_fmac_f64_e32 v[12:13], v[70:71], v[56:57]
	v_fma_f64 v[16:17], -v[76:77], v[56:57], v[16:17]
	v_fmac_f64_e32 v[10:11], v[74:75], v[56:57]
	v_fmac_f64_e32 v[18:19], v[66:67], v[50:51]
	;; [unrolled: 1-line block ×3, first 2 shown]
	s_waitcnt vmcnt(0)
	v_fmac_f64_e32 v[16:17], v[78:79], v[50:51]
	v_fmac_f64_e32 v[10:11], v[80:81], v[50:51]
	v_fma_f64 v[18:19], -v[68:69], v[52:53], v[18:19]
	v_fmac_f64_e32 v[12:13], v[66:67], v[52:53]
	v_fma_f64 v[16:17], -v[80:81], v[52:53], v[16:17]
	v_fmac_f64_e32 v[10:11], v[78:79], v[52:53]
	s_cbranch_scc0 .LBB302_12
; %bb.13:                               ;   in Loop: Header=BB302_11 Depth=1
	v_add_u32_e32 v24, 64, v24
	v_cmp_ge_i32_e32 vcc, v24, v32
	v_add_u32_e32 v15, 0x800, v15
	s_or_b64 s[18:19], vcc, s[18:19]
	v_add_u32_e32 v20, 0x800, v20
	s_andn2_b64 exec, exec, s[18:19]
	s_cbranch_execnz .LBB302_11
; %bb.14:
	s_or_b64 exec, exec, s[18:19]
.LBB302_15:
	s_or_b64 exec, exec, s[12:13]
	s_andn2_b64 vcc, exec, s[4:5]
	s_cbranch_vccz .LBB302_17
	s_branch .LBB302_24
.LBB302_16:
                                        ; implicit-def: $vgpr12_vgpr13
                                        ; implicit-def: $vgpr18_vgpr19
                                        ; implicit-def: $vgpr16_vgpr17
                                        ; implicit-def: $vgpr10_vgpr11
.LBB302_17:
	v_mov_b64_e32 v[12:13], 0
	v_mov_b64_e32 v[18:19], v[12:13]
	;; [unrolled: 1-line block ×4, first 2 shown]
	s_and_saveexec_b64 s[4:5], s[0:1]
	s_cbranch_execz .LBB302_23
; %bb.18:
	v_mov_b64_e32 v[12:13], 0
	v_lshlrev_b32_e32 v20, 5, v14
	s_mov_b64 s[0:1], 0
	v_mov_b32_e32 v21, 0
	v_mov_b64_e32 v[18:19], v[12:13]
	v_mov_b64_e32 v[16:17], v[12:13]
	;; [unrolled: 1-line block ×3, first 2 shown]
.LBB302_19:                             ; =>This Loop Header: Depth=1
                                        ;     Child Loop BB302_20 Depth 2
	v_ashrrev_i32_e32 v15, 31, v14
	v_lshl_add_u64 v[22:23], v[14:15], 2, s[6:7]
	global_load_dword v15, v[22:23], off
	v_mov_b32_e32 v25, v21
	v_lshl_add_u64 v[22:23], v[20:21], 4, s[8:9]
	s_mov_b64 s[12:13], 0
	s_waitcnt vmcnt(0)
	v_subrev_u32_e32 v15, s16, v15
	v_lshlrev_b32_e32 v24, 4, v15
	v_lshl_add_u64 v[24:25], v[24:25], 4, s[10:11]
.LBB302_20:                             ;   Parent Loop BB302_19 Depth=1
                                        ; =>  This Inner Loop Header: Depth=2
	v_lshl_add_u64 v[30:31], v[22:23], 0, s[12:13]
	v_lshl_add_u64 v[78:79], v[24:25], 0, s[12:13]
	global_load_dwordx4 v[26:29], v[30:31], off
	global_load_dwordx4 v[34:37], v[78:79], off
	global_load_dwordx4 v[38:41], v[30:31], off offset:256
	global_load_dwordx4 v[42:45], v[30:31], off offset:16
	;; [unrolled: 1-line block ×10, first 2 shown]
	s_add_u32 s12, s12, 64
	s_addc_u32 s13, s13, 0
	s_cmpk_eq_i32 s12, 0x100
	s_waitcnt vmcnt(10)
	v_fmac_f64_e32 v[18:19], v[26:27], v[34:35]
	v_fmac_f64_e32 v[12:13], v[28:29], v[34:35]
	s_waitcnt vmcnt(9)
	v_fmac_f64_e32 v[16:17], v[38:39], v[34:35]
	v_fmac_f64_e32 v[10:11], v[40:41], v[34:35]
	v_fma_f64 v[18:19], -v[28:29], v[36:37], v[18:19]
	v_fmac_f64_e32 v[12:13], v[26:27], v[36:37]
	v_fma_f64 v[16:17], -v[40:41], v[36:37], v[16:17]
	v_fmac_f64_e32 v[10:11], v[38:39], v[36:37]
	s_waitcnt vmcnt(7)
	v_fmac_f64_e32 v[18:19], v[42:43], v[46:47]
	v_fmac_f64_e32 v[12:13], v[44:45], v[46:47]
	s_waitcnt vmcnt(6)
	v_fmac_f64_e32 v[16:17], v[50:51], v[46:47]
	v_fmac_f64_e32 v[10:11], v[52:53], v[46:47]
	v_fma_f64 v[18:19], -v[44:45], v[48:49], v[18:19]
	v_fmac_f64_e32 v[12:13], v[42:43], v[48:49]
	v_fma_f64 v[16:17], -v[52:53], v[48:49], v[16:17]
	v_fmac_f64_e32 v[10:11], v[50:51], v[48:49]
	;; [unrolled: 10-line block ×4, first 2 shown]
	s_cbranch_scc0 .LBB302_20
; %bb.21:                               ;   in Loop: Header=BB302_19 Depth=1
	v_add_u32_e32 v14, 64, v14
	v_cmp_ge_i32_e32 vcc, v14, v32
	s_or_b64 s[0:1], vcc, s[0:1]
	v_add_u32_e32 v20, 0x800, v20
	s_andn2_b64 exec, exec, s[0:1]
	s_cbranch_execnz .LBB302_19
; %bb.22:
	s_or_b64 exec, exec, s[0:1]
.LBB302_23:
	s_or_b64 exec, exec, s[4:5]
.LBB302_24:
	v_mov_b32_dpp v22, v16 row_shr:1 row_mask:0xf bank_mask:0xf
	v_mov_b32_dpp v23, v17 row_shr:1 row_mask:0xf bank_mask:0xf
	v_add_f64 v[16:17], v[16:17], v[22:23]
	v_mov_b32_dpp v14, v18 row_shr:1 row_mask:0xf bank_mask:0xf
	v_mov_b32_dpp v15, v19 row_shr:1 row_mask:0xf bank_mask:0xf
	;; [unrolled: 1-line block ×4, first 2 shown]
	v_add_f64 v[16:17], v[16:17], v[22:23]
	v_mov_b32_dpp v20, v12 row_shr:1 row_mask:0xf bank_mask:0xf
	v_mov_b32_dpp v21, v13 row_shr:1 row_mask:0xf bank_mask:0xf
	;; [unrolled: 1-line block ×4, first 2 shown]
	v_add_f64 v[16:17], v[16:17], v[22:23]
	v_add_f64 v[14:15], v[18:19], v[14:15]
	;; [unrolled: 1-line block ×3, first 2 shown]
	v_mov_b32_dpp v22, v16 row_shr:8 row_mask:0xf bank_mask:0xc
	v_mov_b32_dpp v23, v17 row_shr:8 row_mask:0xf bank_mask:0xc
	v_add_f64 v[16:17], v[16:17], v[22:23]
	v_mov_b32_dpp v18, v14 row_shr:2 row_mask:0xf bank_mask:0xf
	v_mov_b32_dpp v19, v15 row_shr:2 row_mask:0xf bank_mask:0xf
	v_mov_b32_dpp v22, v16 row_bcast:15 row_mask:0xa bank_mask:0xf
	v_mov_b32_dpp v23, v17 row_bcast:15 row_mask:0xa bank_mask:0xf
	v_add_f64 v[22:23], v[16:17], v[22:23]
	v_mov_b32_dpp v16, v10 row_shr:1 row_mask:0xf bank_mask:0xf
	v_mov_b32_dpp v17, v11 row_shr:1 row_mask:0xf bank_mask:0xf
	v_add_f64 v[10:11], v[10:11], v[16:17]
	v_mov_b32_dpp v20, v12 row_shr:2 row_mask:0xf bank_mask:0xf
	v_mov_b32_dpp v21, v13 row_shr:2 row_mask:0xf bank_mask:0xf
	;; [unrolled: 1-line block ×4, first 2 shown]
	v_add_f64 v[14:15], v[14:15], v[18:19]
	v_add_f64 v[12:13], v[12:13], v[20:21]
	;; [unrolled: 1-line block ×3, first 2 shown]
	v_mov_b32_dpp v18, v14 row_shr:4 row_mask:0xf bank_mask:0xe
	v_mov_b32_dpp v19, v15 row_shr:4 row_mask:0xf bank_mask:0xe
	;; [unrolled: 1-line block ×6, first 2 shown]
	v_add_f64 v[14:15], v[14:15], v[18:19]
	v_add_f64 v[12:13], v[12:13], v[20:21]
	;; [unrolled: 1-line block ×3, first 2 shown]
	v_mov_b32_dpp v18, v14 row_shr:8 row_mask:0xf bank_mask:0xc
	v_mov_b32_dpp v19, v15 row_shr:8 row_mask:0xf bank_mask:0xc
	;; [unrolled: 1-line block ×6, first 2 shown]
	v_add_f64 v[14:15], v[14:15], v[18:19]
	v_add_f64 v[12:13], v[12:13], v[20:21]
	;; [unrolled: 1-line block ×3, first 2 shown]
	v_mov_b32_dpp v18, v14 row_bcast:15 row_mask:0xa bank_mask:0xf
	v_mov_b32_dpp v19, v15 row_bcast:15 row_mask:0xa bank_mask:0xf
	;; [unrolled: 1-line block ×6, first 2 shown]
	v_add_f64 v[14:15], v[14:15], v[18:19]
	v_add_f64 v[12:13], v[12:13], v[20:21]
	;; [unrolled: 1-line block ×3, first 2 shown]
	v_mov_b32_dpp v18, v14 row_bcast:31 row_mask:0xc bank_mask:0xf
	v_mov_b32_dpp v19, v15 row_bcast:31 row_mask:0xc bank_mask:0xf
	;; [unrolled: 1-line block ×8, first 2 shown]
	v_cmp_eq_u32_e32 vcc, 63, v9
	s_and_b64 exec, exec, vcc
	s_cbranch_execz .LBB302_29
; %bb.25:
	s_load_dwordx2 s[2:3], s[2:3], 0x48
	v_cmp_eq_f64_e32 vcc, 0, v[4:5]
	v_cmp_eq_f64_e64 s[0:1], 0, v[6:7]
	v_add_f64 v[14:15], v[14:15], v[18:19]
	v_add_f64 v[16:17], v[12:13], v[20:21]
	;; [unrolled: 1-line block ×4, first 2 shown]
	s_and_b64 s[0:1], vcc, s[0:1]
	s_and_saveexec_b64 s[4:5], s[0:1]
	s_xor_b64 s[0:1], exec, s[4:5]
	s_cbranch_execz .LBB302_27
; %bb.26:
	v_lshlrev_b32_e32 v8, 1, v8
	v_mul_f64 v[4:5], v[16:17], -v[2:3]
	v_mul_f64 v[6:7], v[0:1], v[16:17]
	v_ashrrev_i32_e32 v9, 31, v8
	v_fmac_f64_e32 v[4:5], v[0:1], v[14:15]
	v_fmac_f64_e32 v[6:7], v[2:3], v[14:15]
	s_waitcnt lgkmcnt(0)
	v_lshl_add_u64 v[8:9], v[8:9], 4, s[2:3]
	global_store_dwordx4 v[8:9], v[4:7], off
                                        ; implicit-def: $vgpr14_vgpr15
                                        ; implicit-def: $vgpr16_vgpr17
	s_nop 1
	v_mul_f64 v[4:5], v[12:13], -v[2:3]
	v_mul_f64 v[6:7], v[0:1], v[12:13]
	v_fmac_f64_e32 v[4:5], v[0:1], v[10:11]
	v_fmac_f64_e32 v[6:7], v[2:3], v[10:11]
	global_store_dwordx4 v[8:9], v[4:7], off offset:16
                                        ; implicit-def: $vgpr0_vgpr1
                                        ; implicit-def: $vgpr2_vgpr3
                                        ; implicit-def: $vgpr4_vgpr5
                                        ; implicit-def: $vgpr6_vgpr7
                                        ; implicit-def: $vgpr8
                                        ; implicit-def: $vgpr10_vgpr11
                                        ; implicit-def: $vgpr12_vgpr13
.LBB302_27:
	s_andn2_saveexec_b64 s[0:1], s[0:1]
	s_cbranch_execz .LBB302_29
; %bb.28:
	v_lshlrev_b32_e32 v8, 1, v8
	v_ashrrev_i32_e32 v9, 31, v8
	s_waitcnt lgkmcnt(0)
	v_lshl_add_u64 v[26:27], v[8:9], 4, s[2:3]
	global_load_dwordx4 v[18:21], v[26:27], off
	global_load_dwordx4 v[22:25], v[26:27], off offset:16
	v_mul_f64 v[28:29], v[16:17], -v[2:3]
	v_mul_f64 v[16:17], v[0:1], v[16:17]
	v_mul_f64 v[30:31], v[12:13], -v[2:3]
	v_mul_f64 v[8:9], v[0:1], v[12:13]
	v_fmac_f64_e32 v[28:29], v[0:1], v[14:15]
	v_fmac_f64_e32 v[16:17], v[2:3], v[14:15]
	;; [unrolled: 1-line block ×4, first 2 shown]
	s_waitcnt vmcnt(1)
	v_fmac_f64_e32 v[28:29], v[4:5], v[18:19]
	v_fmac_f64_e32 v[16:17], v[6:7], v[18:19]
	s_waitcnt vmcnt(0)
	v_fmac_f64_e32 v[30:31], v[4:5], v[22:23]
	v_fmac_f64_e32 v[8:9], v[6:7], v[22:23]
	v_fma_f64 v[14:15], -v[6:7], v[20:21], v[28:29]
	v_fmac_f64_e32 v[16:17], v[4:5], v[20:21]
	v_fma_f64 v[6:7], -v[6:7], v[24:25], v[30:31]
	v_fmac_f64_e32 v[8:9], v[4:5], v[24:25]
	global_store_dwordx4 v[26:27], v[14:17], off
	global_store_dwordx4 v[26:27], v[6:9], off offset:16
.LBB302_29:
	s_endpgm
	.section	.rodata,"a",@progbits
	.p2align	6, 0x0
	.amdhsa_kernel _ZN9rocsparseL19gebsrmvn_2xn_kernelILj128ELj16ELj64E21rocsparse_complex_numIdEEEvi20rocsparse_direction_NS_24const_host_device_scalarIT2_EEPKiS8_PKS5_SA_S6_PS5_21rocsparse_index_base_b
		.amdhsa_group_segment_fixed_size 2048
		.amdhsa_private_segment_fixed_size 0
		.amdhsa_kernarg_size 88
		.amdhsa_user_sgpr_count 4
		.amdhsa_user_sgpr_dispatch_ptr 1
		.amdhsa_user_sgpr_queue_ptr 0
		.amdhsa_user_sgpr_kernarg_segment_ptr 1
		.amdhsa_user_sgpr_dispatch_id 0
		.amdhsa_user_sgpr_kernarg_preload_length 0
		.amdhsa_user_sgpr_kernarg_preload_offset 0
		.amdhsa_user_sgpr_private_segment_size 0
		.amdhsa_uses_dynamic_stack 0
		.amdhsa_enable_private_segment 0
		.amdhsa_system_sgpr_workgroup_id_x 1
		.amdhsa_system_sgpr_workgroup_id_y 0
		.amdhsa_system_sgpr_workgroup_id_z 0
		.amdhsa_system_sgpr_workgroup_info 0
		.amdhsa_system_vgpr_workitem_id 2
		.amdhsa_next_free_vgpr 86
		.amdhsa_next_free_sgpr 24
		.amdhsa_accum_offset 88
		.amdhsa_reserve_vcc 1
		.amdhsa_float_round_mode_32 0
		.amdhsa_float_round_mode_16_64 0
		.amdhsa_float_denorm_mode_32 3
		.amdhsa_float_denorm_mode_16_64 3
		.amdhsa_dx10_clamp 1
		.amdhsa_ieee_mode 1
		.amdhsa_fp16_overflow 0
		.amdhsa_tg_split 0
		.amdhsa_exception_fp_ieee_invalid_op 0
		.amdhsa_exception_fp_denorm_src 0
		.amdhsa_exception_fp_ieee_div_zero 0
		.amdhsa_exception_fp_ieee_overflow 0
		.amdhsa_exception_fp_ieee_underflow 0
		.amdhsa_exception_fp_ieee_inexact 0
		.amdhsa_exception_int_div_zero 0
	.end_amdhsa_kernel
	.section	.text._ZN9rocsparseL19gebsrmvn_2xn_kernelILj128ELj16ELj64E21rocsparse_complex_numIdEEEvi20rocsparse_direction_NS_24const_host_device_scalarIT2_EEPKiS8_PKS5_SA_S6_PS5_21rocsparse_index_base_b,"axG",@progbits,_ZN9rocsparseL19gebsrmvn_2xn_kernelILj128ELj16ELj64E21rocsparse_complex_numIdEEEvi20rocsparse_direction_NS_24const_host_device_scalarIT2_EEPKiS8_PKS5_SA_S6_PS5_21rocsparse_index_base_b,comdat
.Lfunc_end302:
	.size	_ZN9rocsparseL19gebsrmvn_2xn_kernelILj128ELj16ELj64E21rocsparse_complex_numIdEEEvi20rocsparse_direction_NS_24const_host_device_scalarIT2_EEPKiS8_PKS5_SA_S6_PS5_21rocsparse_index_base_b, .Lfunc_end302-_ZN9rocsparseL19gebsrmvn_2xn_kernelILj128ELj16ELj64E21rocsparse_complex_numIdEEEvi20rocsparse_direction_NS_24const_host_device_scalarIT2_EEPKiS8_PKS5_SA_S6_PS5_21rocsparse_index_base_b
                                        ; -- End function
	.section	.AMDGPU.csdata,"",@progbits
; Kernel info:
; codeLenInByte = 2288
; NumSgprs: 30
; NumVgprs: 86
; NumAgprs: 0
; TotalNumVgprs: 86
; ScratchSize: 0
; MemoryBound: 1
; FloatMode: 240
; IeeeMode: 1
; LDSByteSize: 2048 bytes/workgroup (compile time only)
; SGPRBlocks: 3
; VGPRBlocks: 10
; NumSGPRsForWavesPerEU: 30
; NumVGPRsForWavesPerEU: 86
; AccumOffset: 88
; Occupancy: 5
; WaveLimiterHint : 1
; COMPUTE_PGM_RSRC2:SCRATCH_EN: 0
; COMPUTE_PGM_RSRC2:USER_SGPR: 4
; COMPUTE_PGM_RSRC2:TRAP_HANDLER: 0
; COMPUTE_PGM_RSRC2:TGID_X_EN: 1
; COMPUTE_PGM_RSRC2:TGID_Y_EN: 0
; COMPUTE_PGM_RSRC2:TGID_Z_EN: 0
; COMPUTE_PGM_RSRC2:TIDIG_COMP_CNT: 2
; COMPUTE_PGM_RSRC3_GFX90A:ACCUM_OFFSET: 21
; COMPUTE_PGM_RSRC3_GFX90A:TG_SPLIT: 0
	.section	.text._ZN9rocsparseL23gebsrmvn_general_kernelILj32ELj32E21rocsparse_complex_numIdEEEvi20rocsparse_direction_NS_24const_host_device_scalarIT1_EEPKiS8_PKS5_iiSA_S6_PS5_21rocsparse_index_base_b,"axG",@progbits,_ZN9rocsparseL23gebsrmvn_general_kernelILj32ELj32E21rocsparse_complex_numIdEEEvi20rocsparse_direction_NS_24const_host_device_scalarIT1_EEPKiS8_PKS5_iiSA_S6_PS5_21rocsparse_index_base_b,comdat
	.globl	_ZN9rocsparseL23gebsrmvn_general_kernelILj32ELj32E21rocsparse_complex_numIdEEEvi20rocsparse_direction_NS_24const_host_device_scalarIT1_EEPKiS8_PKS5_iiSA_S6_PS5_21rocsparse_index_base_b ; -- Begin function _ZN9rocsparseL23gebsrmvn_general_kernelILj32ELj32E21rocsparse_complex_numIdEEEvi20rocsparse_direction_NS_24const_host_device_scalarIT1_EEPKiS8_PKS5_iiSA_S6_PS5_21rocsparse_index_base_b
	.p2align	8
	.type	_ZN9rocsparseL23gebsrmvn_general_kernelILj32ELj32E21rocsparse_complex_numIdEEEvi20rocsparse_direction_NS_24const_host_device_scalarIT1_EEPKiS8_PKS5_iiSA_S6_PS5_21rocsparse_index_base_b,@function
_ZN9rocsparseL23gebsrmvn_general_kernelILj32ELj32E21rocsparse_complex_numIdEEEvi20rocsparse_direction_NS_24const_host_device_scalarIT1_EEPKiS8_PKS5_iiSA_S6_PS5_21rocsparse_index_base_b: ; @_ZN9rocsparseL23gebsrmvn_general_kernelILj32ELj32E21rocsparse_complex_numIdEEEvi20rocsparse_direction_NS_24const_host_device_scalarIT1_EEPKiS8_PKS5_iiSA_S6_PS5_21rocsparse_index_base_b
; %bb.0:
	s_load_dwordx2 s[16:17], s[2:3], 0x58
	s_load_dwordx4 s[12:15], s[2:3], 0x8
	s_load_dwordx4 s[8:11], s[2:3], 0x40
	s_load_dwordx2 s[18:19], s[0:1], 0x4
	s_mov_b64 s[6:7], src_shared_base
	s_waitcnt lgkmcnt(0)
	s_bitcmp1_b32 s17, 0
	s_cselect_b64 s[0:1], -1, 0
	s_and_b64 vcc, s[0:1], exec
	s_cselect_b32 s5, s7, s13
	s_lshr_b32 s6, s18, 16
	v_bfe_u32 v2, v0, 10, 10
	v_and_b32_e32 v13, 0x3ff, v0
	s_mul_i32 s6, s6, s19
	v_mul_u32_u24_e32 v2, s19, v2
	v_mad_u32_u24 v2, s6, v13, v2
	v_bfe_u32 v0, v0, 20, 10
	v_add_lshl_u32 v0, v2, v0, 3
	v_mov_b32_e32 v1, s12
	v_add_u32_e32 v6, 0x100, v0
	v_mov_b64_e32 v[2:3], s[12:13]
	v_mov_b64_e32 v[4:5], s[8:9]
	ds_write2_b64 v0, v[4:5], v[2:3] offset1:32
	v_cndmask_b32_e64 v2, v1, v6, s[0:1]
	v_mov_b32_e32 v3, s5
	flat_load_dwordx2 v[4:5], v[2:3]
	s_xor_b64 s[18:19], s[0:1], -1
	v_mov_b64_e32 v[6:7], s[14:15]
	s_cbranch_vccnz .LBB303_2
; %bb.1:
	v_mov_b64_e32 v[2:3], s[12:13]
	flat_load_dwordx2 v[6:7], v[2:3] offset:8
.LBB303_2:
	s_and_b64 s[12:13], s[0:1], exec
	s_cselect_b32 s5, s7, s9
	v_mov_b32_e32 v1, s8
	v_cndmask_b32_e64 v0, v1, v0, s[0:1]
	v_mov_b32_e32 v1, s5
	flat_load_dwordx2 v[8:9], v[0:1]
	s_andn2_b64 vcc, exec, s[18:19]
	v_mov_b64_e32 v[10:11], s[10:11]
	s_cbranch_vccnz .LBB303_4
; %bb.3:
	v_mov_b64_e32 v[0:1], s[8:9]
	flat_load_dwordx2 v[10:11], v[0:1] offset:8
.LBB303_4:
	s_waitcnt vmcnt(0) lgkmcnt(0)
	v_cmp_eq_f64_e32 vcc, 0, v[4:5]
	v_cmp_eq_f64_e64 s[0:1], 0, v[6:7]
	s_and_b64 s[8:9], vcc, s[0:1]
	s_mov_b64 s[0:1], -1
	s_and_saveexec_b64 s[6:7], s[8:9]
; %bb.5:
	v_cmp_neq_f64_e32 vcc, 1.0, v[8:9]
	v_cmp_neq_f64_e64 s[0:1], 0, v[10:11]
	s_or_b64 s[0:1], vcc, s[0:1]
	s_orn2_b64 s[0:1], s[0:1], exec
; %bb.6:
	s_or_b64 exec, exec, s[6:7]
	s_and_saveexec_b64 s[6:7], s[0:1]
	s_cbranch_execz .LBB303_26
; %bb.7:
	s_load_dwordx2 s[12:13], s[2:3], 0x30
	s_waitcnt lgkmcnt(0)
	s_cmp_gt_i32 s12, 0
	s_cselect_b64 s[0:1], -1, 0
	s_and_b64 exec, exec, s[0:1]
	s_cbranch_execz .LBB303_26
; %bb.8:
	s_load_dwordx4 s[8:11], s[2:3], 0x18
	s_load_dword s20, s[2:3], 0x4
	s_ashr_i32 s5, s4, 31
	s_lshl_b64 s[0:1], s[4:5], 2
	s_mul_i32 s34, s4, s12
	s_waitcnt lgkmcnt(0)
	s_add_u32 s0, s8, s0
	s_addc_u32 s1, s9, s1
	s_load_dwordx2 s[6:7], s[0:1], 0x0
	s_load_dwordx2 s[8:9], s[2:3], 0x28
	;; [unrolled: 1-line block ×4, first 2 shown]
	v_cmp_eq_f64_e32 vcc, 0, v[8:9]
	s_waitcnt lgkmcnt(0)
	s_sub_i32 s17, s6, s16
	s_sub_i32 s33, s7, s16
	s_cmp_lt_i32 s6, s7
	s_cselect_b64 s[24:25], -1, 0
	s_mul_i32 s4, s12, s17
	s_cmp_lg_u32 s20, 0
	v_cmp_eq_f64_e64 s[6:7], 0, v[10:11]
	s_mul_i32 s4, s13, s4
	v_cndmask_b32_e64 v0, 0, 1, s[24:25]
	v_mov_b32_e32 v12, 0
	v_cmp_gt_i32_e64 s[0:1], s13, v13
	s_cselect_b64 s[20:21], -1, 0
	v_cmp_eq_u32_e64 s[2:3], 31, v13
	s_mov_b64 s[22:23], 0
	s_and_b64 s[6:7], vcc, s[6:7]
	v_mov_b32_e32 v18, s4
	s_mul_i32 s35, s13, s12
	v_cmp_ne_u32_e64 s[4:5], 1, v0
	s_branch .LBB303_10
.LBB303_9:                              ;   in Loop: Header=BB303_10 Depth=1
	s_or_b64 exec, exec, s[24:25]
	v_add_u32_e32 v12, 1, v12
	v_cmp_le_i32_e32 vcc, s12, v12
	s_or_b64 s[22:23], vcc, s[22:23]
	v_add_u32_e32 v18, s13, v18
	s_andn2_b64 exec, exec, s[22:23]
	s_cbranch_execz .LBB303_26
.LBB303_10:                             ; =>This Loop Header: Depth=1
                                        ;     Child Loop BB303_14 Depth 2
                                        ;       Child Loop BB303_17 Depth 3
	v_mov_b64_e32 v[0:1], 0
	s_and_b64 vcc, exec, s[4:5]
	v_mov_b64_e32 v[2:3], v[0:1]
	s_cbranch_vccnz .LBB303_21
; %bb.11:                               ;   in Loop: Header=BB303_10 Depth=1
	v_mov_b64_e32 v[0:1], 0
	v_mov_b32_e32 v16, v18
	s_mov_b32 s24, s17
	v_mov_b64_e32 v[2:3], v[0:1]
	s_branch .LBB303_14
.LBB303_12:                             ;   in Loop: Header=BB303_14 Depth=2
	s_or_b64 exec, exec, s[28:29]
.LBB303_13:                             ;   in Loop: Header=BB303_14 Depth=2
	s_or_b64 exec, exec, s[26:27]
	s_add_i32 s24, s24, 1
	s_cmp_ge_i32 s24, s33
	v_add_u32_e32 v16, s35, v16
	s_cbranch_scc1 .LBB303_21
.LBB303_14:                             ;   Parent Loop BB303_10 Depth=1
                                        ; =>  This Loop Header: Depth=2
                                        ;       Child Loop BB303_17 Depth 3
	s_and_saveexec_b64 s[26:27], s[0:1]
	s_cbranch_execz .LBB303_13
; %bb.15:                               ;   in Loop: Header=BB303_14 Depth=2
	s_ashr_i32 s25, s24, 31
	s_lshl_b64 s[28:29], s[24:25], 2
	s_add_u32 s28, s10, s28
	s_addc_u32 s29, s11, s29
	s_load_dword s30, s[28:29], 0x0
	s_mul_i32 s25, s24, s13
	s_mov_b64 s[28:29], 0
	v_mov_b32_e32 v17, v13
	s_waitcnt lgkmcnt(0)
	s_sub_i32 s36, s30, s16
	s_mul_i32 s36, s36, s13
	s_branch .LBB303_17
.LBB303_16:                             ;   in Loop: Header=BB303_17 Depth=3
	v_ashrrev_i32_e32 v15, 31, v14
	v_lshl_add_u64 v[14:15], v[14:15], 4, s[8:9]
	global_load_dwordx4 v[20:23], v[14:15], off
	v_add_u32_e32 v14, s36, v17
	v_ashrrev_i32_e32 v15, 31, v14
	v_lshl_add_u64 v[14:15], v[14:15], 4, s[18:19]
	global_load_dwordx4 v[24:27], v[14:15], off
	v_add_u32_e32 v17, 32, v17
	v_cmp_le_i32_e32 vcc, s13, v17
	s_or_b64 s[28:29], vcc, s[28:29]
	s_waitcnt vmcnt(0)
	v_fmac_f64_e32 v[2:3], v[20:21], v[24:25]
	v_fmac_f64_e32 v[0:1], v[22:23], v[24:25]
	v_fma_f64 v[2:3], -v[22:23], v[26:27], v[2:3]
	v_fmac_f64_e32 v[0:1], v[20:21], v[26:27]
	s_andn2_b64 exec, exec, s[28:29]
	s_cbranch_execz .LBB303_12
.LBB303_17:                             ;   Parent Loop BB303_10 Depth=1
                                        ;     Parent Loop BB303_14 Depth=2
                                        ; =>    This Inner Loop Header: Depth=3
	s_and_b64 vcc, exec, s[20:21]
	s_cbranch_vccz .LBB303_19
; %bb.18:                               ;   in Loop: Header=BB303_17 Depth=3
	v_add_u32_e32 v14, s25, v17
	v_mad_u64_u32 v[14:15], s[30:31], v14, s12, v[12:13]
	s_cbranch_execnz .LBB303_16
	s_branch .LBB303_20
.LBB303_19:                             ;   in Loop: Header=BB303_17 Depth=3
                                        ; implicit-def: $vgpr14
.LBB303_20:                             ;   in Loop: Header=BB303_17 Depth=3
	v_add_u32_e32 v14, v16, v17
	s_branch .LBB303_16
.LBB303_21:                             ;   in Loop: Header=BB303_10 Depth=1
	s_nop 0
	v_mov_b32_dpp v14, v2 row_shr:1 row_mask:0xf bank_mask:0xf
	v_mov_b32_dpp v15, v3 row_shr:1 row_mask:0xf bank_mask:0xf
	v_mov_b32_dpp v16, v0 row_shr:1 row_mask:0xf bank_mask:0xf
	v_mov_b32_dpp v17, v1 row_shr:1 row_mask:0xf bank_mask:0xf
	v_add_f64 v[2:3], v[2:3], v[14:15]
	v_add_f64 v[0:1], v[0:1], v[16:17]
	s_nop 0
	v_mov_b32_dpp v14, v2 row_shr:2 row_mask:0xf bank_mask:0xf
	v_mov_b32_dpp v15, v3 row_shr:2 row_mask:0xf bank_mask:0xf
	v_mov_b32_dpp v16, v0 row_shr:2 row_mask:0xf bank_mask:0xf
	v_mov_b32_dpp v17, v1 row_shr:2 row_mask:0xf bank_mask:0xf
	v_add_f64 v[2:3], v[2:3], v[14:15]
	v_add_f64 v[0:1], v[0:1], v[16:17]
	;; [unrolled: 7-line block ×4, first 2 shown]
	s_nop 0
	v_mov_b32_dpp v14, v2 row_bcast:15 row_mask:0xa bank_mask:0xf
	v_mov_b32_dpp v15, v3 row_bcast:15 row_mask:0xa bank_mask:0xf
	;; [unrolled: 1-line block ×4, first 2 shown]
	s_and_saveexec_b64 s[24:25], s[2:3]
	s_cbranch_execz .LBB303_9
; %bb.22:                               ;   in Loop: Header=BB303_10 Depth=1
	v_add_f64 v[20:21], v[2:3], v[14:15]
	v_add_f64 v[2:3], v[0:1], v[16:17]
	v_mul_f64 v[0:1], v[2:3], -v[6:7]
	v_mul_f64 v[2:3], v[4:5], v[2:3]
	v_add_u32_e32 v14, s34, v12
	v_fmac_f64_e32 v[0:1], v[4:5], v[20:21]
	v_fmac_f64_e32 v[2:3], v[6:7], v[20:21]
	v_ashrrev_i32_e32 v15, 31, v14
	s_and_saveexec_b64 s[26:27], s[6:7]
	s_xor_b64 s[26:27], exec, s[26:27]
	s_cbranch_execz .LBB303_24
; %bb.23:                               ;   in Loop: Header=BB303_10 Depth=1
	v_lshl_add_u64 v[14:15], v[14:15], 4, s[14:15]
	global_store_dwordx4 v[14:15], v[0:3], off
                                        ; implicit-def: $vgpr14
                                        ; implicit-def: $vgpr0_vgpr1
.LBB303_24:                             ;   in Loop: Header=BB303_10 Depth=1
	s_andn2_saveexec_b64 s[26:27], s[26:27]
	s_cbranch_execz .LBB303_9
; %bb.25:                               ;   in Loop: Header=BB303_10 Depth=1
	v_lshl_add_u64 v[20:21], v[14:15], 4, s[14:15]
	global_load_dwordx4 v[14:17], v[20:21], off
	s_waitcnt vmcnt(0)
	v_fmac_f64_e32 v[0:1], v[8:9], v[14:15]
	v_fmac_f64_e32 v[2:3], v[10:11], v[14:15]
	v_fma_f64 v[0:1], -v[10:11], v[16:17], v[0:1]
	v_fmac_f64_e32 v[2:3], v[8:9], v[16:17]
	global_store_dwordx4 v[20:21], v[0:3], off
	s_branch .LBB303_9
.LBB303_26:
	s_endpgm
	.section	.rodata,"a",@progbits
	.p2align	6, 0x0
	.amdhsa_kernel _ZN9rocsparseL23gebsrmvn_general_kernelILj32ELj32E21rocsparse_complex_numIdEEEvi20rocsparse_direction_NS_24const_host_device_scalarIT1_EEPKiS8_PKS5_iiSA_S6_PS5_21rocsparse_index_base_b
		.amdhsa_group_segment_fixed_size 512
		.amdhsa_private_segment_fixed_size 0
		.amdhsa_kernarg_size 96
		.amdhsa_user_sgpr_count 4
		.amdhsa_user_sgpr_dispatch_ptr 1
		.amdhsa_user_sgpr_queue_ptr 0
		.amdhsa_user_sgpr_kernarg_segment_ptr 1
		.amdhsa_user_sgpr_dispatch_id 0
		.amdhsa_user_sgpr_kernarg_preload_length 0
		.amdhsa_user_sgpr_kernarg_preload_offset 0
		.amdhsa_user_sgpr_private_segment_size 0
		.amdhsa_uses_dynamic_stack 0
		.amdhsa_enable_private_segment 0
		.amdhsa_system_sgpr_workgroup_id_x 1
		.amdhsa_system_sgpr_workgroup_id_y 0
		.amdhsa_system_sgpr_workgroup_id_z 0
		.amdhsa_system_sgpr_workgroup_info 0
		.amdhsa_system_vgpr_workitem_id 2
		.amdhsa_next_free_vgpr 28
		.amdhsa_next_free_sgpr 37
		.amdhsa_accum_offset 28
		.amdhsa_reserve_vcc 1
		.amdhsa_float_round_mode_32 0
		.amdhsa_float_round_mode_16_64 0
		.amdhsa_float_denorm_mode_32 3
		.amdhsa_float_denorm_mode_16_64 3
		.amdhsa_dx10_clamp 1
		.amdhsa_ieee_mode 1
		.amdhsa_fp16_overflow 0
		.amdhsa_tg_split 0
		.amdhsa_exception_fp_ieee_invalid_op 0
		.amdhsa_exception_fp_denorm_src 0
		.amdhsa_exception_fp_ieee_div_zero 0
		.amdhsa_exception_fp_ieee_overflow 0
		.amdhsa_exception_fp_ieee_underflow 0
		.amdhsa_exception_fp_ieee_inexact 0
		.amdhsa_exception_int_div_zero 0
	.end_amdhsa_kernel
	.section	.text._ZN9rocsparseL23gebsrmvn_general_kernelILj32ELj32E21rocsparse_complex_numIdEEEvi20rocsparse_direction_NS_24const_host_device_scalarIT1_EEPKiS8_PKS5_iiSA_S6_PS5_21rocsparse_index_base_b,"axG",@progbits,_ZN9rocsparseL23gebsrmvn_general_kernelILj32ELj32E21rocsparse_complex_numIdEEEvi20rocsparse_direction_NS_24const_host_device_scalarIT1_EEPKiS8_PKS5_iiSA_S6_PS5_21rocsparse_index_base_b,comdat
.Lfunc_end303:
	.size	_ZN9rocsparseL23gebsrmvn_general_kernelILj32ELj32E21rocsparse_complex_numIdEEEvi20rocsparse_direction_NS_24const_host_device_scalarIT1_EEPKiS8_PKS5_iiSA_S6_PS5_21rocsparse_index_base_b, .Lfunc_end303-_ZN9rocsparseL23gebsrmvn_general_kernelILj32ELj32E21rocsparse_complex_numIdEEEvi20rocsparse_direction_NS_24const_host_device_scalarIT1_EEPKiS8_PKS5_iiSA_S6_PS5_21rocsparse_index_base_b
                                        ; -- End function
	.section	.AMDGPU.csdata,"",@progbits
; Kernel info:
; codeLenInByte = 1164
; NumSgprs: 43
; NumVgprs: 28
; NumAgprs: 0
; TotalNumVgprs: 28
; ScratchSize: 0
; MemoryBound: 0
; FloatMode: 240
; IeeeMode: 1
; LDSByteSize: 512 bytes/workgroup (compile time only)
; SGPRBlocks: 5
; VGPRBlocks: 3
; NumSGPRsForWavesPerEU: 43
; NumVGPRsForWavesPerEU: 28
; AccumOffset: 28
; Occupancy: 8
; WaveLimiterHint : 1
; COMPUTE_PGM_RSRC2:SCRATCH_EN: 0
; COMPUTE_PGM_RSRC2:USER_SGPR: 4
; COMPUTE_PGM_RSRC2:TRAP_HANDLER: 0
; COMPUTE_PGM_RSRC2:TGID_X_EN: 1
; COMPUTE_PGM_RSRC2:TGID_Y_EN: 0
; COMPUTE_PGM_RSRC2:TGID_Z_EN: 0
; COMPUTE_PGM_RSRC2:TIDIG_COMP_CNT: 2
; COMPUTE_PGM_RSRC3_GFX90A:ACCUM_OFFSET: 6
; COMPUTE_PGM_RSRC3_GFX90A:TG_SPLIT: 0
	.text
	.p2alignl 6, 3212836864
	.fill 256, 4, 3212836864
	.type	__hip_cuid_22498baafa3c14d0,@object ; @__hip_cuid_22498baafa3c14d0
	.section	.bss,"aw",@nobits
	.globl	__hip_cuid_22498baafa3c14d0
__hip_cuid_22498baafa3c14d0:
	.byte	0                               ; 0x0
	.size	__hip_cuid_22498baafa3c14d0, 1

	.ident	"AMD clang version 19.0.0git (https://github.com/RadeonOpenCompute/llvm-project roc-6.4.0 25133 c7fe45cf4b819c5991fe208aaa96edf142730f1d)"
	.section	".note.GNU-stack","",@progbits
	.addrsig
	.addrsig_sym __hip_cuid_22498baafa3c14d0
	.amdgpu_metadata
---
amdhsa.kernels:
  - .agpr_count:     0
    .args:
      - .offset:         0
        .size:           4
        .value_kind:     by_value
      - .offset:         4
        .size:           4
        .value_kind:     by_value
      - .offset:         8
        .size:           8
        .value_kind:     by_value
      - .actual_access:  read_only
        .address_space:  global
        .offset:         16
        .size:           8
        .value_kind:     global_buffer
      - .actual_access:  read_only
        .address_space:  global
        .offset:         24
        .size:           8
        .value_kind:     global_buffer
      - .actual_access:  read_only
        .address_space:  global
        .offset:         32
        .size:           8
        .value_kind:     global_buffer
      - .actual_access:  read_only
        .address_space:  global
        .offset:         40
        .size:           8
        .value_kind:     global_buffer
      - .offset:         48
        .size:           8
        .value_kind:     by_value
      - .address_space:  global
        .offset:         56
        .size:           8
        .value_kind:     global_buffer
      - .offset:         64
        .size:           4
        .value_kind:     by_value
      - .offset:         68
        .size:           1
        .value_kind:     by_value
    .group_segment_fixed_size: 0
    .kernarg_segment_align: 8
    .kernarg_segment_size: 72
    .language:       OpenCL C
    .language_version:
      - 2
      - 0
    .max_flat_workgroup_size: 128
    .name:           _ZN9rocsparseL19gebsrmvn_2xn_kernelILj128ELj1ELj4EfEEvi20rocsparse_direction_NS_24const_host_device_scalarIT2_EEPKiS6_PKS3_S8_S4_PS3_21rocsparse_index_base_b
    .private_segment_fixed_size: 0
    .sgpr_count:     26
    .sgpr_spill_count: 0
    .symbol:         _ZN9rocsparseL19gebsrmvn_2xn_kernelILj128ELj1ELj4EfEEvi20rocsparse_direction_NS_24const_host_device_scalarIT2_EEPKiS6_PKS3_S8_S4_PS3_21rocsparse_index_base_b.kd
    .uniform_work_group_size: 1
    .uses_dynamic_stack: false
    .vgpr_count:     16
    .vgpr_spill_count: 0
    .wavefront_size: 64
  - .agpr_count:     0
    .args:
      - .offset:         0
        .size:           4
        .value_kind:     by_value
      - .offset:         4
        .size:           4
        .value_kind:     by_value
      - .offset:         8
        .size:           8
        .value_kind:     by_value
      - .actual_access:  read_only
        .address_space:  global
        .offset:         16
        .size:           8
        .value_kind:     global_buffer
      - .actual_access:  read_only
        .address_space:  global
        .offset:         24
        .size:           8
        .value_kind:     global_buffer
      - .actual_access:  read_only
        .address_space:  global
        .offset:         32
        .size:           8
        .value_kind:     global_buffer
      - .actual_access:  read_only
        .address_space:  global
        .offset:         40
        .size:           8
        .value_kind:     global_buffer
      - .offset:         48
        .size:           8
        .value_kind:     by_value
      - .address_space:  global
        .offset:         56
        .size:           8
        .value_kind:     global_buffer
      - .offset:         64
        .size:           4
        .value_kind:     by_value
      - .offset:         68
        .size:           1
        .value_kind:     by_value
    .group_segment_fixed_size: 0
    .kernarg_segment_align: 8
    .kernarg_segment_size: 72
    .language:       OpenCL C
    .language_version:
      - 2
      - 0
    .max_flat_workgroup_size: 128
    .name:           _ZN9rocsparseL19gebsrmvn_2xn_kernelILj128ELj1ELj8EfEEvi20rocsparse_direction_NS_24const_host_device_scalarIT2_EEPKiS6_PKS3_S8_S4_PS3_21rocsparse_index_base_b
    .private_segment_fixed_size: 0
    .sgpr_count:     26
    .sgpr_spill_count: 0
    .symbol:         _ZN9rocsparseL19gebsrmvn_2xn_kernelILj128ELj1ELj8EfEEvi20rocsparse_direction_NS_24const_host_device_scalarIT2_EEPKiS6_PKS3_S8_S4_PS3_21rocsparse_index_base_b.kd
    .uniform_work_group_size: 1
    .uses_dynamic_stack: false
    .vgpr_count:     16
    .vgpr_spill_count: 0
    .wavefront_size: 64
  - .agpr_count:     0
    .args:
      - .offset:         0
        .size:           4
        .value_kind:     by_value
      - .offset:         4
        .size:           4
        .value_kind:     by_value
      - .offset:         8
        .size:           8
        .value_kind:     by_value
      - .actual_access:  read_only
        .address_space:  global
        .offset:         16
        .size:           8
        .value_kind:     global_buffer
      - .actual_access:  read_only
        .address_space:  global
        .offset:         24
        .size:           8
        .value_kind:     global_buffer
      - .actual_access:  read_only
        .address_space:  global
        .offset:         32
        .size:           8
        .value_kind:     global_buffer
      - .actual_access:  read_only
        .address_space:  global
        .offset:         40
        .size:           8
        .value_kind:     global_buffer
      - .offset:         48
        .size:           8
        .value_kind:     by_value
      - .address_space:  global
        .offset:         56
        .size:           8
        .value_kind:     global_buffer
      - .offset:         64
        .size:           4
        .value_kind:     by_value
      - .offset:         68
        .size:           1
        .value_kind:     by_value
    .group_segment_fixed_size: 0
    .kernarg_segment_align: 8
    .kernarg_segment_size: 72
    .language:       OpenCL C
    .language_version:
      - 2
      - 0
    .max_flat_workgroup_size: 128
    .name:           _ZN9rocsparseL19gebsrmvn_2xn_kernelILj128ELj1ELj16EfEEvi20rocsparse_direction_NS_24const_host_device_scalarIT2_EEPKiS6_PKS3_S8_S4_PS3_21rocsparse_index_base_b
    .private_segment_fixed_size: 0
    .sgpr_count:     26
    .sgpr_spill_count: 0
    .symbol:         _ZN9rocsparseL19gebsrmvn_2xn_kernelILj128ELj1ELj16EfEEvi20rocsparse_direction_NS_24const_host_device_scalarIT2_EEPKiS6_PKS3_S8_S4_PS3_21rocsparse_index_base_b.kd
    .uniform_work_group_size: 1
    .uses_dynamic_stack: false
    .vgpr_count:     16
    .vgpr_spill_count: 0
    .wavefront_size: 64
  - .agpr_count:     0
    .args:
      - .offset:         0
        .size:           4
        .value_kind:     by_value
      - .offset:         4
        .size:           4
        .value_kind:     by_value
      - .offset:         8
        .size:           8
        .value_kind:     by_value
      - .actual_access:  read_only
        .address_space:  global
        .offset:         16
        .size:           8
        .value_kind:     global_buffer
      - .actual_access:  read_only
        .address_space:  global
        .offset:         24
        .size:           8
        .value_kind:     global_buffer
      - .actual_access:  read_only
        .address_space:  global
        .offset:         32
        .size:           8
        .value_kind:     global_buffer
      - .actual_access:  read_only
        .address_space:  global
        .offset:         40
        .size:           8
        .value_kind:     global_buffer
      - .offset:         48
        .size:           8
        .value_kind:     by_value
      - .address_space:  global
        .offset:         56
        .size:           8
        .value_kind:     global_buffer
      - .offset:         64
        .size:           4
        .value_kind:     by_value
      - .offset:         68
        .size:           1
        .value_kind:     by_value
    .group_segment_fixed_size: 0
    .kernarg_segment_align: 8
    .kernarg_segment_size: 72
    .language:       OpenCL C
    .language_version:
      - 2
      - 0
    .max_flat_workgroup_size: 128
    .name:           _ZN9rocsparseL19gebsrmvn_2xn_kernelILj128ELj1ELj32EfEEvi20rocsparse_direction_NS_24const_host_device_scalarIT2_EEPKiS6_PKS3_S8_S4_PS3_21rocsparse_index_base_b
    .private_segment_fixed_size: 0
    .sgpr_count:     26
    .sgpr_spill_count: 0
    .symbol:         _ZN9rocsparseL19gebsrmvn_2xn_kernelILj128ELj1ELj32EfEEvi20rocsparse_direction_NS_24const_host_device_scalarIT2_EEPKiS6_PKS3_S8_S4_PS3_21rocsparse_index_base_b.kd
    .uniform_work_group_size: 1
    .uses_dynamic_stack: false
    .vgpr_count:     16
    .vgpr_spill_count: 0
    .wavefront_size: 64
  - .agpr_count:     0
    .args:
      - .offset:         0
        .size:           4
        .value_kind:     by_value
      - .offset:         4
        .size:           4
        .value_kind:     by_value
      - .offset:         8
        .size:           8
        .value_kind:     by_value
      - .actual_access:  read_only
        .address_space:  global
        .offset:         16
        .size:           8
        .value_kind:     global_buffer
      - .actual_access:  read_only
        .address_space:  global
        .offset:         24
        .size:           8
        .value_kind:     global_buffer
      - .actual_access:  read_only
        .address_space:  global
        .offset:         32
        .size:           8
        .value_kind:     global_buffer
      - .actual_access:  read_only
        .address_space:  global
        .offset:         40
        .size:           8
        .value_kind:     global_buffer
      - .offset:         48
        .size:           8
        .value_kind:     by_value
      - .address_space:  global
        .offset:         56
        .size:           8
        .value_kind:     global_buffer
      - .offset:         64
        .size:           4
        .value_kind:     by_value
      - .offset:         68
        .size:           1
        .value_kind:     by_value
    .group_segment_fixed_size: 0
    .kernarg_segment_align: 8
    .kernarg_segment_size: 72
    .language:       OpenCL C
    .language_version:
      - 2
      - 0
    .max_flat_workgroup_size: 128
    .name:           _ZN9rocsparseL19gebsrmvn_2xn_kernelILj128ELj1ELj64EfEEvi20rocsparse_direction_NS_24const_host_device_scalarIT2_EEPKiS6_PKS3_S8_S4_PS3_21rocsparse_index_base_b
    .private_segment_fixed_size: 0
    .sgpr_count:     26
    .sgpr_spill_count: 0
    .symbol:         _ZN9rocsparseL19gebsrmvn_2xn_kernelILj128ELj1ELj64EfEEvi20rocsparse_direction_NS_24const_host_device_scalarIT2_EEPKiS6_PKS3_S8_S4_PS3_21rocsparse_index_base_b.kd
    .uniform_work_group_size: 1
    .uses_dynamic_stack: false
    .vgpr_count:     16
    .vgpr_spill_count: 0
    .wavefront_size: 64
  - .agpr_count:     0
    .args:
      - .offset:         0
        .size:           4
        .value_kind:     by_value
      - .offset:         4
        .size:           4
        .value_kind:     by_value
      - .offset:         8
        .size:           8
        .value_kind:     by_value
      - .actual_access:  read_only
        .address_space:  global
        .offset:         16
        .size:           8
        .value_kind:     global_buffer
      - .actual_access:  read_only
        .address_space:  global
        .offset:         24
        .size:           8
        .value_kind:     global_buffer
      - .actual_access:  read_only
        .address_space:  global
        .offset:         32
        .size:           8
        .value_kind:     global_buffer
      - .actual_access:  read_only
        .address_space:  global
        .offset:         40
        .size:           8
        .value_kind:     global_buffer
      - .offset:         48
        .size:           8
        .value_kind:     by_value
      - .address_space:  global
        .offset:         56
        .size:           8
        .value_kind:     global_buffer
      - .offset:         64
        .size:           4
        .value_kind:     by_value
      - .offset:         68
        .size:           1
        .value_kind:     by_value
    .group_segment_fixed_size: 0
    .kernarg_segment_align: 8
    .kernarg_segment_size: 72
    .language:       OpenCL C
    .language_version:
      - 2
      - 0
    .max_flat_workgroup_size: 128
    .name:           _ZN9rocsparseL19gebsrmvn_2xn_kernelILj128ELj3ELj4EfEEvi20rocsparse_direction_NS_24const_host_device_scalarIT2_EEPKiS6_PKS3_S8_S4_PS3_21rocsparse_index_base_b
    .private_segment_fixed_size: 0
    .sgpr_count:     26
    .sgpr_spill_count: 0
    .symbol:         _ZN9rocsparseL19gebsrmvn_2xn_kernelILj128ELj3ELj4EfEEvi20rocsparse_direction_NS_24const_host_device_scalarIT2_EEPKiS6_PKS3_S8_S4_PS3_21rocsparse_index_base_b.kd
    .uniform_work_group_size: 1
    .uses_dynamic_stack: false
    .vgpr_count:     28
    .vgpr_spill_count: 0
    .wavefront_size: 64
  - .agpr_count:     0
    .args:
      - .offset:         0
        .size:           4
        .value_kind:     by_value
      - .offset:         4
        .size:           4
        .value_kind:     by_value
      - .offset:         8
        .size:           8
        .value_kind:     by_value
      - .actual_access:  read_only
        .address_space:  global
        .offset:         16
        .size:           8
        .value_kind:     global_buffer
      - .actual_access:  read_only
        .address_space:  global
        .offset:         24
        .size:           8
        .value_kind:     global_buffer
      - .actual_access:  read_only
        .address_space:  global
        .offset:         32
        .size:           8
        .value_kind:     global_buffer
      - .actual_access:  read_only
        .address_space:  global
        .offset:         40
        .size:           8
        .value_kind:     global_buffer
      - .offset:         48
        .size:           8
        .value_kind:     by_value
      - .address_space:  global
        .offset:         56
        .size:           8
        .value_kind:     global_buffer
      - .offset:         64
        .size:           4
        .value_kind:     by_value
      - .offset:         68
        .size:           1
        .value_kind:     by_value
    .group_segment_fixed_size: 0
    .kernarg_segment_align: 8
    .kernarg_segment_size: 72
    .language:       OpenCL C
    .language_version:
      - 2
      - 0
    .max_flat_workgroup_size: 128
    .name:           _ZN9rocsparseL19gebsrmvn_2xn_kernelILj128ELj3ELj8EfEEvi20rocsparse_direction_NS_24const_host_device_scalarIT2_EEPKiS6_PKS3_S8_S4_PS3_21rocsparse_index_base_b
    .private_segment_fixed_size: 0
    .sgpr_count:     26
    .sgpr_spill_count: 0
    .symbol:         _ZN9rocsparseL19gebsrmvn_2xn_kernelILj128ELj3ELj8EfEEvi20rocsparse_direction_NS_24const_host_device_scalarIT2_EEPKiS6_PKS3_S8_S4_PS3_21rocsparse_index_base_b.kd
    .uniform_work_group_size: 1
    .uses_dynamic_stack: false
    .vgpr_count:     28
    .vgpr_spill_count: 0
    .wavefront_size: 64
  - .agpr_count:     0
    .args:
      - .offset:         0
        .size:           4
        .value_kind:     by_value
      - .offset:         4
        .size:           4
        .value_kind:     by_value
      - .offset:         8
        .size:           8
        .value_kind:     by_value
      - .actual_access:  read_only
        .address_space:  global
        .offset:         16
        .size:           8
        .value_kind:     global_buffer
      - .actual_access:  read_only
        .address_space:  global
        .offset:         24
        .size:           8
        .value_kind:     global_buffer
      - .actual_access:  read_only
        .address_space:  global
        .offset:         32
        .size:           8
        .value_kind:     global_buffer
      - .actual_access:  read_only
        .address_space:  global
        .offset:         40
        .size:           8
        .value_kind:     global_buffer
      - .offset:         48
        .size:           8
        .value_kind:     by_value
      - .address_space:  global
        .offset:         56
        .size:           8
        .value_kind:     global_buffer
      - .offset:         64
        .size:           4
        .value_kind:     by_value
      - .offset:         68
        .size:           1
        .value_kind:     by_value
    .group_segment_fixed_size: 0
    .kernarg_segment_align: 8
    .kernarg_segment_size: 72
    .language:       OpenCL C
    .language_version:
      - 2
      - 0
    .max_flat_workgroup_size: 128
    .name:           _ZN9rocsparseL19gebsrmvn_2xn_kernelILj128ELj3ELj16EfEEvi20rocsparse_direction_NS_24const_host_device_scalarIT2_EEPKiS6_PKS3_S8_S4_PS3_21rocsparse_index_base_b
    .private_segment_fixed_size: 0
    .sgpr_count:     26
    .sgpr_spill_count: 0
    .symbol:         _ZN9rocsparseL19gebsrmvn_2xn_kernelILj128ELj3ELj16EfEEvi20rocsparse_direction_NS_24const_host_device_scalarIT2_EEPKiS6_PKS3_S8_S4_PS3_21rocsparse_index_base_b.kd
    .uniform_work_group_size: 1
    .uses_dynamic_stack: false
    .vgpr_count:     28
    .vgpr_spill_count: 0
    .wavefront_size: 64
  - .agpr_count:     0
    .args:
      - .offset:         0
        .size:           4
        .value_kind:     by_value
      - .offset:         4
        .size:           4
        .value_kind:     by_value
      - .offset:         8
        .size:           8
        .value_kind:     by_value
      - .actual_access:  read_only
        .address_space:  global
        .offset:         16
        .size:           8
        .value_kind:     global_buffer
      - .actual_access:  read_only
        .address_space:  global
        .offset:         24
        .size:           8
        .value_kind:     global_buffer
      - .actual_access:  read_only
        .address_space:  global
        .offset:         32
        .size:           8
        .value_kind:     global_buffer
      - .actual_access:  read_only
        .address_space:  global
        .offset:         40
        .size:           8
        .value_kind:     global_buffer
      - .offset:         48
        .size:           8
        .value_kind:     by_value
      - .address_space:  global
        .offset:         56
        .size:           8
        .value_kind:     global_buffer
      - .offset:         64
        .size:           4
        .value_kind:     by_value
      - .offset:         68
        .size:           1
        .value_kind:     by_value
    .group_segment_fixed_size: 0
    .kernarg_segment_align: 8
    .kernarg_segment_size: 72
    .language:       OpenCL C
    .language_version:
      - 2
      - 0
    .max_flat_workgroup_size: 128
    .name:           _ZN9rocsparseL19gebsrmvn_2xn_kernelILj128ELj3ELj32EfEEvi20rocsparse_direction_NS_24const_host_device_scalarIT2_EEPKiS6_PKS3_S8_S4_PS3_21rocsparse_index_base_b
    .private_segment_fixed_size: 0
    .sgpr_count:     26
    .sgpr_spill_count: 0
    .symbol:         _ZN9rocsparseL19gebsrmvn_2xn_kernelILj128ELj3ELj32EfEEvi20rocsparse_direction_NS_24const_host_device_scalarIT2_EEPKiS6_PKS3_S8_S4_PS3_21rocsparse_index_base_b.kd
    .uniform_work_group_size: 1
    .uses_dynamic_stack: false
    .vgpr_count:     28
    .vgpr_spill_count: 0
    .wavefront_size: 64
  - .agpr_count:     0
    .args:
      - .offset:         0
        .size:           4
        .value_kind:     by_value
      - .offset:         4
        .size:           4
        .value_kind:     by_value
      - .offset:         8
        .size:           8
        .value_kind:     by_value
      - .actual_access:  read_only
        .address_space:  global
        .offset:         16
        .size:           8
        .value_kind:     global_buffer
      - .actual_access:  read_only
        .address_space:  global
        .offset:         24
        .size:           8
        .value_kind:     global_buffer
      - .actual_access:  read_only
        .address_space:  global
        .offset:         32
        .size:           8
        .value_kind:     global_buffer
      - .actual_access:  read_only
        .address_space:  global
        .offset:         40
        .size:           8
        .value_kind:     global_buffer
      - .offset:         48
        .size:           8
        .value_kind:     by_value
      - .address_space:  global
        .offset:         56
        .size:           8
        .value_kind:     global_buffer
      - .offset:         64
        .size:           4
        .value_kind:     by_value
      - .offset:         68
        .size:           1
        .value_kind:     by_value
    .group_segment_fixed_size: 0
    .kernarg_segment_align: 8
    .kernarg_segment_size: 72
    .language:       OpenCL C
    .language_version:
      - 2
      - 0
    .max_flat_workgroup_size: 128
    .name:           _ZN9rocsparseL19gebsrmvn_2xn_kernelILj128ELj3ELj64EfEEvi20rocsparse_direction_NS_24const_host_device_scalarIT2_EEPKiS6_PKS3_S8_S4_PS3_21rocsparse_index_base_b
    .private_segment_fixed_size: 0
    .sgpr_count:     26
    .sgpr_spill_count: 0
    .symbol:         _ZN9rocsparseL19gebsrmvn_2xn_kernelILj128ELj3ELj64EfEEvi20rocsparse_direction_NS_24const_host_device_scalarIT2_EEPKiS6_PKS3_S8_S4_PS3_21rocsparse_index_base_b.kd
    .uniform_work_group_size: 1
    .uses_dynamic_stack: false
    .vgpr_count:     28
    .vgpr_spill_count: 0
    .wavefront_size: 64
  - .agpr_count:     0
    .args:
      - .offset:         0
        .size:           4
        .value_kind:     by_value
      - .offset:         4
        .size:           4
        .value_kind:     by_value
      - .offset:         8
        .size:           8
        .value_kind:     by_value
      - .actual_access:  read_only
        .address_space:  global
        .offset:         16
        .size:           8
        .value_kind:     global_buffer
      - .actual_access:  read_only
        .address_space:  global
        .offset:         24
        .size:           8
        .value_kind:     global_buffer
      - .actual_access:  read_only
        .address_space:  global
        .offset:         32
        .size:           8
        .value_kind:     global_buffer
      - .actual_access:  read_only
        .address_space:  global
        .offset:         40
        .size:           8
        .value_kind:     global_buffer
      - .offset:         48
        .size:           8
        .value_kind:     by_value
      - .address_space:  global
        .offset:         56
        .size:           8
        .value_kind:     global_buffer
      - .offset:         64
        .size:           4
        .value_kind:     by_value
      - .offset:         68
        .size:           1
        .value_kind:     by_value
    .group_segment_fixed_size: 0
    .kernarg_segment_align: 8
    .kernarg_segment_size: 72
    .language:       OpenCL C
    .language_version:
      - 2
      - 0
    .max_flat_workgroup_size: 128
    .name:           _ZN9rocsparseL19gebsrmvn_2xn_kernelILj128ELj4ELj4EfEEvi20rocsparse_direction_NS_24const_host_device_scalarIT2_EEPKiS6_PKS3_S8_S4_PS3_21rocsparse_index_base_b
    .private_segment_fixed_size: 0
    .sgpr_count:     26
    .sgpr_spill_count: 0
    .symbol:         _ZN9rocsparseL19gebsrmvn_2xn_kernelILj128ELj4ELj4EfEEvi20rocsparse_direction_NS_24const_host_device_scalarIT2_EEPKiS6_PKS3_S8_S4_PS3_21rocsparse_index_base_b.kd
    .uniform_work_group_size: 1
    .uses_dynamic_stack: false
    .vgpr_count:     24
    .vgpr_spill_count: 0
    .wavefront_size: 64
  - .agpr_count:     0
    .args:
      - .offset:         0
        .size:           4
        .value_kind:     by_value
      - .offset:         4
        .size:           4
        .value_kind:     by_value
      - .offset:         8
        .size:           8
        .value_kind:     by_value
      - .actual_access:  read_only
        .address_space:  global
        .offset:         16
        .size:           8
        .value_kind:     global_buffer
      - .actual_access:  read_only
        .address_space:  global
        .offset:         24
        .size:           8
        .value_kind:     global_buffer
      - .actual_access:  read_only
        .address_space:  global
        .offset:         32
        .size:           8
        .value_kind:     global_buffer
      - .actual_access:  read_only
        .address_space:  global
        .offset:         40
        .size:           8
        .value_kind:     global_buffer
      - .offset:         48
        .size:           8
        .value_kind:     by_value
      - .address_space:  global
        .offset:         56
        .size:           8
        .value_kind:     global_buffer
      - .offset:         64
        .size:           4
        .value_kind:     by_value
      - .offset:         68
        .size:           1
        .value_kind:     by_value
    .group_segment_fixed_size: 0
    .kernarg_segment_align: 8
    .kernarg_segment_size: 72
    .language:       OpenCL C
    .language_version:
      - 2
      - 0
    .max_flat_workgroup_size: 128
    .name:           _ZN9rocsparseL19gebsrmvn_2xn_kernelILj128ELj4ELj8EfEEvi20rocsparse_direction_NS_24const_host_device_scalarIT2_EEPKiS6_PKS3_S8_S4_PS3_21rocsparse_index_base_b
    .private_segment_fixed_size: 0
    .sgpr_count:     26
    .sgpr_spill_count: 0
    .symbol:         _ZN9rocsparseL19gebsrmvn_2xn_kernelILj128ELj4ELj8EfEEvi20rocsparse_direction_NS_24const_host_device_scalarIT2_EEPKiS6_PKS3_S8_S4_PS3_21rocsparse_index_base_b.kd
    .uniform_work_group_size: 1
    .uses_dynamic_stack: false
    .vgpr_count:     24
    .vgpr_spill_count: 0
    .wavefront_size: 64
  - .agpr_count:     0
    .args:
      - .offset:         0
        .size:           4
        .value_kind:     by_value
      - .offset:         4
        .size:           4
        .value_kind:     by_value
      - .offset:         8
        .size:           8
        .value_kind:     by_value
      - .actual_access:  read_only
        .address_space:  global
        .offset:         16
        .size:           8
        .value_kind:     global_buffer
      - .actual_access:  read_only
        .address_space:  global
        .offset:         24
        .size:           8
        .value_kind:     global_buffer
      - .actual_access:  read_only
        .address_space:  global
        .offset:         32
        .size:           8
        .value_kind:     global_buffer
      - .actual_access:  read_only
        .address_space:  global
        .offset:         40
        .size:           8
        .value_kind:     global_buffer
      - .offset:         48
        .size:           8
        .value_kind:     by_value
      - .address_space:  global
        .offset:         56
        .size:           8
        .value_kind:     global_buffer
      - .offset:         64
        .size:           4
        .value_kind:     by_value
      - .offset:         68
        .size:           1
        .value_kind:     by_value
    .group_segment_fixed_size: 0
    .kernarg_segment_align: 8
    .kernarg_segment_size: 72
    .language:       OpenCL C
    .language_version:
      - 2
      - 0
    .max_flat_workgroup_size: 128
    .name:           _ZN9rocsparseL19gebsrmvn_2xn_kernelILj128ELj4ELj16EfEEvi20rocsparse_direction_NS_24const_host_device_scalarIT2_EEPKiS6_PKS3_S8_S4_PS3_21rocsparse_index_base_b
    .private_segment_fixed_size: 0
    .sgpr_count:     26
    .sgpr_spill_count: 0
    .symbol:         _ZN9rocsparseL19gebsrmvn_2xn_kernelILj128ELj4ELj16EfEEvi20rocsparse_direction_NS_24const_host_device_scalarIT2_EEPKiS6_PKS3_S8_S4_PS3_21rocsparse_index_base_b.kd
    .uniform_work_group_size: 1
    .uses_dynamic_stack: false
    .vgpr_count:     24
    .vgpr_spill_count: 0
    .wavefront_size: 64
  - .agpr_count:     0
    .args:
      - .offset:         0
        .size:           4
        .value_kind:     by_value
      - .offset:         4
        .size:           4
        .value_kind:     by_value
      - .offset:         8
        .size:           8
        .value_kind:     by_value
      - .actual_access:  read_only
        .address_space:  global
        .offset:         16
        .size:           8
        .value_kind:     global_buffer
      - .actual_access:  read_only
        .address_space:  global
        .offset:         24
        .size:           8
        .value_kind:     global_buffer
      - .actual_access:  read_only
        .address_space:  global
        .offset:         32
        .size:           8
        .value_kind:     global_buffer
      - .actual_access:  read_only
        .address_space:  global
        .offset:         40
        .size:           8
        .value_kind:     global_buffer
      - .offset:         48
        .size:           8
        .value_kind:     by_value
      - .address_space:  global
        .offset:         56
        .size:           8
        .value_kind:     global_buffer
      - .offset:         64
        .size:           4
        .value_kind:     by_value
      - .offset:         68
        .size:           1
        .value_kind:     by_value
    .group_segment_fixed_size: 0
    .kernarg_segment_align: 8
    .kernarg_segment_size: 72
    .language:       OpenCL C
    .language_version:
      - 2
      - 0
    .max_flat_workgroup_size: 128
    .name:           _ZN9rocsparseL19gebsrmvn_2xn_kernelILj128ELj4ELj32EfEEvi20rocsparse_direction_NS_24const_host_device_scalarIT2_EEPKiS6_PKS3_S8_S4_PS3_21rocsparse_index_base_b
    .private_segment_fixed_size: 0
    .sgpr_count:     26
    .sgpr_spill_count: 0
    .symbol:         _ZN9rocsparseL19gebsrmvn_2xn_kernelILj128ELj4ELj32EfEEvi20rocsparse_direction_NS_24const_host_device_scalarIT2_EEPKiS6_PKS3_S8_S4_PS3_21rocsparse_index_base_b.kd
    .uniform_work_group_size: 1
    .uses_dynamic_stack: false
    .vgpr_count:     24
    .vgpr_spill_count: 0
    .wavefront_size: 64
  - .agpr_count:     0
    .args:
      - .offset:         0
        .size:           4
        .value_kind:     by_value
      - .offset:         4
        .size:           4
        .value_kind:     by_value
      - .offset:         8
        .size:           8
        .value_kind:     by_value
      - .actual_access:  read_only
        .address_space:  global
        .offset:         16
        .size:           8
        .value_kind:     global_buffer
      - .actual_access:  read_only
        .address_space:  global
        .offset:         24
        .size:           8
        .value_kind:     global_buffer
      - .actual_access:  read_only
        .address_space:  global
        .offset:         32
        .size:           8
        .value_kind:     global_buffer
      - .actual_access:  read_only
        .address_space:  global
        .offset:         40
        .size:           8
        .value_kind:     global_buffer
      - .offset:         48
        .size:           8
        .value_kind:     by_value
      - .address_space:  global
        .offset:         56
        .size:           8
        .value_kind:     global_buffer
      - .offset:         64
        .size:           4
        .value_kind:     by_value
      - .offset:         68
        .size:           1
        .value_kind:     by_value
    .group_segment_fixed_size: 0
    .kernarg_segment_align: 8
    .kernarg_segment_size: 72
    .language:       OpenCL C
    .language_version:
      - 2
      - 0
    .max_flat_workgroup_size: 128
    .name:           _ZN9rocsparseL19gebsrmvn_2xn_kernelILj128ELj4ELj64EfEEvi20rocsparse_direction_NS_24const_host_device_scalarIT2_EEPKiS6_PKS3_S8_S4_PS3_21rocsparse_index_base_b
    .private_segment_fixed_size: 0
    .sgpr_count:     26
    .sgpr_spill_count: 0
    .symbol:         _ZN9rocsparseL19gebsrmvn_2xn_kernelILj128ELj4ELj64EfEEvi20rocsparse_direction_NS_24const_host_device_scalarIT2_EEPKiS6_PKS3_S8_S4_PS3_21rocsparse_index_base_b.kd
    .uniform_work_group_size: 1
    .uses_dynamic_stack: false
    .vgpr_count:     24
    .vgpr_spill_count: 0
    .wavefront_size: 64
  - .agpr_count:     0
    .args:
      - .offset:         0
        .size:           4
        .value_kind:     by_value
      - .offset:         4
        .size:           4
        .value_kind:     by_value
      - .offset:         8
        .size:           8
        .value_kind:     by_value
      - .actual_access:  read_only
        .address_space:  global
        .offset:         16
        .size:           8
        .value_kind:     global_buffer
      - .actual_access:  read_only
        .address_space:  global
        .offset:         24
        .size:           8
        .value_kind:     global_buffer
      - .actual_access:  read_only
        .address_space:  global
        .offset:         32
        .size:           8
        .value_kind:     global_buffer
      - .actual_access:  read_only
        .address_space:  global
        .offset:         40
        .size:           8
        .value_kind:     global_buffer
      - .offset:         48
        .size:           8
        .value_kind:     by_value
      - .address_space:  global
        .offset:         56
        .size:           8
        .value_kind:     global_buffer
      - .offset:         64
        .size:           4
        .value_kind:     by_value
      - .offset:         68
        .size:           1
        .value_kind:     by_value
    .group_segment_fixed_size: 0
    .kernarg_segment_align: 8
    .kernarg_segment_size: 72
    .language:       OpenCL C
    .language_version:
      - 2
      - 0
    .max_flat_workgroup_size: 128
    .name:           _ZN9rocsparseL19gebsrmvn_2xn_kernelILj128ELj5ELj4EfEEvi20rocsparse_direction_NS_24const_host_device_scalarIT2_EEPKiS6_PKS3_S8_S4_PS3_21rocsparse_index_base_b
    .private_segment_fixed_size: 0
    .sgpr_count:     26
    .sgpr_spill_count: 0
    .symbol:         _ZN9rocsparseL19gebsrmvn_2xn_kernelILj128ELj5ELj4EfEEvi20rocsparse_direction_NS_24const_host_device_scalarIT2_EEPKiS6_PKS3_S8_S4_PS3_21rocsparse_index_base_b.kd
    .uniform_work_group_size: 1
    .uses_dynamic_stack: false
    .vgpr_count:     36
    .vgpr_spill_count: 0
    .wavefront_size: 64
  - .agpr_count:     0
    .args:
      - .offset:         0
        .size:           4
        .value_kind:     by_value
      - .offset:         4
        .size:           4
        .value_kind:     by_value
      - .offset:         8
        .size:           8
        .value_kind:     by_value
      - .actual_access:  read_only
        .address_space:  global
        .offset:         16
        .size:           8
        .value_kind:     global_buffer
      - .actual_access:  read_only
        .address_space:  global
        .offset:         24
        .size:           8
        .value_kind:     global_buffer
      - .actual_access:  read_only
        .address_space:  global
        .offset:         32
        .size:           8
        .value_kind:     global_buffer
      - .actual_access:  read_only
        .address_space:  global
        .offset:         40
        .size:           8
        .value_kind:     global_buffer
      - .offset:         48
        .size:           8
        .value_kind:     by_value
      - .address_space:  global
        .offset:         56
        .size:           8
        .value_kind:     global_buffer
      - .offset:         64
        .size:           4
        .value_kind:     by_value
      - .offset:         68
        .size:           1
        .value_kind:     by_value
    .group_segment_fixed_size: 0
    .kernarg_segment_align: 8
    .kernarg_segment_size: 72
    .language:       OpenCL C
    .language_version:
      - 2
      - 0
    .max_flat_workgroup_size: 128
    .name:           _ZN9rocsparseL19gebsrmvn_2xn_kernelILj128ELj5ELj8EfEEvi20rocsparse_direction_NS_24const_host_device_scalarIT2_EEPKiS6_PKS3_S8_S4_PS3_21rocsparse_index_base_b
    .private_segment_fixed_size: 0
    .sgpr_count:     26
    .sgpr_spill_count: 0
    .symbol:         _ZN9rocsparseL19gebsrmvn_2xn_kernelILj128ELj5ELj8EfEEvi20rocsparse_direction_NS_24const_host_device_scalarIT2_EEPKiS6_PKS3_S8_S4_PS3_21rocsparse_index_base_b.kd
    .uniform_work_group_size: 1
    .uses_dynamic_stack: false
    .vgpr_count:     36
    .vgpr_spill_count: 0
    .wavefront_size: 64
  - .agpr_count:     0
    .args:
      - .offset:         0
        .size:           4
        .value_kind:     by_value
      - .offset:         4
        .size:           4
        .value_kind:     by_value
      - .offset:         8
        .size:           8
        .value_kind:     by_value
      - .actual_access:  read_only
        .address_space:  global
        .offset:         16
        .size:           8
        .value_kind:     global_buffer
      - .actual_access:  read_only
        .address_space:  global
        .offset:         24
        .size:           8
        .value_kind:     global_buffer
      - .actual_access:  read_only
        .address_space:  global
        .offset:         32
        .size:           8
        .value_kind:     global_buffer
      - .actual_access:  read_only
        .address_space:  global
        .offset:         40
        .size:           8
        .value_kind:     global_buffer
      - .offset:         48
        .size:           8
        .value_kind:     by_value
      - .address_space:  global
        .offset:         56
        .size:           8
        .value_kind:     global_buffer
      - .offset:         64
        .size:           4
        .value_kind:     by_value
      - .offset:         68
        .size:           1
        .value_kind:     by_value
    .group_segment_fixed_size: 0
    .kernarg_segment_align: 8
    .kernarg_segment_size: 72
    .language:       OpenCL C
    .language_version:
      - 2
      - 0
    .max_flat_workgroup_size: 128
    .name:           _ZN9rocsparseL19gebsrmvn_2xn_kernelILj128ELj5ELj16EfEEvi20rocsparse_direction_NS_24const_host_device_scalarIT2_EEPKiS6_PKS3_S8_S4_PS3_21rocsparse_index_base_b
    .private_segment_fixed_size: 0
    .sgpr_count:     26
    .sgpr_spill_count: 0
    .symbol:         _ZN9rocsparseL19gebsrmvn_2xn_kernelILj128ELj5ELj16EfEEvi20rocsparse_direction_NS_24const_host_device_scalarIT2_EEPKiS6_PKS3_S8_S4_PS3_21rocsparse_index_base_b.kd
    .uniform_work_group_size: 1
    .uses_dynamic_stack: false
    .vgpr_count:     36
    .vgpr_spill_count: 0
    .wavefront_size: 64
  - .agpr_count:     0
    .args:
      - .offset:         0
        .size:           4
        .value_kind:     by_value
      - .offset:         4
        .size:           4
        .value_kind:     by_value
      - .offset:         8
        .size:           8
        .value_kind:     by_value
      - .actual_access:  read_only
        .address_space:  global
        .offset:         16
        .size:           8
        .value_kind:     global_buffer
      - .actual_access:  read_only
        .address_space:  global
        .offset:         24
        .size:           8
        .value_kind:     global_buffer
      - .actual_access:  read_only
        .address_space:  global
        .offset:         32
        .size:           8
        .value_kind:     global_buffer
      - .actual_access:  read_only
        .address_space:  global
        .offset:         40
        .size:           8
        .value_kind:     global_buffer
      - .offset:         48
        .size:           8
        .value_kind:     by_value
      - .address_space:  global
        .offset:         56
        .size:           8
        .value_kind:     global_buffer
      - .offset:         64
        .size:           4
        .value_kind:     by_value
      - .offset:         68
        .size:           1
        .value_kind:     by_value
    .group_segment_fixed_size: 0
    .kernarg_segment_align: 8
    .kernarg_segment_size: 72
    .language:       OpenCL C
    .language_version:
      - 2
      - 0
    .max_flat_workgroup_size: 128
    .name:           _ZN9rocsparseL19gebsrmvn_2xn_kernelILj128ELj5ELj32EfEEvi20rocsparse_direction_NS_24const_host_device_scalarIT2_EEPKiS6_PKS3_S8_S4_PS3_21rocsparse_index_base_b
    .private_segment_fixed_size: 0
    .sgpr_count:     26
    .sgpr_spill_count: 0
    .symbol:         _ZN9rocsparseL19gebsrmvn_2xn_kernelILj128ELj5ELj32EfEEvi20rocsparse_direction_NS_24const_host_device_scalarIT2_EEPKiS6_PKS3_S8_S4_PS3_21rocsparse_index_base_b.kd
    .uniform_work_group_size: 1
    .uses_dynamic_stack: false
    .vgpr_count:     36
    .vgpr_spill_count: 0
    .wavefront_size: 64
  - .agpr_count:     0
    .args:
      - .offset:         0
        .size:           4
        .value_kind:     by_value
      - .offset:         4
        .size:           4
        .value_kind:     by_value
      - .offset:         8
        .size:           8
        .value_kind:     by_value
      - .actual_access:  read_only
        .address_space:  global
        .offset:         16
        .size:           8
        .value_kind:     global_buffer
      - .actual_access:  read_only
        .address_space:  global
        .offset:         24
        .size:           8
        .value_kind:     global_buffer
      - .actual_access:  read_only
        .address_space:  global
        .offset:         32
        .size:           8
        .value_kind:     global_buffer
      - .actual_access:  read_only
        .address_space:  global
        .offset:         40
        .size:           8
        .value_kind:     global_buffer
      - .offset:         48
        .size:           8
        .value_kind:     by_value
      - .address_space:  global
        .offset:         56
        .size:           8
        .value_kind:     global_buffer
      - .offset:         64
        .size:           4
        .value_kind:     by_value
      - .offset:         68
        .size:           1
        .value_kind:     by_value
    .group_segment_fixed_size: 0
    .kernarg_segment_align: 8
    .kernarg_segment_size: 72
    .language:       OpenCL C
    .language_version:
      - 2
      - 0
    .max_flat_workgroup_size: 128
    .name:           _ZN9rocsparseL19gebsrmvn_2xn_kernelILj128ELj5ELj64EfEEvi20rocsparse_direction_NS_24const_host_device_scalarIT2_EEPKiS6_PKS3_S8_S4_PS3_21rocsparse_index_base_b
    .private_segment_fixed_size: 0
    .sgpr_count:     26
    .sgpr_spill_count: 0
    .symbol:         _ZN9rocsparseL19gebsrmvn_2xn_kernelILj128ELj5ELj64EfEEvi20rocsparse_direction_NS_24const_host_device_scalarIT2_EEPKiS6_PKS3_S8_S4_PS3_21rocsparse_index_base_b.kd
    .uniform_work_group_size: 1
    .uses_dynamic_stack: false
    .vgpr_count:     36
    .vgpr_spill_count: 0
    .wavefront_size: 64
  - .agpr_count:     0
    .args:
      - .offset:         0
        .size:           4
        .value_kind:     by_value
      - .offset:         4
        .size:           4
        .value_kind:     by_value
      - .offset:         8
        .size:           8
        .value_kind:     by_value
      - .actual_access:  read_only
        .address_space:  global
        .offset:         16
        .size:           8
        .value_kind:     global_buffer
      - .actual_access:  read_only
        .address_space:  global
        .offset:         24
        .size:           8
        .value_kind:     global_buffer
      - .actual_access:  read_only
        .address_space:  global
        .offset:         32
        .size:           8
        .value_kind:     global_buffer
      - .actual_access:  read_only
        .address_space:  global
        .offset:         40
        .size:           8
        .value_kind:     global_buffer
      - .offset:         48
        .size:           8
        .value_kind:     by_value
      - .address_space:  global
        .offset:         56
        .size:           8
        .value_kind:     global_buffer
      - .offset:         64
        .size:           4
        .value_kind:     by_value
      - .offset:         68
        .size:           1
        .value_kind:     by_value
    .group_segment_fixed_size: 0
    .kernarg_segment_align: 8
    .kernarg_segment_size: 72
    .language:       OpenCL C
    .language_version:
      - 2
      - 0
    .max_flat_workgroup_size: 128
    .name:           _ZN9rocsparseL19gebsrmvn_2xn_kernelILj128ELj6ELj4EfEEvi20rocsparse_direction_NS_24const_host_device_scalarIT2_EEPKiS6_PKS3_S8_S4_PS3_21rocsparse_index_base_b
    .private_segment_fixed_size: 0
    .sgpr_count:     26
    .sgpr_spill_count: 0
    .symbol:         _ZN9rocsparseL19gebsrmvn_2xn_kernelILj128ELj6ELj4EfEEvi20rocsparse_direction_NS_24const_host_device_scalarIT2_EEPKiS6_PKS3_S8_S4_PS3_21rocsparse_index_base_b.kd
    .uniform_work_group_size: 1
    .uses_dynamic_stack: false
    .vgpr_count:     40
    .vgpr_spill_count: 0
    .wavefront_size: 64
  - .agpr_count:     0
    .args:
      - .offset:         0
        .size:           4
        .value_kind:     by_value
      - .offset:         4
        .size:           4
        .value_kind:     by_value
      - .offset:         8
        .size:           8
        .value_kind:     by_value
      - .actual_access:  read_only
        .address_space:  global
        .offset:         16
        .size:           8
        .value_kind:     global_buffer
      - .actual_access:  read_only
        .address_space:  global
        .offset:         24
        .size:           8
        .value_kind:     global_buffer
      - .actual_access:  read_only
        .address_space:  global
        .offset:         32
        .size:           8
        .value_kind:     global_buffer
      - .actual_access:  read_only
        .address_space:  global
        .offset:         40
        .size:           8
        .value_kind:     global_buffer
      - .offset:         48
        .size:           8
        .value_kind:     by_value
      - .address_space:  global
        .offset:         56
        .size:           8
        .value_kind:     global_buffer
      - .offset:         64
        .size:           4
        .value_kind:     by_value
      - .offset:         68
        .size:           1
        .value_kind:     by_value
    .group_segment_fixed_size: 0
    .kernarg_segment_align: 8
    .kernarg_segment_size: 72
    .language:       OpenCL C
    .language_version:
      - 2
      - 0
    .max_flat_workgroup_size: 128
    .name:           _ZN9rocsparseL19gebsrmvn_2xn_kernelILj128ELj6ELj8EfEEvi20rocsparse_direction_NS_24const_host_device_scalarIT2_EEPKiS6_PKS3_S8_S4_PS3_21rocsparse_index_base_b
    .private_segment_fixed_size: 0
    .sgpr_count:     26
    .sgpr_spill_count: 0
    .symbol:         _ZN9rocsparseL19gebsrmvn_2xn_kernelILj128ELj6ELj8EfEEvi20rocsparse_direction_NS_24const_host_device_scalarIT2_EEPKiS6_PKS3_S8_S4_PS3_21rocsparse_index_base_b.kd
    .uniform_work_group_size: 1
    .uses_dynamic_stack: false
    .vgpr_count:     40
    .vgpr_spill_count: 0
    .wavefront_size: 64
  - .agpr_count:     0
    .args:
      - .offset:         0
        .size:           4
        .value_kind:     by_value
      - .offset:         4
        .size:           4
        .value_kind:     by_value
      - .offset:         8
        .size:           8
        .value_kind:     by_value
      - .actual_access:  read_only
        .address_space:  global
        .offset:         16
        .size:           8
        .value_kind:     global_buffer
      - .actual_access:  read_only
        .address_space:  global
        .offset:         24
        .size:           8
        .value_kind:     global_buffer
      - .actual_access:  read_only
        .address_space:  global
        .offset:         32
        .size:           8
        .value_kind:     global_buffer
      - .actual_access:  read_only
        .address_space:  global
        .offset:         40
        .size:           8
        .value_kind:     global_buffer
      - .offset:         48
        .size:           8
        .value_kind:     by_value
      - .address_space:  global
        .offset:         56
        .size:           8
        .value_kind:     global_buffer
      - .offset:         64
        .size:           4
        .value_kind:     by_value
      - .offset:         68
        .size:           1
        .value_kind:     by_value
    .group_segment_fixed_size: 0
    .kernarg_segment_align: 8
    .kernarg_segment_size: 72
    .language:       OpenCL C
    .language_version:
      - 2
      - 0
    .max_flat_workgroup_size: 128
    .name:           _ZN9rocsparseL19gebsrmvn_2xn_kernelILj128ELj6ELj16EfEEvi20rocsparse_direction_NS_24const_host_device_scalarIT2_EEPKiS6_PKS3_S8_S4_PS3_21rocsparse_index_base_b
    .private_segment_fixed_size: 0
    .sgpr_count:     26
    .sgpr_spill_count: 0
    .symbol:         _ZN9rocsparseL19gebsrmvn_2xn_kernelILj128ELj6ELj16EfEEvi20rocsparse_direction_NS_24const_host_device_scalarIT2_EEPKiS6_PKS3_S8_S4_PS3_21rocsparse_index_base_b.kd
    .uniform_work_group_size: 1
    .uses_dynamic_stack: false
    .vgpr_count:     40
    .vgpr_spill_count: 0
    .wavefront_size: 64
  - .agpr_count:     0
    .args:
      - .offset:         0
        .size:           4
        .value_kind:     by_value
      - .offset:         4
        .size:           4
        .value_kind:     by_value
      - .offset:         8
        .size:           8
        .value_kind:     by_value
      - .actual_access:  read_only
        .address_space:  global
        .offset:         16
        .size:           8
        .value_kind:     global_buffer
      - .actual_access:  read_only
        .address_space:  global
        .offset:         24
        .size:           8
        .value_kind:     global_buffer
      - .actual_access:  read_only
        .address_space:  global
        .offset:         32
        .size:           8
        .value_kind:     global_buffer
      - .actual_access:  read_only
        .address_space:  global
        .offset:         40
        .size:           8
        .value_kind:     global_buffer
      - .offset:         48
        .size:           8
        .value_kind:     by_value
      - .address_space:  global
        .offset:         56
        .size:           8
        .value_kind:     global_buffer
      - .offset:         64
        .size:           4
        .value_kind:     by_value
      - .offset:         68
        .size:           1
        .value_kind:     by_value
    .group_segment_fixed_size: 0
    .kernarg_segment_align: 8
    .kernarg_segment_size: 72
    .language:       OpenCL C
    .language_version:
      - 2
      - 0
    .max_flat_workgroup_size: 128
    .name:           _ZN9rocsparseL19gebsrmvn_2xn_kernelILj128ELj6ELj32EfEEvi20rocsparse_direction_NS_24const_host_device_scalarIT2_EEPKiS6_PKS3_S8_S4_PS3_21rocsparse_index_base_b
    .private_segment_fixed_size: 0
    .sgpr_count:     26
    .sgpr_spill_count: 0
    .symbol:         _ZN9rocsparseL19gebsrmvn_2xn_kernelILj128ELj6ELj32EfEEvi20rocsparse_direction_NS_24const_host_device_scalarIT2_EEPKiS6_PKS3_S8_S4_PS3_21rocsparse_index_base_b.kd
    .uniform_work_group_size: 1
    .uses_dynamic_stack: false
    .vgpr_count:     40
    .vgpr_spill_count: 0
    .wavefront_size: 64
  - .agpr_count:     0
    .args:
      - .offset:         0
        .size:           4
        .value_kind:     by_value
      - .offset:         4
        .size:           4
        .value_kind:     by_value
      - .offset:         8
        .size:           8
        .value_kind:     by_value
      - .actual_access:  read_only
        .address_space:  global
        .offset:         16
        .size:           8
        .value_kind:     global_buffer
      - .actual_access:  read_only
        .address_space:  global
        .offset:         24
        .size:           8
        .value_kind:     global_buffer
      - .actual_access:  read_only
        .address_space:  global
        .offset:         32
        .size:           8
        .value_kind:     global_buffer
      - .actual_access:  read_only
        .address_space:  global
        .offset:         40
        .size:           8
        .value_kind:     global_buffer
      - .offset:         48
        .size:           8
        .value_kind:     by_value
      - .address_space:  global
        .offset:         56
        .size:           8
        .value_kind:     global_buffer
      - .offset:         64
        .size:           4
        .value_kind:     by_value
      - .offset:         68
        .size:           1
        .value_kind:     by_value
    .group_segment_fixed_size: 0
    .kernarg_segment_align: 8
    .kernarg_segment_size: 72
    .language:       OpenCL C
    .language_version:
      - 2
      - 0
    .max_flat_workgroup_size: 128
    .name:           _ZN9rocsparseL19gebsrmvn_2xn_kernelILj128ELj6ELj64EfEEvi20rocsparse_direction_NS_24const_host_device_scalarIT2_EEPKiS6_PKS3_S8_S4_PS3_21rocsparse_index_base_b
    .private_segment_fixed_size: 0
    .sgpr_count:     26
    .sgpr_spill_count: 0
    .symbol:         _ZN9rocsparseL19gebsrmvn_2xn_kernelILj128ELj6ELj64EfEEvi20rocsparse_direction_NS_24const_host_device_scalarIT2_EEPKiS6_PKS3_S8_S4_PS3_21rocsparse_index_base_b.kd
    .uniform_work_group_size: 1
    .uses_dynamic_stack: false
    .vgpr_count:     40
    .vgpr_spill_count: 0
    .wavefront_size: 64
  - .agpr_count:     0
    .args:
      - .offset:         0
        .size:           4
        .value_kind:     by_value
      - .offset:         4
        .size:           4
        .value_kind:     by_value
      - .offset:         8
        .size:           8
        .value_kind:     by_value
      - .actual_access:  read_only
        .address_space:  global
        .offset:         16
        .size:           8
        .value_kind:     global_buffer
      - .actual_access:  read_only
        .address_space:  global
        .offset:         24
        .size:           8
        .value_kind:     global_buffer
      - .actual_access:  read_only
        .address_space:  global
        .offset:         32
        .size:           8
        .value_kind:     global_buffer
      - .actual_access:  read_only
        .address_space:  global
        .offset:         40
        .size:           8
        .value_kind:     global_buffer
      - .offset:         48
        .size:           8
        .value_kind:     by_value
      - .address_space:  global
        .offset:         56
        .size:           8
        .value_kind:     global_buffer
      - .offset:         64
        .size:           4
        .value_kind:     by_value
      - .offset:         68
        .size:           1
        .value_kind:     by_value
    .group_segment_fixed_size: 0
    .kernarg_segment_align: 8
    .kernarg_segment_size: 72
    .language:       OpenCL C
    .language_version:
      - 2
      - 0
    .max_flat_workgroup_size: 128
    .name:           _ZN9rocsparseL19gebsrmvn_2xn_kernelILj128ELj7ELj4EfEEvi20rocsparse_direction_NS_24const_host_device_scalarIT2_EEPKiS6_PKS3_S8_S4_PS3_21rocsparse_index_base_b
    .private_segment_fixed_size: 0
    .sgpr_count:     26
    .sgpr_spill_count: 0
    .symbol:         _ZN9rocsparseL19gebsrmvn_2xn_kernelILj128ELj7ELj4EfEEvi20rocsparse_direction_NS_24const_host_device_scalarIT2_EEPKiS6_PKS3_S8_S4_PS3_21rocsparse_index_base_b.kd
    .uniform_work_group_size: 1
    .uses_dynamic_stack: false
    .vgpr_count:     44
    .vgpr_spill_count: 0
    .wavefront_size: 64
  - .agpr_count:     0
    .args:
      - .offset:         0
        .size:           4
        .value_kind:     by_value
      - .offset:         4
        .size:           4
        .value_kind:     by_value
      - .offset:         8
        .size:           8
        .value_kind:     by_value
      - .actual_access:  read_only
        .address_space:  global
        .offset:         16
        .size:           8
        .value_kind:     global_buffer
      - .actual_access:  read_only
        .address_space:  global
        .offset:         24
        .size:           8
        .value_kind:     global_buffer
      - .actual_access:  read_only
        .address_space:  global
        .offset:         32
        .size:           8
        .value_kind:     global_buffer
      - .actual_access:  read_only
        .address_space:  global
        .offset:         40
        .size:           8
        .value_kind:     global_buffer
      - .offset:         48
        .size:           8
        .value_kind:     by_value
      - .address_space:  global
        .offset:         56
        .size:           8
        .value_kind:     global_buffer
      - .offset:         64
        .size:           4
        .value_kind:     by_value
      - .offset:         68
        .size:           1
        .value_kind:     by_value
    .group_segment_fixed_size: 0
    .kernarg_segment_align: 8
    .kernarg_segment_size: 72
    .language:       OpenCL C
    .language_version:
      - 2
      - 0
    .max_flat_workgroup_size: 128
    .name:           _ZN9rocsparseL19gebsrmvn_2xn_kernelILj128ELj7ELj8EfEEvi20rocsparse_direction_NS_24const_host_device_scalarIT2_EEPKiS6_PKS3_S8_S4_PS3_21rocsparse_index_base_b
    .private_segment_fixed_size: 0
    .sgpr_count:     26
    .sgpr_spill_count: 0
    .symbol:         _ZN9rocsparseL19gebsrmvn_2xn_kernelILj128ELj7ELj8EfEEvi20rocsparse_direction_NS_24const_host_device_scalarIT2_EEPKiS6_PKS3_S8_S4_PS3_21rocsparse_index_base_b.kd
    .uniform_work_group_size: 1
    .uses_dynamic_stack: false
    .vgpr_count:     44
    .vgpr_spill_count: 0
    .wavefront_size: 64
  - .agpr_count:     0
    .args:
      - .offset:         0
        .size:           4
        .value_kind:     by_value
      - .offset:         4
        .size:           4
        .value_kind:     by_value
      - .offset:         8
        .size:           8
        .value_kind:     by_value
      - .actual_access:  read_only
        .address_space:  global
        .offset:         16
        .size:           8
        .value_kind:     global_buffer
      - .actual_access:  read_only
        .address_space:  global
        .offset:         24
        .size:           8
        .value_kind:     global_buffer
      - .actual_access:  read_only
        .address_space:  global
        .offset:         32
        .size:           8
        .value_kind:     global_buffer
      - .actual_access:  read_only
        .address_space:  global
        .offset:         40
        .size:           8
        .value_kind:     global_buffer
      - .offset:         48
        .size:           8
        .value_kind:     by_value
      - .address_space:  global
        .offset:         56
        .size:           8
        .value_kind:     global_buffer
      - .offset:         64
        .size:           4
        .value_kind:     by_value
      - .offset:         68
        .size:           1
        .value_kind:     by_value
    .group_segment_fixed_size: 0
    .kernarg_segment_align: 8
    .kernarg_segment_size: 72
    .language:       OpenCL C
    .language_version:
      - 2
      - 0
    .max_flat_workgroup_size: 128
    .name:           _ZN9rocsparseL19gebsrmvn_2xn_kernelILj128ELj7ELj16EfEEvi20rocsparse_direction_NS_24const_host_device_scalarIT2_EEPKiS6_PKS3_S8_S4_PS3_21rocsparse_index_base_b
    .private_segment_fixed_size: 0
    .sgpr_count:     26
    .sgpr_spill_count: 0
    .symbol:         _ZN9rocsparseL19gebsrmvn_2xn_kernelILj128ELj7ELj16EfEEvi20rocsparse_direction_NS_24const_host_device_scalarIT2_EEPKiS6_PKS3_S8_S4_PS3_21rocsparse_index_base_b.kd
    .uniform_work_group_size: 1
    .uses_dynamic_stack: false
    .vgpr_count:     44
    .vgpr_spill_count: 0
    .wavefront_size: 64
  - .agpr_count:     0
    .args:
      - .offset:         0
        .size:           4
        .value_kind:     by_value
      - .offset:         4
        .size:           4
        .value_kind:     by_value
      - .offset:         8
        .size:           8
        .value_kind:     by_value
      - .actual_access:  read_only
        .address_space:  global
        .offset:         16
        .size:           8
        .value_kind:     global_buffer
      - .actual_access:  read_only
        .address_space:  global
        .offset:         24
        .size:           8
        .value_kind:     global_buffer
      - .actual_access:  read_only
        .address_space:  global
        .offset:         32
        .size:           8
        .value_kind:     global_buffer
      - .actual_access:  read_only
        .address_space:  global
        .offset:         40
        .size:           8
        .value_kind:     global_buffer
      - .offset:         48
        .size:           8
        .value_kind:     by_value
      - .address_space:  global
        .offset:         56
        .size:           8
        .value_kind:     global_buffer
      - .offset:         64
        .size:           4
        .value_kind:     by_value
      - .offset:         68
        .size:           1
        .value_kind:     by_value
    .group_segment_fixed_size: 0
    .kernarg_segment_align: 8
    .kernarg_segment_size: 72
    .language:       OpenCL C
    .language_version:
      - 2
      - 0
    .max_flat_workgroup_size: 128
    .name:           _ZN9rocsparseL19gebsrmvn_2xn_kernelILj128ELj7ELj32EfEEvi20rocsparse_direction_NS_24const_host_device_scalarIT2_EEPKiS6_PKS3_S8_S4_PS3_21rocsparse_index_base_b
    .private_segment_fixed_size: 0
    .sgpr_count:     26
    .sgpr_spill_count: 0
    .symbol:         _ZN9rocsparseL19gebsrmvn_2xn_kernelILj128ELj7ELj32EfEEvi20rocsparse_direction_NS_24const_host_device_scalarIT2_EEPKiS6_PKS3_S8_S4_PS3_21rocsparse_index_base_b.kd
    .uniform_work_group_size: 1
    .uses_dynamic_stack: false
    .vgpr_count:     44
    .vgpr_spill_count: 0
    .wavefront_size: 64
  - .agpr_count:     0
    .args:
      - .offset:         0
        .size:           4
        .value_kind:     by_value
      - .offset:         4
        .size:           4
        .value_kind:     by_value
      - .offset:         8
        .size:           8
        .value_kind:     by_value
      - .actual_access:  read_only
        .address_space:  global
        .offset:         16
        .size:           8
        .value_kind:     global_buffer
      - .actual_access:  read_only
        .address_space:  global
        .offset:         24
        .size:           8
        .value_kind:     global_buffer
      - .actual_access:  read_only
        .address_space:  global
        .offset:         32
        .size:           8
        .value_kind:     global_buffer
      - .actual_access:  read_only
        .address_space:  global
        .offset:         40
        .size:           8
        .value_kind:     global_buffer
      - .offset:         48
        .size:           8
        .value_kind:     by_value
      - .address_space:  global
        .offset:         56
        .size:           8
        .value_kind:     global_buffer
      - .offset:         64
        .size:           4
        .value_kind:     by_value
      - .offset:         68
        .size:           1
        .value_kind:     by_value
    .group_segment_fixed_size: 0
    .kernarg_segment_align: 8
    .kernarg_segment_size: 72
    .language:       OpenCL C
    .language_version:
      - 2
      - 0
    .max_flat_workgroup_size: 128
    .name:           _ZN9rocsparseL19gebsrmvn_2xn_kernelILj128ELj7ELj64EfEEvi20rocsparse_direction_NS_24const_host_device_scalarIT2_EEPKiS6_PKS3_S8_S4_PS3_21rocsparse_index_base_b
    .private_segment_fixed_size: 0
    .sgpr_count:     26
    .sgpr_spill_count: 0
    .symbol:         _ZN9rocsparseL19gebsrmvn_2xn_kernelILj128ELj7ELj64EfEEvi20rocsparse_direction_NS_24const_host_device_scalarIT2_EEPKiS6_PKS3_S8_S4_PS3_21rocsparse_index_base_b.kd
    .uniform_work_group_size: 1
    .uses_dynamic_stack: false
    .vgpr_count:     44
    .vgpr_spill_count: 0
    .wavefront_size: 64
  - .agpr_count:     0
    .args:
      - .offset:         0
        .size:           4
        .value_kind:     by_value
      - .offset:         4
        .size:           4
        .value_kind:     by_value
      - .offset:         8
        .size:           8
        .value_kind:     by_value
      - .actual_access:  read_only
        .address_space:  global
        .offset:         16
        .size:           8
        .value_kind:     global_buffer
      - .actual_access:  read_only
        .address_space:  global
        .offset:         24
        .size:           8
        .value_kind:     global_buffer
      - .actual_access:  read_only
        .address_space:  global
        .offset:         32
        .size:           8
        .value_kind:     global_buffer
      - .actual_access:  read_only
        .address_space:  global
        .offset:         40
        .size:           8
        .value_kind:     global_buffer
      - .offset:         48
        .size:           8
        .value_kind:     by_value
      - .address_space:  global
        .offset:         56
        .size:           8
        .value_kind:     global_buffer
      - .offset:         64
        .size:           4
        .value_kind:     by_value
      - .offset:         68
        .size:           1
        .value_kind:     by_value
    .group_segment_fixed_size: 0
    .kernarg_segment_align: 8
    .kernarg_segment_size: 72
    .language:       OpenCL C
    .language_version:
      - 2
      - 0
    .max_flat_workgroup_size: 128
    .name:           _ZN9rocsparseL19gebsrmvn_2xn_kernelILj128ELj8ELj4EfEEvi20rocsparse_direction_NS_24const_host_device_scalarIT2_EEPKiS6_PKS3_S8_S4_PS3_21rocsparse_index_base_b
    .private_segment_fixed_size: 0
    .sgpr_count:     26
    .sgpr_spill_count: 0
    .symbol:         _ZN9rocsparseL19gebsrmvn_2xn_kernelILj128ELj8ELj4EfEEvi20rocsparse_direction_NS_24const_host_device_scalarIT2_EEPKiS6_PKS3_S8_S4_PS3_21rocsparse_index_base_b.kd
    .uniform_work_group_size: 1
    .uses_dynamic_stack: false
    .vgpr_count:     40
    .vgpr_spill_count: 0
    .wavefront_size: 64
  - .agpr_count:     0
    .args:
      - .offset:         0
        .size:           4
        .value_kind:     by_value
      - .offset:         4
        .size:           4
        .value_kind:     by_value
      - .offset:         8
        .size:           8
        .value_kind:     by_value
      - .actual_access:  read_only
        .address_space:  global
        .offset:         16
        .size:           8
        .value_kind:     global_buffer
      - .actual_access:  read_only
        .address_space:  global
        .offset:         24
        .size:           8
        .value_kind:     global_buffer
      - .actual_access:  read_only
        .address_space:  global
        .offset:         32
        .size:           8
        .value_kind:     global_buffer
      - .actual_access:  read_only
        .address_space:  global
        .offset:         40
        .size:           8
        .value_kind:     global_buffer
      - .offset:         48
        .size:           8
        .value_kind:     by_value
      - .address_space:  global
        .offset:         56
        .size:           8
        .value_kind:     global_buffer
      - .offset:         64
        .size:           4
        .value_kind:     by_value
      - .offset:         68
        .size:           1
        .value_kind:     by_value
    .group_segment_fixed_size: 0
    .kernarg_segment_align: 8
    .kernarg_segment_size: 72
    .language:       OpenCL C
    .language_version:
      - 2
      - 0
    .max_flat_workgroup_size: 128
    .name:           _ZN9rocsparseL19gebsrmvn_2xn_kernelILj128ELj8ELj8EfEEvi20rocsparse_direction_NS_24const_host_device_scalarIT2_EEPKiS6_PKS3_S8_S4_PS3_21rocsparse_index_base_b
    .private_segment_fixed_size: 0
    .sgpr_count:     26
    .sgpr_spill_count: 0
    .symbol:         _ZN9rocsparseL19gebsrmvn_2xn_kernelILj128ELj8ELj8EfEEvi20rocsparse_direction_NS_24const_host_device_scalarIT2_EEPKiS6_PKS3_S8_S4_PS3_21rocsparse_index_base_b.kd
    .uniform_work_group_size: 1
    .uses_dynamic_stack: false
    .vgpr_count:     40
    .vgpr_spill_count: 0
    .wavefront_size: 64
  - .agpr_count:     0
    .args:
      - .offset:         0
        .size:           4
        .value_kind:     by_value
      - .offset:         4
        .size:           4
        .value_kind:     by_value
      - .offset:         8
        .size:           8
        .value_kind:     by_value
      - .actual_access:  read_only
        .address_space:  global
        .offset:         16
        .size:           8
        .value_kind:     global_buffer
      - .actual_access:  read_only
        .address_space:  global
        .offset:         24
        .size:           8
        .value_kind:     global_buffer
      - .actual_access:  read_only
        .address_space:  global
        .offset:         32
        .size:           8
        .value_kind:     global_buffer
      - .actual_access:  read_only
        .address_space:  global
        .offset:         40
        .size:           8
        .value_kind:     global_buffer
      - .offset:         48
        .size:           8
        .value_kind:     by_value
      - .address_space:  global
        .offset:         56
        .size:           8
        .value_kind:     global_buffer
      - .offset:         64
        .size:           4
        .value_kind:     by_value
      - .offset:         68
        .size:           1
        .value_kind:     by_value
    .group_segment_fixed_size: 0
    .kernarg_segment_align: 8
    .kernarg_segment_size: 72
    .language:       OpenCL C
    .language_version:
      - 2
      - 0
    .max_flat_workgroup_size: 128
    .name:           _ZN9rocsparseL19gebsrmvn_2xn_kernelILj128ELj8ELj16EfEEvi20rocsparse_direction_NS_24const_host_device_scalarIT2_EEPKiS6_PKS3_S8_S4_PS3_21rocsparse_index_base_b
    .private_segment_fixed_size: 0
    .sgpr_count:     26
    .sgpr_spill_count: 0
    .symbol:         _ZN9rocsparseL19gebsrmvn_2xn_kernelILj128ELj8ELj16EfEEvi20rocsparse_direction_NS_24const_host_device_scalarIT2_EEPKiS6_PKS3_S8_S4_PS3_21rocsparse_index_base_b.kd
    .uniform_work_group_size: 1
    .uses_dynamic_stack: false
    .vgpr_count:     40
    .vgpr_spill_count: 0
    .wavefront_size: 64
  - .agpr_count:     0
    .args:
      - .offset:         0
        .size:           4
        .value_kind:     by_value
      - .offset:         4
        .size:           4
        .value_kind:     by_value
      - .offset:         8
        .size:           8
        .value_kind:     by_value
      - .actual_access:  read_only
        .address_space:  global
        .offset:         16
        .size:           8
        .value_kind:     global_buffer
      - .actual_access:  read_only
        .address_space:  global
        .offset:         24
        .size:           8
        .value_kind:     global_buffer
      - .actual_access:  read_only
        .address_space:  global
        .offset:         32
        .size:           8
        .value_kind:     global_buffer
      - .actual_access:  read_only
        .address_space:  global
        .offset:         40
        .size:           8
        .value_kind:     global_buffer
      - .offset:         48
        .size:           8
        .value_kind:     by_value
      - .address_space:  global
        .offset:         56
        .size:           8
        .value_kind:     global_buffer
      - .offset:         64
        .size:           4
        .value_kind:     by_value
      - .offset:         68
        .size:           1
        .value_kind:     by_value
    .group_segment_fixed_size: 0
    .kernarg_segment_align: 8
    .kernarg_segment_size: 72
    .language:       OpenCL C
    .language_version:
      - 2
      - 0
    .max_flat_workgroup_size: 128
    .name:           _ZN9rocsparseL19gebsrmvn_2xn_kernelILj128ELj8ELj32EfEEvi20rocsparse_direction_NS_24const_host_device_scalarIT2_EEPKiS6_PKS3_S8_S4_PS3_21rocsparse_index_base_b
    .private_segment_fixed_size: 0
    .sgpr_count:     26
    .sgpr_spill_count: 0
    .symbol:         _ZN9rocsparseL19gebsrmvn_2xn_kernelILj128ELj8ELj32EfEEvi20rocsparse_direction_NS_24const_host_device_scalarIT2_EEPKiS6_PKS3_S8_S4_PS3_21rocsparse_index_base_b.kd
    .uniform_work_group_size: 1
    .uses_dynamic_stack: false
    .vgpr_count:     40
    .vgpr_spill_count: 0
    .wavefront_size: 64
  - .agpr_count:     0
    .args:
      - .offset:         0
        .size:           4
        .value_kind:     by_value
      - .offset:         4
        .size:           4
        .value_kind:     by_value
      - .offset:         8
        .size:           8
        .value_kind:     by_value
      - .actual_access:  read_only
        .address_space:  global
        .offset:         16
        .size:           8
        .value_kind:     global_buffer
      - .actual_access:  read_only
        .address_space:  global
        .offset:         24
        .size:           8
        .value_kind:     global_buffer
      - .actual_access:  read_only
        .address_space:  global
        .offset:         32
        .size:           8
        .value_kind:     global_buffer
      - .actual_access:  read_only
        .address_space:  global
        .offset:         40
        .size:           8
        .value_kind:     global_buffer
      - .offset:         48
        .size:           8
        .value_kind:     by_value
      - .address_space:  global
        .offset:         56
        .size:           8
        .value_kind:     global_buffer
      - .offset:         64
        .size:           4
        .value_kind:     by_value
      - .offset:         68
        .size:           1
        .value_kind:     by_value
    .group_segment_fixed_size: 0
    .kernarg_segment_align: 8
    .kernarg_segment_size: 72
    .language:       OpenCL C
    .language_version:
      - 2
      - 0
    .max_flat_workgroup_size: 128
    .name:           _ZN9rocsparseL19gebsrmvn_2xn_kernelILj128ELj8ELj64EfEEvi20rocsparse_direction_NS_24const_host_device_scalarIT2_EEPKiS6_PKS3_S8_S4_PS3_21rocsparse_index_base_b
    .private_segment_fixed_size: 0
    .sgpr_count:     26
    .sgpr_spill_count: 0
    .symbol:         _ZN9rocsparseL19gebsrmvn_2xn_kernelILj128ELj8ELj64EfEEvi20rocsparse_direction_NS_24const_host_device_scalarIT2_EEPKiS6_PKS3_S8_S4_PS3_21rocsparse_index_base_b.kd
    .uniform_work_group_size: 1
    .uses_dynamic_stack: false
    .vgpr_count:     40
    .vgpr_spill_count: 0
    .wavefront_size: 64
  - .agpr_count:     0
    .args:
      - .offset:         0
        .size:           4
        .value_kind:     by_value
      - .offset:         4
        .size:           4
        .value_kind:     by_value
      - .offset:         8
        .size:           8
        .value_kind:     by_value
      - .actual_access:  read_only
        .address_space:  global
        .offset:         16
        .size:           8
        .value_kind:     global_buffer
      - .actual_access:  read_only
        .address_space:  global
        .offset:         24
        .size:           8
        .value_kind:     global_buffer
      - .actual_access:  read_only
        .address_space:  global
        .offset:         32
        .size:           8
        .value_kind:     global_buffer
      - .actual_access:  read_only
        .address_space:  global
        .offset:         40
        .size:           8
        .value_kind:     global_buffer
      - .offset:         48
        .size:           8
        .value_kind:     by_value
      - .address_space:  global
        .offset:         56
        .size:           8
        .value_kind:     global_buffer
      - .offset:         64
        .size:           4
        .value_kind:     by_value
      - .offset:         68
        .size:           1
        .value_kind:     by_value
    .group_segment_fixed_size: 0
    .kernarg_segment_align: 8
    .kernarg_segment_size: 72
    .language:       OpenCL C
    .language_version:
      - 2
      - 0
    .max_flat_workgroup_size: 128
    .name:           _ZN9rocsparseL19gebsrmvn_2xn_kernelILj128ELj9ELj4EfEEvi20rocsparse_direction_NS_24const_host_device_scalarIT2_EEPKiS6_PKS3_S8_S4_PS3_21rocsparse_index_base_b
    .private_segment_fixed_size: 0
    .sgpr_count:     26
    .sgpr_spill_count: 0
    .symbol:         _ZN9rocsparseL19gebsrmvn_2xn_kernelILj128ELj9ELj4EfEEvi20rocsparse_direction_NS_24const_host_device_scalarIT2_EEPKiS6_PKS3_S8_S4_PS3_21rocsparse_index_base_b.kd
    .uniform_work_group_size: 1
    .uses_dynamic_stack: false
    .vgpr_count:     52
    .vgpr_spill_count: 0
    .wavefront_size: 64
  - .agpr_count:     0
    .args:
      - .offset:         0
        .size:           4
        .value_kind:     by_value
      - .offset:         4
        .size:           4
        .value_kind:     by_value
      - .offset:         8
        .size:           8
        .value_kind:     by_value
      - .actual_access:  read_only
        .address_space:  global
        .offset:         16
        .size:           8
        .value_kind:     global_buffer
      - .actual_access:  read_only
        .address_space:  global
        .offset:         24
        .size:           8
        .value_kind:     global_buffer
      - .actual_access:  read_only
        .address_space:  global
        .offset:         32
        .size:           8
        .value_kind:     global_buffer
      - .actual_access:  read_only
        .address_space:  global
        .offset:         40
        .size:           8
        .value_kind:     global_buffer
      - .offset:         48
        .size:           8
        .value_kind:     by_value
      - .address_space:  global
        .offset:         56
        .size:           8
        .value_kind:     global_buffer
      - .offset:         64
        .size:           4
        .value_kind:     by_value
      - .offset:         68
        .size:           1
        .value_kind:     by_value
    .group_segment_fixed_size: 0
    .kernarg_segment_align: 8
    .kernarg_segment_size: 72
    .language:       OpenCL C
    .language_version:
      - 2
      - 0
    .max_flat_workgroup_size: 128
    .name:           _ZN9rocsparseL19gebsrmvn_2xn_kernelILj128ELj9ELj8EfEEvi20rocsparse_direction_NS_24const_host_device_scalarIT2_EEPKiS6_PKS3_S8_S4_PS3_21rocsparse_index_base_b
    .private_segment_fixed_size: 0
    .sgpr_count:     26
    .sgpr_spill_count: 0
    .symbol:         _ZN9rocsparseL19gebsrmvn_2xn_kernelILj128ELj9ELj8EfEEvi20rocsparse_direction_NS_24const_host_device_scalarIT2_EEPKiS6_PKS3_S8_S4_PS3_21rocsparse_index_base_b.kd
    .uniform_work_group_size: 1
    .uses_dynamic_stack: false
    .vgpr_count:     52
    .vgpr_spill_count: 0
    .wavefront_size: 64
  - .agpr_count:     0
    .args:
      - .offset:         0
        .size:           4
        .value_kind:     by_value
      - .offset:         4
        .size:           4
        .value_kind:     by_value
      - .offset:         8
        .size:           8
        .value_kind:     by_value
      - .actual_access:  read_only
        .address_space:  global
        .offset:         16
        .size:           8
        .value_kind:     global_buffer
      - .actual_access:  read_only
        .address_space:  global
        .offset:         24
        .size:           8
        .value_kind:     global_buffer
      - .actual_access:  read_only
        .address_space:  global
        .offset:         32
        .size:           8
        .value_kind:     global_buffer
      - .actual_access:  read_only
        .address_space:  global
        .offset:         40
        .size:           8
        .value_kind:     global_buffer
      - .offset:         48
        .size:           8
        .value_kind:     by_value
      - .address_space:  global
        .offset:         56
        .size:           8
        .value_kind:     global_buffer
      - .offset:         64
        .size:           4
        .value_kind:     by_value
      - .offset:         68
        .size:           1
        .value_kind:     by_value
    .group_segment_fixed_size: 0
    .kernarg_segment_align: 8
    .kernarg_segment_size: 72
    .language:       OpenCL C
    .language_version:
      - 2
      - 0
    .max_flat_workgroup_size: 128
    .name:           _ZN9rocsparseL19gebsrmvn_2xn_kernelILj128ELj9ELj16EfEEvi20rocsparse_direction_NS_24const_host_device_scalarIT2_EEPKiS6_PKS3_S8_S4_PS3_21rocsparse_index_base_b
    .private_segment_fixed_size: 0
    .sgpr_count:     26
    .sgpr_spill_count: 0
    .symbol:         _ZN9rocsparseL19gebsrmvn_2xn_kernelILj128ELj9ELj16EfEEvi20rocsparse_direction_NS_24const_host_device_scalarIT2_EEPKiS6_PKS3_S8_S4_PS3_21rocsparse_index_base_b.kd
    .uniform_work_group_size: 1
    .uses_dynamic_stack: false
    .vgpr_count:     52
    .vgpr_spill_count: 0
    .wavefront_size: 64
  - .agpr_count:     0
    .args:
      - .offset:         0
        .size:           4
        .value_kind:     by_value
      - .offset:         4
        .size:           4
        .value_kind:     by_value
      - .offset:         8
        .size:           8
        .value_kind:     by_value
      - .actual_access:  read_only
        .address_space:  global
        .offset:         16
        .size:           8
        .value_kind:     global_buffer
      - .actual_access:  read_only
        .address_space:  global
        .offset:         24
        .size:           8
        .value_kind:     global_buffer
      - .actual_access:  read_only
        .address_space:  global
        .offset:         32
        .size:           8
        .value_kind:     global_buffer
      - .actual_access:  read_only
        .address_space:  global
        .offset:         40
        .size:           8
        .value_kind:     global_buffer
      - .offset:         48
        .size:           8
        .value_kind:     by_value
      - .address_space:  global
        .offset:         56
        .size:           8
        .value_kind:     global_buffer
      - .offset:         64
        .size:           4
        .value_kind:     by_value
      - .offset:         68
        .size:           1
        .value_kind:     by_value
    .group_segment_fixed_size: 0
    .kernarg_segment_align: 8
    .kernarg_segment_size: 72
    .language:       OpenCL C
    .language_version:
      - 2
      - 0
    .max_flat_workgroup_size: 128
    .name:           _ZN9rocsparseL19gebsrmvn_2xn_kernelILj128ELj9ELj32EfEEvi20rocsparse_direction_NS_24const_host_device_scalarIT2_EEPKiS6_PKS3_S8_S4_PS3_21rocsparse_index_base_b
    .private_segment_fixed_size: 0
    .sgpr_count:     26
    .sgpr_spill_count: 0
    .symbol:         _ZN9rocsparseL19gebsrmvn_2xn_kernelILj128ELj9ELj32EfEEvi20rocsparse_direction_NS_24const_host_device_scalarIT2_EEPKiS6_PKS3_S8_S4_PS3_21rocsparse_index_base_b.kd
    .uniform_work_group_size: 1
    .uses_dynamic_stack: false
    .vgpr_count:     52
    .vgpr_spill_count: 0
    .wavefront_size: 64
  - .agpr_count:     0
    .args:
      - .offset:         0
        .size:           4
        .value_kind:     by_value
      - .offset:         4
        .size:           4
        .value_kind:     by_value
      - .offset:         8
        .size:           8
        .value_kind:     by_value
      - .actual_access:  read_only
        .address_space:  global
        .offset:         16
        .size:           8
        .value_kind:     global_buffer
      - .actual_access:  read_only
        .address_space:  global
        .offset:         24
        .size:           8
        .value_kind:     global_buffer
      - .actual_access:  read_only
        .address_space:  global
        .offset:         32
        .size:           8
        .value_kind:     global_buffer
      - .actual_access:  read_only
        .address_space:  global
        .offset:         40
        .size:           8
        .value_kind:     global_buffer
      - .offset:         48
        .size:           8
        .value_kind:     by_value
      - .address_space:  global
        .offset:         56
        .size:           8
        .value_kind:     global_buffer
      - .offset:         64
        .size:           4
        .value_kind:     by_value
      - .offset:         68
        .size:           1
        .value_kind:     by_value
    .group_segment_fixed_size: 0
    .kernarg_segment_align: 8
    .kernarg_segment_size: 72
    .language:       OpenCL C
    .language_version:
      - 2
      - 0
    .max_flat_workgroup_size: 128
    .name:           _ZN9rocsparseL19gebsrmvn_2xn_kernelILj128ELj9ELj64EfEEvi20rocsparse_direction_NS_24const_host_device_scalarIT2_EEPKiS6_PKS3_S8_S4_PS3_21rocsparse_index_base_b
    .private_segment_fixed_size: 0
    .sgpr_count:     26
    .sgpr_spill_count: 0
    .symbol:         _ZN9rocsparseL19gebsrmvn_2xn_kernelILj128ELj9ELj64EfEEvi20rocsparse_direction_NS_24const_host_device_scalarIT2_EEPKiS6_PKS3_S8_S4_PS3_21rocsparse_index_base_b.kd
    .uniform_work_group_size: 1
    .uses_dynamic_stack: false
    .vgpr_count:     52
    .vgpr_spill_count: 0
    .wavefront_size: 64
  - .agpr_count:     0
    .args:
      - .offset:         0
        .size:           4
        .value_kind:     by_value
      - .offset:         4
        .size:           4
        .value_kind:     by_value
      - .offset:         8
        .size:           8
        .value_kind:     by_value
      - .actual_access:  read_only
        .address_space:  global
        .offset:         16
        .size:           8
        .value_kind:     global_buffer
      - .actual_access:  read_only
        .address_space:  global
        .offset:         24
        .size:           8
        .value_kind:     global_buffer
      - .actual_access:  read_only
        .address_space:  global
        .offset:         32
        .size:           8
        .value_kind:     global_buffer
      - .actual_access:  read_only
        .address_space:  global
        .offset:         40
        .size:           8
        .value_kind:     global_buffer
      - .offset:         48
        .size:           8
        .value_kind:     by_value
      - .address_space:  global
        .offset:         56
        .size:           8
        .value_kind:     global_buffer
      - .offset:         64
        .size:           4
        .value_kind:     by_value
      - .offset:         68
        .size:           1
        .value_kind:     by_value
    .group_segment_fixed_size: 0
    .kernarg_segment_align: 8
    .kernarg_segment_size: 72
    .language:       OpenCL C
    .language_version:
      - 2
      - 0
    .max_flat_workgroup_size: 128
    .name:           _ZN9rocsparseL19gebsrmvn_2xn_kernelILj128ELj10ELj4EfEEvi20rocsparse_direction_NS_24const_host_device_scalarIT2_EEPKiS6_PKS3_S8_S4_PS3_21rocsparse_index_base_b
    .private_segment_fixed_size: 0
    .sgpr_count:     26
    .sgpr_spill_count: 0
    .symbol:         _ZN9rocsparseL19gebsrmvn_2xn_kernelILj128ELj10ELj4EfEEvi20rocsparse_direction_NS_24const_host_device_scalarIT2_EEPKiS6_PKS3_S8_S4_PS3_21rocsparse_index_base_b.kd
    .uniform_work_group_size: 1
    .uses_dynamic_stack: false
    .vgpr_count:     52
    .vgpr_spill_count: 0
    .wavefront_size: 64
  - .agpr_count:     0
    .args:
      - .offset:         0
        .size:           4
        .value_kind:     by_value
      - .offset:         4
        .size:           4
        .value_kind:     by_value
      - .offset:         8
        .size:           8
        .value_kind:     by_value
      - .actual_access:  read_only
        .address_space:  global
        .offset:         16
        .size:           8
        .value_kind:     global_buffer
      - .actual_access:  read_only
        .address_space:  global
        .offset:         24
        .size:           8
        .value_kind:     global_buffer
      - .actual_access:  read_only
        .address_space:  global
        .offset:         32
        .size:           8
        .value_kind:     global_buffer
      - .actual_access:  read_only
        .address_space:  global
        .offset:         40
        .size:           8
        .value_kind:     global_buffer
      - .offset:         48
        .size:           8
        .value_kind:     by_value
      - .address_space:  global
        .offset:         56
        .size:           8
        .value_kind:     global_buffer
      - .offset:         64
        .size:           4
        .value_kind:     by_value
      - .offset:         68
        .size:           1
        .value_kind:     by_value
    .group_segment_fixed_size: 0
    .kernarg_segment_align: 8
    .kernarg_segment_size: 72
    .language:       OpenCL C
    .language_version:
      - 2
      - 0
    .max_flat_workgroup_size: 128
    .name:           _ZN9rocsparseL19gebsrmvn_2xn_kernelILj128ELj10ELj8EfEEvi20rocsparse_direction_NS_24const_host_device_scalarIT2_EEPKiS6_PKS3_S8_S4_PS3_21rocsparse_index_base_b
    .private_segment_fixed_size: 0
    .sgpr_count:     26
    .sgpr_spill_count: 0
    .symbol:         _ZN9rocsparseL19gebsrmvn_2xn_kernelILj128ELj10ELj8EfEEvi20rocsparse_direction_NS_24const_host_device_scalarIT2_EEPKiS6_PKS3_S8_S4_PS3_21rocsparse_index_base_b.kd
    .uniform_work_group_size: 1
    .uses_dynamic_stack: false
    .vgpr_count:     52
    .vgpr_spill_count: 0
    .wavefront_size: 64
  - .agpr_count:     0
    .args:
      - .offset:         0
        .size:           4
        .value_kind:     by_value
      - .offset:         4
        .size:           4
        .value_kind:     by_value
      - .offset:         8
        .size:           8
        .value_kind:     by_value
      - .actual_access:  read_only
        .address_space:  global
        .offset:         16
        .size:           8
        .value_kind:     global_buffer
      - .actual_access:  read_only
        .address_space:  global
        .offset:         24
        .size:           8
        .value_kind:     global_buffer
      - .actual_access:  read_only
        .address_space:  global
        .offset:         32
        .size:           8
        .value_kind:     global_buffer
      - .actual_access:  read_only
        .address_space:  global
        .offset:         40
        .size:           8
        .value_kind:     global_buffer
      - .offset:         48
        .size:           8
        .value_kind:     by_value
      - .address_space:  global
        .offset:         56
        .size:           8
        .value_kind:     global_buffer
      - .offset:         64
        .size:           4
        .value_kind:     by_value
      - .offset:         68
        .size:           1
        .value_kind:     by_value
    .group_segment_fixed_size: 0
    .kernarg_segment_align: 8
    .kernarg_segment_size: 72
    .language:       OpenCL C
    .language_version:
      - 2
      - 0
    .max_flat_workgroup_size: 128
    .name:           _ZN9rocsparseL19gebsrmvn_2xn_kernelILj128ELj10ELj16EfEEvi20rocsparse_direction_NS_24const_host_device_scalarIT2_EEPKiS6_PKS3_S8_S4_PS3_21rocsparse_index_base_b
    .private_segment_fixed_size: 0
    .sgpr_count:     26
    .sgpr_spill_count: 0
    .symbol:         _ZN9rocsparseL19gebsrmvn_2xn_kernelILj128ELj10ELj16EfEEvi20rocsparse_direction_NS_24const_host_device_scalarIT2_EEPKiS6_PKS3_S8_S4_PS3_21rocsparse_index_base_b.kd
    .uniform_work_group_size: 1
    .uses_dynamic_stack: false
    .vgpr_count:     52
    .vgpr_spill_count: 0
    .wavefront_size: 64
  - .agpr_count:     0
    .args:
      - .offset:         0
        .size:           4
        .value_kind:     by_value
      - .offset:         4
        .size:           4
        .value_kind:     by_value
      - .offset:         8
        .size:           8
        .value_kind:     by_value
      - .actual_access:  read_only
        .address_space:  global
        .offset:         16
        .size:           8
        .value_kind:     global_buffer
      - .actual_access:  read_only
        .address_space:  global
        .offset:         24
        .size:           8
        .value_kind:     global_buffer
      - .actual_access:  read_only
        .address_space:  global
        .offset:         32
        .size:           8
        .value_kind:     global_buffer
      - .actual_access:  read_only
        .address_space:  global
        .offset:         40
        .size:           8
        .value_kind:     global_buffer
      - .offset:         48
        .size:           8
        .value_kind:     by_value
      - .address_space:  global
        .offset:         56
        .size:           8
        .value_kind:     global_buffer
      - .offset:         64
        .size:           4
        .value_kind:     by_value
      - .offset:         68
        .size:           1
        .value_kind:     by_value
    .group_segment_fixed_size: 0
    .kernarg_segment_align: 8
    .kernarg_segment_size: 72
    .language:       OpenCL C
    .language_version:
      - 2
      - 0
    .max_flat_workgroup_size: 128
    .name:           _ZN9rocsparseL19gebsrmvn_2xn_kernelILj128ELj10ELj32EfEEvi20rocsparse_direction_NS_24const_host_device_scalarIT2_EEPKiS6_PKS3_S8_S4_PS3_21rocsparse_index_base_b
    .private_segment_fixed_size: 0
    .sgpr_count:     26
    .sgpr_spill_count: 0
    .symbol:         _ZN9rocsparseL19gebsrmvn_2xn_kernelILj128ELj10ELj32EfEEvi20rocsparse_direction_NS_24const_host_device_scalarIT2_EEPKiS6_PKS3_S8_S4_PS3_21rocsparse_index_base_b.kd
    .uniform_work_group_size: 1
    .uses_dynamic_stack: false
    .vgpr_count:     52
    .vgpr_spill_count: 0
    .wavefront_size: 64
  - .agpr_count:     0
    .args:
      - .offset:         0
        .size:           4
        .value_kind:     by_value
      - .offset:         4
        .size:           4
        .value_kind:     by_value
      - .offset:         8
        .size:           8
        .value_kind:     by_value
      - .actual_access:  read_only
        .address_space:  global
        .offset:         16
        .size:           8
        .value_kind:     global_buffer
      - .actual_access:  read_only
        .address_space:  global
        .offset:         24
        .size:           8
        .value_kind:     global_buffer
      - .actual_access:  read_only
        .address_space:  global
        .offset:         32
        .size:           8
        .value_kind:     global_buffer
      - .actual_access:  read_only
        .address_space:  global
        .offset:         40
        .size:           8
        .value_kind:     global_buffer
      - .offset:         48
        .size:           8
        .value_kind:     by_value
      - .address_space:  global
        .offset:         56
        .size:           8
        .value_kind:     global_buffer
      - .offset:         64
        .size:           4
        .value_kind:     by_value
      - .offset:         68
        .size:           1
        .value_kind:     by_value
    .group_segment_fixed_size: 0
    .kernarg_segment_align: 8
    .kernarg_segment_size: 72
    .language:       OpenCL C
    .language_version:
      - 2
      - 0
    .max_flat_workgroup_size: 128
    .name:           _ZN9rocsparseL19gebsrmvn_2xn_kernelILj128ELj10ELj64EfEEvi20rocsparse_direction_NS_24const_host_device_scalarIT2_EEPKiS6_PKS3_S8_S4_PS3_21rocsparse_index_base_b
    .private_segment_fixed_size: 0
    .sgpr_count:     26
    .sgpr_spill_count: 0
    .symbol:         _ZN9rocsparseL19gebsrmvn_2xn_kernelILj128ELj10ELj64EfEEvi20rocsparse_direction_NS_24const_host_device_scalarIT2_EEPKiS6_PKS3_S8_S4_PS3_21rocsparse_index_base_b.kd
    .uniform_work_group_size: 1
    .uses_dynamic_stack: false
    .vgpr_count:     52
    .vgpr_spill_count: 0
    .wavefront_size: 64
  - .agpr_count:     0
    .args:
      - .offset:         0
        .size:           4
        .value_kind:     by_value
      - .offset:         4
        .size:           4
        .value_kind:     by_value
      - .offset:         8
        .size:           8
        .value_kind:     by_value
      - .actual_access:  read_only
        .address_space:  global
        .offset:         16
        .size:           8
        .value_kind:     global_buffer
      - .actual_access:  read_only
        .address_space:  global
        .offset:         24
        .size:           8
        .value_kind:     global_buffer
      - .actual_access:  read_only
        .address_space:  global
        .offset:         32
        .size:           8
        .value_kind:     global_buffer
      - .actual_access:  read_only
        .address_space:  global
        .offset:         40
        .size:           8
        .value_kind:     global_buffer
      - .offset:         48
        .size:           8
        .value_kind:     by_value
      - .address_space:  global
        .offset:         56
        .size:           8
        .value_kind:     global_buffer
      - .offset:         64
        .size:           4
        .value_kind:     by_value
      - .offset:         68
        .size:           1
        .value_kind:     by_value
    .group_segment_fixed_size: 0
    .kernarg_segment_align: 8
    .kernarg_segment_size: 72
    .language:       OpenCL C
    .language_version:
      - 2
      - 0
    .max_flat_workgroup_size: 128
    .name:           _ZN9rocsparseL19gebsrmvn_2xn_kernelILj128ELj11ELj4EfEEvi20rocsparse_direction_NS_24const_host_device_scalarIT2_EEPKiS6_PKS3_S8_S4_PS3_21rocsparse_index_base_b
    .private_segment_fixed_size: 0
    .sgpr_count:     26
    .sgpr_spill_count: 0
    .symbol:         _ZN9rocsparseL19gebsrmvn_2xn_kernelILj128ELj11ELj4EfEEvi20rocsparse_direction_NS_24const_host_device_scalarIT2_EEPKiS6_PKS3_S8_S4_PS3_21rocsparse_index_base_b.kd
    .uniform_work_group_size: 1
    .uses_dynamic_stack: false
    .vgpr_count:     60
    .vgpr_spill_count: 0
    .wavefront_size: 64
  - .agpr_count:     0
    .args:
      - .offset:         0
        .size:           4
        .value_kind:     by_value
      - .offset:         4
        .size:           4
        .value_kind:     by_value
      - .offset:         8
        .size:           8
        .value_kind:     by_value
      - .actual_access:  read_only
        .address_space:  global
        .offset:         16
        .size:           8
        .value_kind:     global_buffer
      - .actual_access:  read_only
        .address_space:  global
        .offset:         24
        .size:           8
        .value_kind:     global_buffer
      - .actual_access:  read_only
        .address_space:  global
        .offset:         32
        .size:           8
        .value_kind:     global_buffer
      - .actual_access:  read_only
        .address_space:  global
        .offset:         40
        .size:           8
        .value_kind:     global_buffer
      - .offset:         48
        .size:           8
        .value_kind:     by_value
      - .address_space:  global
        .offset:         56
        .size:           8
        .value_kind:     global_buffer
      - .offset:         64
        .size:           4
        .value_kind:     by_value
      - .offset:         68
        .size:           1
        .value_kind:     by_value
    .group_segment_fixed_size: 0
    .kernarg_segment_align: 8
    .kernarg_segment_size: 72
    .language:       OpenCL C
    .language_version:
      - 2
      - 0
    .max_flat_workgroup_size: 128
    .name:           _ZN9rocsparseL19gebsrmvn_2xn_kernelILj128ELj11ELj8EfEEvi20rocsparse_direction_NS_24const_host_device_scalarIT2_EEPKiS6_PKS3_S8_S4_PS3_21rocsparse_index_base_b
    .private_segment_fixed_size: 0
    .sgpr_count:     26
    .sgpr_spill_count: 0
    .symbol:         _ZN9rocsparseL19gebsrmvn_2xn_kernelILj128ELj11ELj8EfEEvi20rocsparse_direction_NS_24const_host_device_scalarIT2_EEPKiS6_PKS3_S8_S4_PS3_21rocsparse_index_base_b.kd
    .uniform_work_group_size: 1
    .uses_dynamic_stack: false
    .vgpr_count:     60
    .vgpr_spill_count: 0
    .wavefront_size: 64
  - .agpr_count:     0
    .args:
      - .offset:         0
        .size:           4
        .value_kind:     by_value
      - .offset:         4
        .size:           4
        .value_kind:     by_value
      - .offset:         8
        .size:           8
        .value_kind:     by_value
      - .actual_access:  read_only
        .address_space:  global
        .offset:         16
        .size:           8
        .value_kind:     global_buffer
      - .actual_access:  read_only
        .address_space:  global
        .offset:         24
        .size:           8
        .value_kind:     global_buffer
      - .actual_access:  read_only
        .address_space:  global
        .offset:         32
        .size:           8
        .value_kind:     global_buffer
      - .actual_access:  read_only
        .address_space:  global
        .offset:         40
        .size:           8
        .value_kind:     global_buffer
      - .offset:         48
        .size:           8
        .value_kind:     by_value
      - .address_space:  global
        .offset:         56
        .size:           8
        .value_kind:     global_buffer
      - .offset:         64
        .size:           4
        .value_kind:     by_value
      - .offset:         68
        .size:           1
        .value_kind:     by_value
    .group_segment_fixed_size: 0
    .kernarg_segment_align: 8
    .kernarg_segment_size: 72
    .language:       OpenCL C
    .language_version:
      - 2
      - 0
    .max_flat_workgroup_size: 128
    .name:           _ZN9rocsparseL19gebsrmvn_2xn_kernelILj128ELj11ELj16EfEEvi20rocsparse_direction_NS_24const_host_device_scalarIT2_EEPKiS6_PKS3_S8_S4_PS3_21rocsparse_index_base_b
    .private_segment_fixed_size: 0
    .sgpr_count:     26
    .sgpr_spill_count: 0
    .symbol:         _ZN9rocsparseL19gebsrmvn_2xn_kernelILj128ELj11ELj16EfEEvi20rocsparse_direction_NS_24const_host_device_scalarIT2_EEPKiS6_PKS3_S8_S4_PS3_21rocsparse_index_base_b.kd
    .uniform_work_group_size: 1
    .uses_dynamic_stack: false
    .vgpr_count:     60
    .vgpr_spill_count: 0
    .wavefront_size: 64
  - .agpr_count:     0
    .args:
      - .offset:         0
        .size:           4
        .value_kind:     by_value
      - .offset:         4
        .size:           4
        .value_kind:     by_value
      - .offset:         8
        .size:           8
        .value_kind:     by_value
      - .actual_access:  read_only
        .address_space:  global
        .offset:         16
        .size:           8
        .value_kind:     global_buffer
      - .actual_access:  read_only
        .address_space:  global
        .offset:         24
        .size:           8
        .value_kind:     global_buffer
      - .actual_access:  read_only
        .address_space:  global
        .offset:         32
        .size:           8
        .value_kind:     global_buffer
      - .actual_access:  read_only
        .address_space:  global
        .offset:         40
        .size:           8
        .value_kind:     global_buffer
      - .offset:         48
        .size:           8
        .value_kind:     by_value
      - .address_space:  global
        .offset:         56
        .size:           8
        .value_kind:     global_buffer
      - .offset:         64
        .size:           4
        .value_kind:     by_value
      - .offset:         68
        .size:           1
        .value_kind:     by_value
    .group_segment_fixed_size: 0
    .kernarg_segment_align: 8
    .kernarg_segment_size: 72
    .language:       OpenCL C
    .language_version:
      - 2
      - 0
    .max_flat_workgroup_size: 128
    .name:           _ZN9rocsparseL19gebsrmvn_2xn_kernelILj128ELj11ELj32EfEEvi20rocsparse_direction_NS_24const_host_device_scalarIT2_EEPKiS6_PKS3_S8_S4_PS3_21rocsparse_index_base_b
    .private_segment_fixed_size: 0
    .sgpr_count:     26
    .sgpr_spill_count: 0
    .symbol:         _ZN9rocsparseL19gebsrmvn_2xn_kernelILj128ELj11ELj32EfEEvi20rocsparse_direction_NS_24const_host_device_scalarIT2_EEPKiS6_PKS3_S8_S4_PS3_21rocsparse_index_base_b.kd
    .uniform_work_group_size: 1
    .uses_dynamic_stack: false
    .vgpr_count:     60
    .vgpr_spill_count: 0
    .wavefront_size: 64
  - .agpr_count:     0
    .args:
      - .offset:         0
        .size:           4
        .value_kind:     by_value
      - .offset:         4
        .size:           4
        .value_kind:     by_value
      - .offset:         8
        .size:           8
        .value_kind:     by_value
      - .actual_access:  read_only
        .address_space:  global
        .offset:         16
        .size:           8
        .value_kind:     global_buffer
      - .actual_access:  read_only
        .address_space:  global
        .offset:         24
        .size:           8
        .value_kind:     global_buffer
      - .actual_access:  read_only
        .address_space:  global
        .offset:         32
        .size:           8
        .value_kind:     global_buffer
      - .actual_access:  read_only
        .address_space:  global
        .offset:         40
        .size:           8
        .value_kind:     global_buffer
      - .offset:         48
        .size:           8
        .value_kind:     by_value
      - .address_space:  global
        .offset:         56
        .size:           8
        .value_kind:     global_buffer
      - .offset:         64
        .size:           4
        .value_kind:     by_value
      - .offset:         68
        .size:           1
        .value_kind:     by_value
    .group_segment_fixed_size: 0
    .kernarg_segment_align: 8
    .kernarg_segment_size: 72
    .language:       OpenCL C
    .language_version:
      - 2
      - 0
    .max_flat_workgroup_size: 128
    .name:           _ZN9rocsparseL19gebsrmvn_2xn_kernelILj128ELj11ELj64EfEEvi20rocsparse_direction_NS_24const_host_device_scalarIT2_EEPKiS6_PKS3_S8_S4_PS3_21rocsparse_index_base_b
    .private_segment_fixed_size: 0
    .sgpr_count:     26
    .sgpr_spill_count: 0
    .symbol:         _ZN9rocsparseL19gebsrmvn_2xn_kernelILj128ELj11ELj64EfEEvi20rocsparse_direction_NS_24const_host_device_scalarIT2_EEPKiS6_PKS3_S8_S4_PS3_21rocsparse_index_base_b.kd
    .uniform_work_group_size: 1
    .uses_dynamic_stack: false
    .vgpr_count:     60
    .vgpr_spill_count: 0
    .wavefront_size: 64
  - .agpr_count:     0
    .args:
      - .offset:         0
        .size:           4
        .value_kind:     by_value
      - .offset:         4
        .size:           4
        .value_kind:     by_value
      - .offset:         8
        .size:           8
        .value_kind:     by_value
      - .actual_access:  read_only
        .address_space:  global
        .offset:         16
        .size:           8
        .value_kind:     global_buffer
      - .actual_access:  read_only
        .address_space:  global
        .offset:         24
        .size:           8
        .value_kind:     global_buffer
      - .actual_access:  read_only
        .address_space:  global
        .offset:         32
        .size:           8
        .value_kind:     global_buffer
      - .actual_access:  read_only
        .address_space:  global
        .offset:         40
        .size:           8
        .value_kind:     global_buffer
      - .offset:         48
        .size:           8
        .value_kind:     by_value
      - .address_space:  global
        .offset:         56
        .size:           8
        .value_kind:     global_buffer
      - .offset:         64
        .size:           4
        .value_kind:     by_value
      - .offset:         68
        .size:           1
        .value_kind:     by_value
    .group_segment_fixed_size: 0
    .kernarg_segment_align: 8
    .kernarg_segment_size: 72
    .language:       OpenCL C
    .language_version:
      - 2
      - 0
    .max_flat_workgroup_size: 128
    .name:           _ZN9rocsparseL19gebsrmvn_2xn_kernelILj128ELj12ELj4EfEEvi20rocsparse_direction_NS_24const_host_device_scalarIT2_EEPKiS6_PKS3_S8_S4_PS3_21rocsparse_index_base_b
    .private_segment_fixed_size: 0
    .sgpr_count:     26
    .sgpr_spill_count: 0
    .symbol:         _ZN9rocsparseL19gebsrmvn_2xn_kernelILj128ELj12ELj4EfEEvi20rocsparse_direction_NS_24const_host_device_scalarIT2_EEPKiS6_PKS3_S8_S4_PS3_21rocsparse_index_base_b.kd
    .uniform_work_group_size: 1
    .uses_dynamic_stack: false
    .vgpr_count:     62
    .vgpr_spill_count: 0
    .wavefront_size: 64
  - .agpr_count:     0
    .args:
      - .offset:         0
        .size:           4
        .value_kind:     by_value
      - .offset:         4
        .size:           4
        .value_kind:     by_value
      - .offset:         8
        .size:           8
        .value_kind:     by_value
      - .actual_access:  read_only
        .address_space:  global
        .offset:         16
        .size:           8
        .value_kind:     global_buffer
      - .actual_access:  read_only
        .address_space:  global
        .offset:         24
        .size:           8
        .value_kind:     global_buffer
      - .actual_access:  read_only
        .address_space:  global
        .offset:         32
        .size:           8
        .value_kind:     global_buffer
      - .actual_access:  read_only
        .address_space:  global
        .offset:         40
        .size:           8
        .value_kind:     global_buffer
      - .offset:         48
        .size:           8
        .value_kind:     by_value
      - .address_space:  global
        .offset:         56
        .size:           8
        .value_kind:     global_buffer
      - .offset:         64
        .size:           4
        .value_kind:     by_value
      - .offset:         68
        .size:           1
        .value_kind:     by_value
    .group_segment_fixed_size: 0
    .kernarg_segment_align: 8
    .kernarg_segment_size: 72
    .language:       OpenCL C
    .language_version:
      - 2
      - 0
    .max_flat_workgroup_size: 128
    .name:           _ZN9rocsparseL19gebsrmvn_2xn_kernelILj128ELj12ELj8EfEEvi20rocsparse_direction_NS_24const_host_device_scalarIT2_EEPKiS6_PKS3_S8_S4_PS3_21rocsparse_index_base_b
    .private_segment_fixed_size: 0
    .sgpr_count:     26
    .sgpr_spill_count: 0
    .symbol:         _ZN9rocsparseL19gebsrmvn_2xn_kernelILj128ELj12ELj8EfEEvi20rocsparse_direction_NS_24const_host_device_scalarIT2_EEPKiS6_PKS3_S8_S4_PS3_21rocsparse_index_base_b.kd
    .uniform_work_group_size: 1
    .uses_dynamic_stack: false
    .vgpr_count:     62
    .vgpr_spill_count: 0
    .wavefront_size: 64
  - .agpr_count:     0
    .args:
      - .offset:         0
        .size:           4
        .value_kind:     by_value
      - .offset:         4
        .size:           4
        .value_kind:     by_value
      - .offset:         8
        .size:           8
        .value_kind:     by_value
      - .actual_access:  read_only
        .address_space:  global
        .offset:         16
        .size:           8
        .value_kind:     global_buffer
      - .actual_access:  read_only
        .address_space:  global
        .offset:         24
        .size:           8
        .value_kind:     global_buffer
      - .actual_access:  read_only
        .address_space:  global
        .offset:         32
        .size:           8
        .value_kind:     global_buffer
      - .actual_access:  read_only
        .address_space:  global
        .offset:         40
        .size:           8
        .value_kind:     global_buffer
      - .offset:         48
        .size:           8
        .value_kind:     by_value
      - .address_space:  global
        .offset:         56
        .size:           8
        .value_kind:     global_buffer
      - .offset:         64
        .size:           4
        .value_kind:     by_value
      - .offset:         68
        .size:           1
        .value_kind:     by_value
    .group_segment_fixed_size: 0
    .kernarg_segment_align: 8
    .kernarg_segment_size: 72
    .language:       OpenCL C
    .language_version:
      - 2
      - 0
    .max_flat_workgroup_size: 128
    .name:           _ZN9rocsparseL19gebsrmvn_2xn_kernelILj128ELj12ELj16EfEEvi20rocsparse_direction_NS_24const_host_device_scalarIT2_EEPKiS6_PKS3_S8_S4_PS3_21rocsparse_index_base_b
    .private_segment_fixed_size: 0
    .sgpr_count:     26
    .sgpr_spill_count: 0
    .symbol:         _ZN9rocsparseL19gebsrmvn_2xn_kernelILj128ELj12ELj16EfEEvi20rocsparse_direction_NS_24const_host_device_scalarIT2_EEPKiS6_PKS3_S8_S4_PS3_21rocsparse_index_base_b.kd
    .uniform_work_group_size: 1
    .uses_dynamic_stack: false
    .vgpr_count:     62
    .vgpr_spill_count: 0
    .wavefront_size: 64
  - .agpr_count:     0
    .args:
      - .offset:         0
        .size:           4
        .value_kind:     by_value
      - .offset:         4
        .size:           4
        .value_kind:     by_value
      - .offset:         8
        .size:           8
        .value_kind:     by_value
      - .actual_access:  read_only
        .address_space:  global
        .offset:         16
        .size:           8
        .value_kind:     global_buffer
      - .actual_access:  read_only
        .address_space:  global
        .offset:         24
        .size:           8
        .value_kind:     global_buffer
      - .actual_access:  read_only
        .address_space:  global
        .offset:         32
        .size:           8
        .value_kind:     global_buffer
      - .actual_access:  read_only
        .address_space:  global
        .offset:         40
        .size:           8
        .value_kind:     global_buffer
      - .offset:         48
        .size:           8
        .value_kind:     by_value
      - .address_space:  global
        .offset:         56
        .size:           8
        .value_kind:     global_buffer
      - .offset:         64
        .size:           4
        .value_kind:     by_value
      - .offset:         68
        .size:           1
        .value_kind:     by_value
    .group_segment_fixed_size: 0
    .kernarg_segment_align: 8
    .kernarg_segment_size: 72
    .language:       OpenCL C
    .language_version:
      - 2
      - 0
    .max_flat_workgroup_size: 128
    .name:           _ZN9rocsparseL19gebsrmvn_2xn_kernelILj128ELj12ELj32EfEEvi20rocsparse_direction_NS_24const_host_device_scalarIT2_EEPKiS6_PKS3_S8_S4_PS3_21rocsparse_index_base_b
    .private_segment_fixed_size: 0
    .sgpr_count:     26
    .sgpr_spill_count: 0
    .symbol:         _ZN9rocsparseL19gebsrmvn_2xn_kernelILj128ELj12ELj32EfEEvi20rocsparse_direction_NS_24const_host_device_scalarIT2_EEPKiS6_PKS3_S8_S4_PS3_21rocsparse_index_base_b.kd
    .uniform_work_group_size: 1
    .uses_dynamic_stack: false
    .vgpr_count:     62
    .vgpr_spill_count: 0
    .wavefront_size: 64
  - .agpr_count:     0
    .args:
      - .offset:         0
        .size:           4
        .value_kind:     by_value
      - .offset:         4
        .size:           4
        .value_kind:     by_value
      - .offset:         8
        .size:           8
        .value_kind:     by_value
      - .actual_access:  read_only
        .address_space:  global
        .offset:         16
        .size:           8
        .value_kind:     global_buffer
      - .actual_access:  read_only
        .address_space:  global
        .offset:         24
        .size:           8
        .value_kind:     global_buffer
      - .actual_access:  read_only
        .address_space:  global
        .offset:         32
        .size:           8
        .value_kind:     global_buffer
      - .actual_access:  read_only
        .address_space:  global
        .offset:         40
        .size:           8
        .value_kind:     global_buffer
      - .offset:         48
        .size:           8
        .value_kind:     by_value
      - .address_space:  global
        .offset:         56
        .size:           8
        .value_kind:     global_buffer
      - .offset:         64
        .size:           4
        .value_kind:     by_value
      - .offset:         68
        .size:           1
        .value_kind:     by_value
    .group_segment_fixed_size: 0
    .kernarg_segment_align: 8
    .kernarg_segment_size: 72
    .language:       OpenCL C
    .language_version:
      - 2
      - 0
    .max_flat_workgroup_size: 128
    .name:           _ZN9rocsparseL19gebsrmvn_2xn_kernelILj128ELj12ELj64EfEEvi20rocsparse_direction_NS_24const_host_device_scalarIT2_EEPKiS6_PKS3_S8_S4_PS3_21rocsparse_index_base_b
    .private_segment_fixed_size: 0
    .sgpr_count:     26
    .sgpr_spill_count: 0
    .symbol:         _ZN9rocsparseL19gebsrmvn_2xn_kernelILj128ELj12ELj64EfEEvi20rocsparse_direction_NS_24const_host_device_scalarIT2_EEPKiS6_PKS3_S8_S4_PS3_21rocsparse_index_base_b.kd
    .uniform_work_group_size: 1
    .uses_dynamic_stack: false
    .vgpr_count:     62
    .vgpr_spill_count: 0
    .wavefront_size: 64
  - .agpr_count:     0
    .args:
      - .offset:         0
        .size:           4
        .value_kind:     by_value
      - .offset:         4
        .size:           4
        .value_kind:     by_value
      - .offset:         8
        .size:           8
        .value_kind:     by_value
      - .actual_access:  read_only
        .address_space:  global
        .offset:         16
        .size:           8
        .value_kind:     global_buffer
      - .actual_access:  read_only
        .address_space:  global
        .offset:         24
        .size:           8
        .value_kind:     global_buffer
      - .actual_access:  read_only
        .address_space:  global
        .offset:         32
        .size:           8
        .value_kind:     global_buffer
      - .actual_access:  read_only
        .address_space:  global
        .offset:         40
        .size:           8
        .value_kind:     global_buffer
      - .offset:         48
        .size:           8
        .value_kind:     by_value
      - .address_space:  global
        .offset:         56
        .size:           8
        .value_kind:     global_buffer
      - .offset:         64
        .size:           4
        .value_kind:     by_value
      - .offset:         68
        .size:           1
        .value_kind:     by_value
    .group_segment_fixed_size: 0
    .kernarg_segment_align: 8
    .kernarg_segment_size: 72
    .language:       OpenCL C
    .language_version:
      - 2
      - 0
    .max_flat_workgroup_size: 128
    .name:           _ZN9rocsparseL19gebsrmvn_2xn_kernelILj128ELj13ELj4EfEEvi20rocsparse_direction_NS_24const_host_device_scalarIT2_EEPKiS6_PKS3_S8_S4_PS3_21rocsparse_index_base_b
    .private_segment_fixed_size: 0
    .sgpr_count:     26
    .sgpr_spill_count: 0
    .symbol:         _ZN9rocsparseL19gebsrmvn_2xn_kernelILj128ELj13ELj4EfEEvi20rocsparse_direction_NS_24const_host_device_scalarIT2_EEPKiS6_PKS3_S8_S4_PS3_21rocsparse_index_base_b.kd
    .uniform_work_group_size: 1
    .uses_dynamic_stack: false
    .vgpr_count:     94
    .vgpr_spill_count: 0
    .wavefront_size: 64
  - .agpr_count:     0
    .args:
      - .offset:         0
        .size:           4
        .value_kind:     by_value
      - .offset:         4
        .size:           4
        .value_kind:     by_value
      - .offset:         8
        .size:           8
        .value_kind:     by_value
      - .actual_access:  read_only
        .address_space:  global
        .offset:         16
        .size:           8
        .value_kind:     global_buffer
      - .actual_access:  read_only
        .address_space:  global
        .offset:         24
        .size:           8
        .value_kind:     global_buffer
      - .actual_access:  read_only
        .address_space:  global
        .offset:         32
        .size:           8
        .value_kind:     global_buffer
      - .actual_access:  read_only
        .address_space:  global
        .offset:         40
        .size:           8
        .value_kind:     global_buffer
      - .offset:         48
        .size:           8
        .value_kind:     by_value
      - .address_space:  global
        .offset:         56
        .size:           8
        .value_kind:     global_buffer
      - .offset:         64
        .size:           4
        .value_kind:     by_value
      - .offset:         68
        .size:           1
        .value_kind:     by_value
    .group_segment_fixed_size: 0
    .kernarg_segment_align: 8
    .kernarg_segment_size: 72
    .language:       OpenCL C
    .language_version:
      - 2
      - 0
    .max_flat_workgroup_size: 128
    .name:           _ZN9rocsparseL19gebsrmvn_2xn_kernelILj128ELj13ELj8EfEEvi20rocsparse_direction_NS_24const_host_device_scalarIT2_EEPKiS6_PKS3_S8_S4_PS3_21rocsparse_index_base_b
    .private_segment_fixed_size: 0
    .sgpr_count:     26
    .sgpr_spill_count: 0
    .symbol:         _ZN9rocsparseL19gebsrmvn_2xn_kernelILj128ELj13ELj8EfEEvi20rocsparse_direction_NS_24const_host_device_scalarIT2_EEPKiS6_PKS3_S8_S4_PS3_21rocsparse_index_base_b.kd
    .uniform_work_group_size: 1
    .uses_dynamic_stack: false
    .vgpr_count:     94
    .vgpr_spill_count: 0
    .wavefront_size: 64
  - .agpr_count:     0
    .args:
      - .offset:         0
        .size:           4
        .value_kind:     by_value
      - .offset:         4
        .size:           4
        .value_kind:     by_value
      - .offset:         8
        .size:           8
        .value_kind:     by_value
      - .actual_access:  read_only
        .address_space:  global
        .offset:         16
        .size:           8
        .value_kind:     global_buffer
      - .actual_access:  read_only
        .address_space:  global
        .offset:         24
        .size:           8
        .value_kind:     global_buffer
      - .actual_access:  read_only
        .address_space:  global
        .offset:         32
        .size:           8
        .value_kind:     global_buffer
      - .actual_access:  read_only
        .address_space:  global
        .offset:         40
        .size:           8
        .value_kind:     global_buffer
      - .offset:         48
        .size:           8
        .value_kind:     by_value
      - .address_space:  global
        .offset:         56
        .size:           8
        .value_kind:     global_buffer
      - .offset:         64
        .size:           4
        .value_kind:     by_value
      - .offset:         68
        .size:           1
        .value_kind:     by_value
    .group_segment_fixed_size: 0
    .kernarg_segment_align: 8
    .kernarg_segment_size: 72
    .language:       OpenCL C
    .language_version:
      - 2
      - 0
    .max_flat_workgroup_size: 128
    .name:           _ZN9rocsparseL19gebsrmvn_2xn_kernelILj128ELj13ELj16EfEEvi20rocsparse_direction_NS_24const_host_device_scalarIT2_EEPKiS6_PKS3_S8_S4_PS3_21rocsparse_index_base_b
    .private_segment_fixed_size: 0
    .sgpr_count:     26
    .sgpr_spill_count: 0
    .symbol:         _ZN9rocsparseL19gebsrmvn_2xn_kernelILj128ELj13ELj16EfEEvi20rocsparse_direction_NS_24const_host_device_scalarIT2_EEPKiS6_PKS3_S8_S4_PS3_21rocsparse_index_base_b.kd
    .uniform_work_group_size: 1
    .uses_dynamic_stack: false
    .vgpr_count:     94
    .vgpr_spill_count: 0
    .wavefront_size: 64
  - .agpr_count:     0
    .args:
      - .offset:         0
        .size:           4
        .value_kind:     by_value
      - .offset:         4
        .size:           4
        .value_kind:     by_value
      - .offset:         8
        .size:           8
        .value_kind:     by_value
      - .actual_access:  read_only
        .address_space:  global
        .offset:         16
        .size:           8
        .value_kind:     global_buffer
      - .actual_access:  read_only
        .address_space:  global
        .offset:         24
        .size:           8
        .value_kind:     global_buffer
      - .actual_access:  read_only
        .address_space:  global
        .offset:         32
        .size:           8
        .value_kind:     global_buffer
      - .actual_access:  read_only
        .address_space:  global
        .offset:         40
        .size:           8
        .value_kind:     global_buffer
      - .offset:         48
        .size:           8
        .value_kind:     by_value
      - .address_space:  global
        .offset:         56
        .size:           8
        .value_kind:     global_buffer
      - .offset:         64
        .size:           4
        .value_kind:     by_value
      - .offset:         68
        .size:           1
        .value_kind:     by_value
    .group_segment_fixed_size: 0
    .kernarg_segment_align: 8
    .kernarg_segment_size: 72
    .language:       OpenCL C
    .language_version:
      - 2
      - 0
    .max_flat_workgroup_size: 128
    .name:           _ZN9rocsparseL19gebsrmvn_2xn_kernelILj128ELj13ELj32EfEEvi20rocsparse_direction_NS_24const_host_device_scalarIT2_EEPKiS6_PKS3_S8_S4_PS3_21rocsparse_index_base_b
    .private_segment_fixed_size: 0
    .sgpr_count:     26
    .sgpr_spill_count: 0
    .symbol:         _ZN9rocsparseL19gebsrmvn_2xn_kernelILj128ELj13ELj32EfEEvi20rocsparse_direction_NS_24const_host_device_scalarIT2_EEPKiS6_PKS3_S8_S4_PS3_21rocsparse_index_base_b.kd
    .uniform_work_group_size: 1
    .uses_dynamic_stack: false
    .vgpr_count:     94
    .vgpr_spill_count: 0
    .wavefront_size: 64
  - .agpr_count:     0
    .args:
      - .offset:         0
        .size:           4
        .value_kind:     by_value
      - .offset:         4
        .size:           4
        .value_kind:     by_value
      - .offset:         8
        .size:           8
        .value_kind:     by_value
      - .actual_access:  read_only
        .address_space:  global
        .offset:         16
        .size:           8
        .value_kind:     global_buffer
      - .actual_access:  read_only
        .address_space:  global
        .offset:         24
        .size:           8
        .value_kind:     global_buffer
      - .actual_access:  read_only
        .address_space:  global
        .offset:         32
        .size:           8
        .value_kind:     global_buffer
      - .actual_access:  read_only
        .address_space:  global
        .offset:         40
        .size:           8
        .value_kind:     global_buffer
      - .offset:         48
        .size:           8
        .value_kind:     by_value
      - .address_space:  global
        .offset:         56
        .size:           8
        .value_kind:     global_buffer
      - .offset:         64
        .size:           4
        .value_kind:     by_value
      - .offset:         68
        .size:           1
        .value_kind:     by_value
    .group_segment_fixed_size: 0
    .kernarg_segment_align: 8
    .kernarg_segment_size: 72
    .language:       OpenCL C
    .language_version:
      - 2
      - 0
    .max_flat_workgroup_size: 128
    .name:           _ZN9rocsparseL19gebsrmvn_2xn_kernelILj128ELj13ELj64EfEEvi20rocsparse_direction_NS_24const_host_device_scalarIT2_EEPKiS6_PKS3_S8_S4_PS3_21rocsparse_index_base_b
    .private_segment_fixed_size: 0
    .sgpr_count:     26
    .sgpr_spill_count: 0
    .symbol:         _ZN9rocsparseL19gebsrmvn_2xn_kernelILj128ELj13ELj64EfEEvi20rocsparse_direction_NS_24const_host_device_scalarIT2_EEPKiS6_PKS3_S8_S4_PS3_21rocsparse_index_base_b.kd
    .uniform_work_group_size: 1
    .uses_dynamic_stack: false
    .vgpr_count:     94
    .vgpr_spill_count: 0
    .wavefront_size: 64
  - .agpr_count:     0
    .args:
      - .offset:         0
        .size:           4
        .value_kind:     by_value
      - .offset:         4
        .size:           4
        .value_kind:     by_value
      - .offset:         8
        .size:           8
        .value_kind:     by_value
      - .actual_access:  read_only
        .address_space:  global
        .offset:         16
        .size:           8
        .value_kind:     global_buffer
      - .actual_access:  read_only
        .address_space:  global
        .offset:         24
        .size:           8
        .value_kind:     global_buffer
      - .actual_access:  read_only
        .address_space:  global
        .offset:         32
        .size:           8
        .value_kind:     global_buffer
      - .actual_access:  read_only
        .address_space:  global
        .offset:         40
        .size:           8
        .value_kind:     global_buffer
      - .offset:         48
        .size:           8
        .value_kind:     by_value
      - .address_space:  global
        .offset:         56
        .size:           8
        .value_kind:     global_buffer
      - .offset:         64
        .size:           4
        .value_kind:     by_value
      - .offset:         68
        .size:           1
        .value_kind:     by_value
    .group_segment_fixed_size: 0
    .kernarg_segment_align: 8
    .kernarg_segment_size: 72
    .language:       OpenCL C
    .language_version:
      - 2
      - 0
    .max_flat_workgroup_size: 128
    .name:           _ZN9rocsparseL19gebsrmvn_2xn_kernelILj128ELj14ELj4EfEEvi20rocsparse_direction_NS_24const_host_device_scalarIT2_EEPKiS6_PKS3_S8_S4_PS3_21rocsparse_index_base_b
    .private_segment_fixed_size: 0
    .sgpr_count:     26
    .sgpr_spill_count: 0
    .symbol:         _ZN9rocsparseL19gebsrmvn_2xn_kernelILj128ELj14ELj4EfEEvi20rocsparse_direction_NS_24const_host_device_scalarIT2_EEPKiS6_PKS3_S8_S4_PS3_21rocsparse_index_base_b.kd
    .uniform_work_group_size: 1
    .uses_dynamic_stack: false
    .vgpr_count:     64
    .vgpr_spill_count: 0
    .wavefront_size: 64
  - .agpr_count:     0
    .args:
      - .offset:         0
        .size:           4
        .value_kind:     by_value
      - .offset:         4
        .size:           4
        .value_kind:     by_value
      - .offset:         8
        .size:           8
        .value_kind:     by_value
      - .actual_access:  read_only
        .address_space:  global
        .offset:         16
        .size:           8
        .value_kind:     global_buffer
      - .actual_access:  read_only
        .address_space:  global
        .offset:         24
        .size:           8
        .value_kind:     global_buffer
      - .actual_access:  read_only
        .address_space:  global
        .offset:         32
        .size:           8
        .value_kind:     global_buffer
      - .actual_access:  read_only
        .address_space:  global
        .offset:         40
        .size:           8
        .value_kind:     global_buffer
      - .offset:         48
        .size:           8
        .value_kind:     by_value
      - .address_space:  global
        .offset:         56
        .size:           8
        .value_kind:     global_buffer
      - .offset:         64
        .size:           4
        .value_kind:     by_value
      - .offset:         68
        .size:           1
        .value_kind:     by_value
    .group_segment_fixed_size: 0
    .kernarg_segment_align: 8
    .kernarg_segment_size: 72
    .language:       OpenCL C
    .language_version:
      - 2
      - 0
    .max_flat_workgroup_size: 128
    .name:           _ZN9rocsparseL19gebsrmvn_2xn_kernelILj128ELj14ELj8EfEEvi20rocsparse_direction_NS_24const_host_device_scalarIT2_EEPKiS6_PKS3_S8_S4_PS3_21rocsparse_index_base_b
    .private_segment_fixed_size: 0
    .sgpr_count:     26
    .sgpr_spill_count: 0
    .symbol:         _ZN9rocsparseL19gebsrmvn_2xn_kernelILj128ELj14ELj8EfEEvi20rocsparse_direction_NS_24const_host_device_scalarIT2_EEPKiS6_PKS3_S8_S4_PS3_21rocsparse_index_base_b.kd
    .uniform_work_group_size: 1
    .uses_dynamic_stack: false
    .vgpr_count:     64
    .vgpr_spill_count: 0
    .wavefront_size: 64
  - .agpr_count:     0
    .args:
      - .offset:         0
        .size:           4
        .value_kind:     by_value
      - .offset:         4
        .size:           4
        .value_kind:     by_value
      - .offset:         8
        .size:           8
        .value_kind:     by_value
      - .actual_access:  read_only
        .address_space:  global
        .offset:         16
        .size:           8
        .value_kind:     global_buffer
      - .actual_access:  read_only
        .address_space:  global
        .offset:         24
        .size:           8
        .value_kind:     global_buffer
      - .actual_access:  read_only
        .address_space:  global
        .offset:         32
        .size:           8
        .value_kind:     global_buffer
      - .actual_access:  read_only
        .address_space:  global
        .offset:         40
        .size:           8
        .value_kind:     global_buffer
      - .offset:         48
        .size:           8
        .value_kind:     by_value
      - .address_space:  global
        .offset:         56
        .size:           8
        .value_kind:     global_buffer
      - .offset:         64
        .size:           4
        .value_kind:     by_value
      - .offset:         68
        .size:           1
        .value_kind:     by_value
    .group_segment_fixed_size: 0
    .kernarg_segment_align: 8
    .kernarg_segment_size: 72
    .language:       OpenCL C
    .language_version:
      - 2
      - 0
    .max_flat_workgroup_size: 128
    .name:           _ZN9rocsparseL19gebsrmvn_2xn_kernelILj128ELj14ELj16EfEEvi20rocsparse_direction_NS_24const_host_device_scalarIT2_EEPKiS6_PKS3_S8_S4_PS3_21rocsparse_index_base_b
    .private_segment_fixed_size: 0
    .sgpr_count:     26
    .sgpr_spill_count: 0
    .symbol:         _ZN9rocsparseL19gebsrmvn_2xn_kernelILj128ELj14ELj16EfEEvi20rocsparse_direction_NS_24const_host_device_scalarIT2_EEPKiS6_PKS3_S8_S4_PS3_21rocsparse_index_base_b.kd
    .uniform_work_group_size: 1
    .uses_dynamic_stack: false
    .vgpr_count:     64
    .vgpr_spill_count: 0
    .wavefront_size: 64
  - .agpr_count:     0
    .args:
      - .offset:         0
        .size:           4
        .value_kind:     by_value
      - .offset:         4
        .size:           4
        .value_kind:     by_value
      - .offset:         8
        .size:           8
        .value_kind:     by_value
      - .actual_access:  read_only
        .address_space:  global
        .offset:         16
        .size:           8
        .value_kind:     global_buffer
      - .actual_access:  read_only
        .address_space:  global
        .offset:         24
        .size:           8
        .value_kind:     global_buffer
      - .actual_access:  read_only
        .address_space:  global
        .offset:         32
        .size:           8
        .value_kind:     global_buffer
      - .actual_access:  read_only
        .address_space:  global
        .offset:         40
        .size:           8
        .value_kind:     global_buffer
      - .offset:         48
        .size:           8
        .value_kind:     by_value
      - .address_space:  global
        .offset:         56
        .size:           8
        .value_kind:     global_buffer
      - .offset:         64
        .size:           4
        .value_kind:     by_value
      - .offset:         68
        .size:           1
        .value_kind:     by_value
    .group_segment_fixed_size: 0
    .kernarg_segment_align: 8
    .kernarg_segment_size: 72
    .language:       OpenCL C
    .language_version:
      - 2
      - 0
    .max_flat_workgroup_size: 128
    .name:           _ZN9rocsparseL19gebsrmvn_2xn_kernelILj128ELj14ELj32EfEEvi20rocsparse_direction_NS_24const_host_device_scalarIT2_EEPKiS6_PKS3_S8_S4_PS3_21rocsparse_index_base_b
    .private_segment_fixed_size: 0
    .sgpr_count:     26
    .sgpr_spill_count: 0
    .symbol:         _ZN9rocsparseL19gebsrmvn_2xn_kernelILj128ELj14ELj32EfEEvi20rocsparse_direction_NS_24const_host_device_scalarIT2_EEPKiS6_PKS3_S8_S4_PS3_21rocsparse_index_base_b.kd
    .uniform_work_group_size: 1
    .uses_dynamic_stack: false
    .vgpr_count:     64
    .vgpr_spill_count: 0
    .wavefront_size: 64
  - .agpr_count:     0
    .args:
      - .offset:         0
        .size:           4
        .value_kind:     by_value
      - .offset:         4
        .size:           4
        .value_kind:     by_value
      - .offset:         8
        .size:           8
        .value_kind:     by_value
      - .actual_access:  read_only
        .address_space:  global
        .offset:         16
        .size:           8
        .value_kind:     global_buffer
      - .actual_access:  read_only
        .address_space:  global
        .offset:         24
        .size:           8
        .value_kind:     global_buffer
      - .actual_access:  read_only
        .address_space:  global
        .offset:         32
        .size:           8
        .value_kind:     global_buffer
      - .actual_access:  read_only
        .address_space:  global
        .offset:         40
        .size:           8
        .value_kind:     global_buffer
      - .offset:         48
        .size:           8
        .value_kind:     by_value
      - .address_space:  global
        .offset:         56
        .size:           8
        .value_kind:     global_buffer
      - .offset:         64
        .size:           4
        .value_kind:     by_value
      - .offset:         68
        .size:           1
        .value_kind:     by_value
    .group_segment_fixed_size: 0
    .kernarg_segment_align: 8
    .kernarg_segment_size: 72
    .language:       OpenCL C
    .language_version:
      - 2
      - 0
    .max_flat_workgroup_size: 128
    .name:           _ZN9rocsparseL19gebsrmvn_2xn_kernelILj128ELj14ELj64EfEEvi20rocsparse_direction_NS_24const_host_device_scalarIT2_EEPKiS6_PKS3_S8_S4_PS3_21rocsparse_index_base_b
    .private_segment_fixed_size: 0
    .sgpr_count:     26
    .sgpr_spill_count: 0
    .symbol:         _ZN9rocsparseL19gebsrmvn_2xn_kernelILj128ELj14ELj64EfEEvi20rocsparse_direction_NS_24const_host_device_scalarIT2_EEPKiS6_PKS3_S8_S4_PS3_21rocsparse_index_base_b.kd
    .uniform_work_group_size: 1
    .uses_dynamic_stack: false
    .vgpr_count:     64
    .vgpr_spill_count: 0
    .wavefront_size: 64
  - .agpr_count:     0
    .args:
      - .offset:         0
        .size:           4
        .value_kind:     by_value
      - .offset:         4
        .size:           4
        .value_kind:     by_value
      - .offset:         8
        .size:           8
        .value_kind:     by_value
      - .actual_access:  read_only
        .address_space:  global
        .offset:         16
        .size:           8
        .value_kind:     global_buffer
      - .actual_access:  read_only
        .address_space:  global
        .offset:         24
        .size:           8
        .value_kind:     global_buffer
      - .actual_access:  read_only
        .address_space:  global
        .offset:         32
        .size:           8
        .value_kind:     global_buffer
      - .actual_access:  read_only
        .address_space:  global
        .offset:         40
        .size:           8
        .value_kind:     global_buffer
      - .offset:         48
        .size:           8
        .value_kind:     by_value
      - .address_space:  global
        .offset:         56
        .size:           8
        .value_kind:     global_buffer
      - .offset:         64
        .size:           4
        .value_kind:     by_value
      - .offset:         68
        .size:           1
        .value_kind:     by_value
    .group_segment_fixed_size: 0
    .kernarg_segment_align: 8
    .kernarg_segment_size: 72
    .language:       OpenCL C
    .language_version:
      - 2
      - 0
    .max_flat_workgroup_size: 128
    .name:           _ZN9rocsparseL19gebsrmvn_2xn_kernelILj128ELj15ELj4EfEEvi20rocsparse_direction_NS_24const_host_device_scalarIT2_EEPKiS6_PKS3_S8_S4_PS3_21rocsparse_index_base_b
    .private_segment_fixed_size: 0
    .sgpr_count:     26
    .sgpr_spill_count: 0
    .symbol:         _ZN9rocsparseL19gebsrmvn_2xn_kernelILj128ELj15ELj4EfEEvi20rocsparse_direction_NS_24const_host_device_scalarIT2_EEPKiS6_PKS3_S8_S4_PS3_21rocsparse_index_base_b.kd
    .uniform_work_group_size: 1
    .uses_dynamic_stack: false
    .vgpr_count:     94
    .vgpr_spill_count: 0
    .wavefront_size: 64
  - .agpr_count:     0
    .args:
      - .offset:         0
        .size:           4
        .value_kind:     by_value
      - .offset:         4
        .size:           4
        .value_kind:     by_value
      - .offset:         8
        .size:           8
        .value_kind:     by_value
      - .actual_access:  read_only
        .address_space:  global
        .offset:         16
        .size:           8
        .value_kind:     global_buffer
      - .actual_access:  read_only
        .address_space:  global
        .offset:         24
        .size:           8
        .value_kind:     global_buffer
      - .actual_access:  read_only
        .address_space:  global
        .offset:         32
        .size:           8
        .value_kind:     global_buffer
      - .actual_access:  read_only
        .address_space:  global
        .offset:         40
        .size:           8
        .value_kind:     global_buffer
      - .offset:         48
        .size:           8
        .value_kind:     by_value
      - .address_space:  global
        .offset:         56
        .size:           8
        .value_kind:     global_buffer
      - .offset:         64
        .size:           4
        .value_kind:     by_value
      - .offset:         68
        .size:           1
        .value_kind:     by_value
    .group_segment_fixed_size: 0
    .kernarg_segment_align: 8
    .kernarg_segment_size: 72
    .language:       OpenCL C
    .language_version:
      - 2
      - 0
    .max_flat_workgroup_size: 128
    .name:           _ZN9rocsparseL19gebsrmvn_2xn_kernelILj128ELj15ELj8EfEEvi20rocsparse_direction_NS_24const_host_device_scalarIT2_EEPKiS6_PKS3_S8_S4_PS3_21rocsparse_index_base_b
    .private_segment_fixed_size: 0
    .sgpr_count:     26
    .sgpr_spill_count: 0
    .symbol:         _ZN9rocsparseL19gebsrmvn_2xn_kernelILj128ELj15ELj8EfEEvi20rocsparse_direction_NS_24const_host_device_scalarIT2_EEPKiS6_PKS3_S8_S4_PS3_21rocsparse_index_base_b.kd
    .uniform_work_group_size: 1
    .uses_dynamic_stack: false
    .vgpr_count:     94
    .vgpr_spill_count: 0
    .wavefront_size: 64
  - .agpr_count:     0
    .args:
      - .offset:         0
        .size:           4
        .value_kind:     by_value
      - .offset:         4
        .size:           4
        .value_kind:     by_value
      - .offset:         8
        .size:           8
        .value_kind:     by_value
      - .actual_access:  read_only
        .address_space:  global
        .offset:         16
        .size:           8
        .value_kind:     global_buffer
      - .actual_access:  read_only
        .address_space:  global
        .offset:         24
        .size:           8
        .value_kind:     global_buffer
      - .actual_access:  read_only
        .address_space:  global
        .offset:         32
        .size:           8
        .value_kind:     global_buffer
      - .actual_access:  read_only
        .address_space:  global
        .offset:         40
        .size:           8
        .value_kind:     global_buffer
      - .offset:         48
        .size:           8
        .value_kind:     by_value
      - .address_space:  global
        .offset:         56
        .size:           8
        .value_kind:     global_buffer
      - .offset:         64
        .size:           4
        .value_kind:     by_value
      - .offset:         68
        .size:           1
        .value_kind:     by_value
    .group_segment_fixed_size: 0
    .kernarg_segment_align: 8
    .kernarg_segment_size: 72
    .language:       OpenCL C
    .language_version:
      - 2
      - 0
    .max_flat_workgroup_size: 128
    .name:           _ZN9rocsparseL19gebsrmvn_2xn_kernelILj128ELj15ELj16EfEEvi20rocsparse_direction_NS_24const_host_device_scalarIT2_EEPKiS6_PKS3_S8_S4_PS3_21rocsparse_index_base_b
    .private_segment_fixed_size: 0
    .sgpr_count:     26
    .sgpr_spill_count: 0
    .symbol:         _ZN9rocsparseL19gebsrmvn_2xn_kernelILj128ELj15ELj16EfEEvi20rocsparse_direction_NS_24const_host_device_scalarIT2_EEPKiS6_PKS3_S8_S4_PS3_21rocsparse_index_base_b.kd
    .uniform_work_group_size: 1
    .uses_dynamic_stack: false
    .vgpr_count:     94
    .vgpr_spill_count: 0
    .wavefront_size: 64
  - .agpr_count:     0
    .args:
      - .offset:         0
        .size:           4
        .value_kind:     by_value
      - .offset:         4
        .size:           4
        .value_kind:     by_value
      - .offset:         8
        .size:           8
        .value_kind:     by_value
      - .actual_access:  read_only
        .address_space:  global
        .offset:         16
        .size:           8
        .value_kind:     global_buffer
      - .actual_access:  read_only
        .address_space:  global
        .offset:         24
        .size:           8
        .value_kind:     global_buffer
      - .actual_access:  read_only
        .address_space:  global
        .offset:         32
        .size:           8
        .value_kind:     global_buffer
      - .actual_access:  read_only
        .address_space:  global
        .offset:         40
        .size:           8
        .value_kind:     global_buffer
      - .offset:         48
        .size:           8
        .value_kind:     by_value
      - .address_space:  global
        .offset:         56
        .size:           8
        .value_kind:     global_buffer
      - .offset:         64
        .size:           4
        .value_kind:     by_value
      - .offset:         68
        .size:           1
        .value_kind:     by_value
    .group_segment_fixed_size: 0
    .kernarg_segment_align: 8
    .kernarg_segment_size: 72
    .language:       OpenCL C
    .language_version:
      - 2
      - 0
    .max_flat_workgroup_size: 128
    .name:           _ZN9rocsparseL19gebsrmvn_2xn_kernelILj128ELj15ELj32EfEEvi20rocsparse_direction_NS_24const_host_device_scalarIT2_EEPKiS6_PKS3_S8_S4_PS3_21rocsparse_index_base_b
    .private_segment_fixed_size: 0
    .sgpr_count:     26
    .sgpr_spill_count: 0
    .symbol:         _ZN9rocsparseL19gebsrmvn_2xn_kernelILj128ELj15ELj32EfEEvi20rocsparse_direction_NS_24const_host_device_scalarIT2_EEPKiS6_PKS3_S8_S4_PS3_21rocsparse_index_base_b.kd
    .uniform_work_group_size: 1
    .uses_dynamic_stack: false
    .vgpr_count:     94
    .vgpr_spill_count: 0
    .wavefront_size: 64
  - .agpr_count:     0
    .args:
      - .offset:         0
        .size:           4
        .value_kind:     by_value
      - .offset:         4
        .size:           4
        .value_kind:     by_value
      - .offset:         8
        .size:           8
        .value_kind:     by_value
      - .actual_access:  read_only
        .address_space:  global
        .offset:         16
        .size:           8
        .value_kind:     global_buffer
      - .actual_access:  read_only
        .address_space:  global
        .offset:         24
        .size:           8
        .value_kind:     global_buffer
      - .actual_access:  read_only
        .address_space:  global
        .offset:         32
        .size:           8
        .value_kind:     global_buffer
      - .actual_access:  read_only
        .address_space:  global
        .offset:         40
        .size:           8
        .value_kind:     global_buffer
      - .offset:         48
        .size:           8
        .value_kind:     by_value
      - .address_space:  global
        .offset:         56
        .size:           8
        .value_kind:     global_buffer
      - .offset:         64
        .size:           4
        .value_kind:     by_value
      - .offset:         68
        .size:           1
        .value_kind:     by_value
    .group_segment_fixed_size: 0
    .kernarg_segment_align: 8
    .kernarg_segment_size: 72
    .language:       OpenCL C
    .language_version:
      - 2
      - 0
    .max_flat_workgroup_size: 128
    .name:           _ZN9rocsparseL19gebsrmvn_2xn_kernelILj128ELj15ELj64EfEEvi20rocsparse_direction_NS_24const_host_device_scalarIT2_EEPKiS6_PKS3_S8_S4_PS3_21rocsparse_index_base_b
    .private_segment_fixed_size: 0
    .sgpr_count:     26
    .sgpr_spill_count: 0
    .symbol:         _ZN9rocsparseL19gebsrmvn_2xn_kernelILj128ELj15ELj64EfEEvi20rocsparse_direction_NS_24const_host_device_scalarIT2_EEPKiS6_PKS3_S8_S4_PS3_21rocsparse_index_base_b.kd
    .uniform_work_group_size: 1
    .uses_dynamic_stack: false
    .vgpr_count:     94
    .vgpr_spill_count: 0
    .wavefront_size: 64
  - .agpr_count:     0
    .args:
      - .offset:         0
        .size:           4
        .value_kind:     by_value
      - .offset:         4
        .size:           4
        .value_kind:     by_value
      - .offset:         8
        .size:           8
        .value_kind:     by_value
      - .actual_access:  read_only
        .address_space:  global
        .offset:         16
        .size:           8
        .value_kind:     global_buffer
      - .actual_access:  read_only
        .address_space:  global
        .offset:         24
        .size:           8
        .value_kind:     global_buffer
      - .actual_access:  read_only
        .address_space:  global
        .offset:         32
        .size:           8
        .value_kind:     global_buffer
      - .actual_access:  read_only
        .address_space:  global
        .offset:         40
        .size:           8
        .value_kind:     global_buffer
      - .offset:         48
        .size:           8
        .value_kind:     by_value
      - .address_space:  global
        .offset:         56
        .size:           8
        .value_kind:     global_buffer
      - .offset:         64
        .size:           4
        .value_kind:     by_value
      - .offset:         68
        .size:           1
        .value_kind:     by_value
    .group_segment_fixed_size: 0
    .kernarg_segment_align: 8
    .kernarg_segment_size: 72
    .language:       OpenCL C
    .language_version:
      - 2
      - 0
    .max_flat_workgroup_size: 128
    .name:           _ZN9rocsparseL19gebsrmvn_2xn_kernelILj128ELj16ELj4EfEEvi20rocsparse_direction_NS_24const_host_device_scalarIT2_EEPKiS6_PKS3_S8_S4_PS3_21rocsparse_index_base_b
    .private_segment_fixed_size: 0
    .sgpr_count:     26
    .sgpr_spill_count: 0
    .symbol:         _ZN9rocsparseL19gebsrmvn_2xn_kernelILj128ELj16ELj4EfEEvi20rocsparse_direction_NS_24const_host_device_scalarIT2_EEPKiS6_PKS3_S8_S4_PS3_21rocsparse_index_base_b.kd
    .uniform_work_group_size: 1
    .uses_dynamic_stack: false
    .vgpr_count:     64
    .vgpr_spill_count: 0
    .wavefront_size: 64
  - .agpr_count:     0
    .args:
      - .offset:         0
        .size:           4
        .value_kind:     by_value
      - .offset:         4
        .size:           4
        .value_kind:     by_value
      - .offset:         8
        .size:           8
        .value_kind:     by_value
      - .actual_access:  read_only
        .address_space:  global
        .offset:         16
        .size:           8
        .value_kind:     global_buffer
      - .actual_access:  read_only
        .address_space:  global
        .offset:         24
        .size:           8
        .value_kind:     global_buffer
      - .actual_access:  read_only
        .address_space:  global
        .offset:         32
        .size:           8
        .value_kind:     global_buffer
      - .actual_access:  read_only
        .address_space:  global
        .offset:         40
        .size:           8
        .value_kind:     global_buffer
      - .offset:         48
        .size:           8
        .value_kind:     by_value
      - .address_space:  global
        .offset:         56
        .size:           8
        .value_kind:     global_buffer
      - .offset:         64
        .size:           4
        .value_kind:     by_value
      - .offset:         68
        .size:           1
        .value_kind:     by_value
    .group_segment_fixed_size: 0
    .kernarg_segment_align: 8
    .kernarg_segment_size: 72
    .language:       OpenCL C
    .language_version:
      - 2
      - 0
    .max_flat_workgroup_size: 128
    .name:           _ZN9rocsparseL19gebsrmvn_2xn_kernelILj128ELj16ELj8EfEEvi20rocsparse_direction_NS_24const_host_device_scalarIT2_EEPKiS6_PKS3_S8_S4_PS3_21rocsparse_index_base_b
    .private_segment_fixed_size: 0
    .sgpr_count:     26
    .sgpr_spill_count: 0
    .symbol:         _ZN9rocsparseL19gebsrmvn_2xn_kernelILj128ELj16ELj8EfEEvi20rocsparse_direction_NS_24const_host_device_scalarIT2_EEPKiS6_PKS3_S8_S4_PS3_21rocsparse_index_base_b.kd
    .uniform_work_group_size: 1
    .uses_dynamic_stack: false
    .vgpr_count:     64
    .vgpr_spill_count: 0
    .wavefront_size: 64
  - .agpr_count:     0
    .args:
      - .offset:         0
        .size:           4
        .value_kind:     by_value
      - .offset:         4
        .size:           4
        .value_kind:     by_value
      - .offset:         8
        .size:           8
        .value_kind:     by_value
      - .actual_access:  read_only
        .address_space:  global
        .offset:         16
        .size:           8
        .value_kind:     global_buffer
      - .actual_access:  read_only
        .address_space:  global
        .offset:         24
        .size:           8
        .value_kind:     global_buffer
      - .actual_access:  read_only
        .address_space:  global
        .offset:         32
        .size:           8
        .value_kind:     global_buffer
      - .actual_access:  read_only
        .address_space:  global
        .offset:         40
        .size:           8
        .value_kind:     global_buffer
      - .offset:         48
        .size:           8
        .value_kind:     by_value
      - .address_space:  global
        .offset:         56
        .size:           8
        .value_kind:     global_buffer
      - .offset:         64
        .size:           4
        .value_kind:     by_value
      - .offset:         68
        .size:           1
        .value_kind:     by_value
    .group_segment_fixed_size: 0
    .kernarg_segment_align: 8
    .kernarg_segment_size: 72
    .language:       OpenCL C
    .language_version:
      - 2
      - 0
    .max_flat_workgroup_size: 128
    .name:           _ZN9rocsparseL19gebsrmvn_2xn_kernelILj128ELj16ELj16EfEEvi20rocsparse_direction_NS_24const_host_device_scalarIT2_EEPKiS6_PKS3_S8_S4_PS3_21rocsparse_index_base_b
    .private_segment_fixed_size: 0
    .sgpr_count:     26
    .sgpr_spill_count: 0
    .symbol:         _ZN9rocsparseL19gebsrmvn_2xn_kernelILj128ELj16ELj16EfEEvi20rocsparse_direction_NS_24const_host_device_scalarIT2_EEPKiS6_PKS3_S8_S4_PS3_21rocsparse_index_base_b.kd
    .uniform_work_group_size: 1
    .uses_dynamic_stack: false
    .vgpr_count:     64
    .vgpr_spill_count: 0
    .wavefront_size: 64
  - .agpr_count:     0
    .args:
      - .offset:         0
        .size:           4
        .value_kind:     by_value
      - .offset:         4
        .size:           4
        .value_kind:     by_value
      - .offset:         8
        .size:           8
        .value_kind:     by_value
      - .actual_access:  read_only
        .address_space:  global
        .offset:         16
        .size:           8
        .value_kind:     global_buffer
      - .actual_access:  read_only
        .address_space:  global
        .offset:         24
        .size:           8
        .value_kind:     global_buffer
      - .actual_access:  read_only
        .address_space:  global
        .offset:         32
        .size:           8
        .value_kind:     global_buffer
      - .actual_access:  read_only
        .address_space:  global
        .offset:         40
        .size:           8
        .value_kind:     global_buffer
      - .offset:         48
        .size:           8
        .value_kind:     by_value
      - .address_space:  global
        .offset:         56
        .size:           8
        .value_kind:     global_buffer
      - .offset:         64
        .size:           4
        .value_kind:     by_value
      - .offset:         68
        .size:           1
        .value_kind:     by_value
    .group_segment_fixed_size: 0
    .kernarg_segment_align: 8
    .kernarg_segment_size: 72
    .language:       OpenCL C
    .language_version:
      - 2
      - 0
    .max_flat_workgroup_size: 128
    .name:           _ZN9rocsparseL19gebsrmvn_2xn_kernelILj128ELj16ELj32EfEEvi20rocsparse_direction_NS_24const_host_device_scalarIT2_EEPKiS6_PKS3_S8_S4_PS3_21rocsparse_index_base_b
    .private_segment_fixed_size: 0
    .sgpr_count:     26
    .sgpr_spill_count: 0
    .symbol:         _ZN9rocsparseL19gebsrmvn_2xn_kernelILj128ELj16ELj32EfEEvi20rocsparse_direction_NS_24const_host_device_scalarIT2_EEPKiS6_PKS3_S8_S4_PS3_21rocsparse_index_base_b.kd
    .uniform_work_group_size: 1
    .uses_dynamic_stack: false
    .vgpr_count:     64
    .vgpr_spill_count: 0
    .wavefront_size: 64
  - .agpr_count:     0
    .args:
      - .offset:         0
        .size:           4
        .value_kind:     by_value
      - .offset:         4
        .size:           4
        .value_kind:     by_value
      - .offset:         8
        .size:           8
        .value_kind:     by_value
      - .actual_access:  read_only
        .address_space:  global
        .offset:         16
        .size:           8
        .value_kind:     global_buffer
      - .actual_access:  read_only
        .address_space:  global
        .offset:         24
        .size:           8
        .value_kind:     global_buffer
      - .actual_access:  read_only
        .address_space:  global
        .offset:         32
        .size:           8
        .value_kind:     global_buffer
      - .actual_access:  read_only
        .address_space:  global
        .offset:         40
        .size:           8
        .value_kind:     global_buffer
      - .offset:         48
        .size:           8
        .value_kind:     by_value
      - .address_space:  global
        .offset:         56
        .size:           8
        .value_kind:     global_buffer
      - .offset:         64
        .size:           4
        .value_kind:     by_value
      - .offset:         68
        .size:           1
        .value_kind:     by_value
    .group_segment_fixed_size: 0
    .kernarg_segment_align: 8
    .kernarg_segment_size: 72
    .language:       OpenCL C
    .language_version:
      - 2
      - 0
    .max_flat_workgroup_size: 128
    .name:           _ZN9rocsparseL19gebsrmvn_2xn_kernelILj128ELj16ELj64EfEEvi20rocsparse_direction_NS_24const_host_device_scalarIT2_EEPKiS6_PKS3_S8_S4_PS3_21rocsparse_index_base_b
    .private_segment_fixed_size: 0
    .sgpr_count:     26
    .sgpr_spill_count: 0
    .symbol:         _ZN9rocsparseL19gebsrmvn_2xn_kernelILj128ELj16ELj64EfEEvi20rocsparse_direction_NS_24const_host_device_scalarIT2_EEPKiS6_PKS3_S8_S4_PS3_21rocsparse_index_base_b.kd
    .uniform_work_group_size: 1
    .uses_dynamic_stack: false
    .vgpr_count:     64
    .vgpr_spill_count: 0
    .wavefront_size: 64
  - .agpr_count:     0
    .args:
      - .offset:         0
        .size:           4
        .value_kind:     by_value
      - .offset:         4
        .size:           4
        .value_kind:     by_value
      - .offset:         8
        .size:           8
        .value_kind:     by_value
      - .actual_access:  read_only
        .address_space:  global
        .offset:         16
        .size:           8
        .value_kind:     global_buffer
      - .actual_access:  read_only
        .address_space:  global
        .offset:         24
        .size:           8
        .value_kind:     global_buffer
      - .actual_access:  read_only
        .address_space:  global
        .offset:         32
        .size:           8
        .value_kind:     global_buffer
      - .offset:         40
        .size:           4
        .value_kind:     by_value
      - .offset:         44
        .size:           4
        .value_kind:     by_value
      - .actual_access:  read_only
        .address_space:  global
        .offset:         48
        .size:           8
        .value_kind:     global_buffer
      - .offset:         56
        .size:           8
        .value_kind:     by_value
      - .address_space:  global
        .offset:         64
        .size:           8
        .value_kind:     global_buffer
      - .offset:         72
        .size:           4
        .value_kind:     by_value
      - .offset:         76
        .size:           1
        .value_kind:     by_value
    .group_segment_fixed_size: 0
    .kernarg_segment_align: 8
    .kernarg_segment_size: 80
    .language:       OpenCL C
    .language_version:
      - 2
      - 0
    .max_flat_workgroup_size: 32
    .name:           _ZN9rocsparseL23gebsrmvn_general_kernelILj32ELj32EfEEvi20rocsparse_direction_NS_24const_host_device_scalarIT1_EEPKiS6_PKS3_iiS8_S4_PS3_21rocsparse_index_base_b
    .private_segment_fixed_size: 0
    .sgpr_count:     45
    .sgpr_spill_count: 0
    .symbol:         _ZN9rocsparseL23gebsrmvn_general_kernelILj32ELj32EfEEvi20rocsparse_direction_NS_24const_host_device_scalarIT1_EEPKiS6_PKS3_iiS8_S4_PS3_21rocsparse_index_base_b.kd
    .uniform_work_group_size: 1
    .uses_dynamic_stack: false
    .vgpr_count:     9
    .vgpr_spill_count: 0
    .wavefront_size: 64
  - .agpr_count:     0
    .args:
      - .offset:         0
        .size:           4
        .value_kind:     by_value
      - .offset:         4
        .size:           4
        .value_kind:     by_value
      - .offset:         8
        .size:           8
        .value_kind:     by_value
      - .actual_access:  read_only
        .address_space:  global
        .offset:         16
        .size:           8
        .value_kind:     global_buffer
      - .actual_access:  read_only
        .address_space:  global
        .offset:         24
        .size:           8
        .value_kind:     global_buffer
      - .actual_access:  read_only
        .address_space:  global
        .offset:         32
        .size:           8
        .value_kind:     global_buffer
      - .actual_access:  read_only
        .address_space:  global
        .offset:         40
        .size:           8
        .value_kind:     global_buffer
      - .offset:         48
        .size:           8
        .value_kind:     by_value
      - .address_space:  global
        .offset:         56
        .size:           8
        .value_kind:     global_buffer
      - .offset:         64
        .size:           4
        .value_kind:     by_value
      - .offset:         68
        .size:           1
        .value_kind:     by_value
    .group_segment_fixed_size: 0
    .kernarg_segment_align: 8
    .kernarg_segment_size: 72
    .language:       OpenCL C
    .language_version:
      - 2
      - 0
    .max_flat_workgroup_size: 128
    .name:           _ZN9rocsparseL19gebsrmvn_2xn_kernelILj128ELj1ELj4EdEEvi20rocsparse_direction_NS_24const_host_device_scalarIT2_EEPKiS6_PKS3_S8_S4_PS3_21rocsparse_index_base_b
    .private_segment_fixed_size: 0
    .sgpr_count:     24
    .sgpr_spill_count: 0
    .symbol:         _ZN9rocsparseL19gebsrmvn_2xn_kernelILj128ELj1ELj4EdEEvi20rocsparse_direction_NS_24const_host_device_scalarIT2_EEPKiS6_PKS3_S8_S4_PS3_21rocsparse_index_base_b.kd
    .uniform_work_group_size: 1
    .uses_dynamic_stack: false
    .vgpr_count:     24
    .vgpr_spill_count: 0
    .wavefront_size: 64
  - .agpr_count:     0
    .args:
      - .offset:         0
        .size:           4
        .value_kind:     by_value
      - .offset:         4
        .size:           4
        .value_kind:     by_value
      - .offset:         8
        .size:           8
        .value_kind:     by_value
      - .actual_access:  read_only
        .address_space:  global
        .offset:         16
        .size:           8
        .value_kind:     global_buffer
      - .actual_access:  read_only
        .address_space:  global
        .offset:         24
        .size:           8
        .value_kind:     global_buffer
      - .actual_access:  read_only
        .address_space:  global
        .offset:         32
        .size:           8
        .value_kind:     global_buffer
      - .actual_access:  read_only
        .address_space:  global
        .offset:         40
        .size:           8
        .value_kind:     global_buffer
      - .offset:         48
        .size:           8
        .value_kind:     by_value
      - .address_space:  global
        .offset:         56
        .size:           8
        .value_kind:     global_buffer
      - .offset:         64
        .size:           4
        .value_kind:     by_value
      - .offset:         68
        .size:           1
        .value_kind:     by_value
    .group_segment_fixed_size: 0
    .kernarg_segment_align: 8
    .kernarg_segment_size: 72
    .language:       OpenCL C
    .language_version:
      - 2
      - 0
    .max_flat_workgroup_size: 128
    .name:           _ZN9rocsparseL19gebsrmvn_2xn_kernelILj128ELj1ELj8EdEEvi20rocsparse_direction_NS_24const_host_device_scalarIT2_EEPKiS6_PKS3_S8_S4_PS3_21rocsparse_index_base_b
    .private_segment_fixed_size: 0
    .sgpr_count:     24
    .sgpr_spill_count: 0
    .symbol:         _ZN9rocsparseL19gebsrmvn_2xn_kernelILj128ELj1ELj8EdEEvi20rocsparse_direction_NS_24const_host_device_scalarIT2_EEPKiS6_PKS3_S8_S4_PS3_21rocsparse_index_base_b.kd
    .uniform_work_group_size: 1
    .uses_dynamic_stack: false
    .vgpr_count:     24
    .vgpr_spill_count: 0
    .wavefront_size: 64
  - .agpr_count:     0
    .args:
      - .offset:         0
        .size:           4
        .value_kind:     by_value
      - .offset:         4
        .size:           4
        .value_kind:     by_value
      - .offset:         8
        .size:           8
        .value_kind:     by_value
      - .actual_access:  read_only
        .address_space:  global
        .offset:         16
        .size:           8
        .value_kind:     global_buffer
      - .actual_access:  read_only
        .address_space:  global
        .offset:         24
        .size:           8
        .value_kind:     global_buffer
      - .actual_access:  read_only
        .address_space:  global
        .offset:         32
        .size:           8
        .value_kind:     global_buffer
      - .actual_access:  read_only
        .address_space:  global
        .offset:         40
        .size:           8
        .value_kind:     global_buffer
      - .offset:         48
        .size:           8
        .value_kind:     by_value
      - .address_space:  global
        .offset:         56
        .size:           8
        .value_kind:     global_buffer
      - .offset:         64
        .size:           4
        .value_kind:     by_value
      - .offset:         68
        .size:           1
        .value_kind:     by_value
    .group_segment_fixed_size: 0
    .kernarg_segment_align: 8
    .kernarg_segment_size: 72
    .language:       OpenCL C
    .language_version:
      - 2
      - 0
    .max_flat_workgroup_size: 128
    .name:           _ZN9rocsparseL19gebsrmvn_2xn_kernelILj128ELj1ELj16EdEEvi20rocsparse_direction_NS_24const_host_device_scalarIT2_EEPKiS6_PKS3_S8_S4_PS3_21rocsparse_index_base_b
    .private_segment_fixed_size: 0
    .sgpr_count:     24
    .sgpr_spill_count: 0
    .symbol:         _ZN9rocsparseL19gebsrmvn_2xn_kernelILj128ELj1ELj16EdEEvi20rocsparse_direction_NS_24const_host_device_scalarIT2_EEPKiS6_PKS3_S8_S4_PS3_21rocsparse_index_base_b.kd
    .uniform_work_group_size: 1
    .uses_dynamic_stack: false
    .vgpr_count:     24
    .vgpr_spill_count: 0
    .wavefront_size: 64
  - .agpr_count:     0
    .args:
      - .offset:         0
        .size:           4
        .value_kind:     by_value
      - .offset:         4
        .size:           4
        .value_kind:     by_value
      - .offset:         8
        .size:           8
        .value_kind:     by_value
      - .actual_access:  read_only
        .address_space:  global
        .offset:         16
        .size:           8
        .value_kind:     global_buffer
      - .actual_access:  read_only
        .address_space:  global
        .offset:         24
        .size:           8
        .value_kind:     global_buffer
      - .actual_access:  read_only
        .address_space:  global
        .offset:         32
        .size:           8
        .value_kind:     global_buffer
      - .actual_access:  read_only
        .address_space:  global
        .offset:         40
        .size:           8
        .value_kind:     global_buffer
      - .offset:         48
        .size:           8
        .value_kind:     by_value
      - .address_space:  global
        .offset:         56
        .size:           8
        .value_kind:     global_buffer
      - .offset:         64
        .size:           4
        .value_kind:     by_value
      - .offset:         68
        .size:           1
        .value_kind:     by_value
    .group_segment_fixed_size: 0
    .kernarg_segment_align: 8
    .kernarg_segment_size: 72
    .language:       OpenCL C
    .language_version:
      - 2
      - 0
    .max_flat_workgroup_size: 128
    .name:           _ZN9rocsparseL19gebsrmvn_2xn_kernelILj128ELj1ELj32EdEEvi20rocsparse_direction_NS_24const_host_device_scalarIT2_EEPKiS6_PKS3_S8_S4_PS3_21rocsparse_index_base_b
    .private_segment_fixed_size: 0
    .sgpr_count:     24
    .sgpr_spill_count: 0
    .symbol:         _ZN9rocsparseL19gebsrmvn_2xn_kernelILj128ELj1ELj32EdEEvi20rocsparse_direction_NS_24const_host_device_scalarIT2_EEPKiS6_PKS3_S8_S4_PS3_21rocsparse_index_base_b.kd
    .uniform_work_group_size: 1
    .uses_dynamic_stack: false
    .vgpr_count:     24
    .vgpr_spill_count: 0
    .wavefront_size: 64
  - .agpr_count:     0
    .args:
      - .offset:         0
        .size:           4
        .value_kind:     by_value
      - .offset:         4
        .size:           4
        .value_kind:     by_value
      - .offset:         8
        .size:           8
        .value_kind:     by_value
      - .actual_access:  read_only
        .address_space:  global
        .offset:         16
        .size:           8
        .value_kind:     global_buffer
      - .actual_access:  read_only
        .address_space:  global
        .offset:         24
        .size:           8
        .value_kind:     global_buffer
      - .actual_access:  read_only
        .address_space:  global
        .offset:         32
        .size:           8
        .value_kind:     global_buffer
      - .actual_access:  read_only
        .address_space:  global
        .offset:         40
        .size:           8
        .value_kind:     global_buffer
      - .offset:         48
        .size:           8
        .value_kind:     by_value
      - .address_space:  global
        .offset:         56
        .size:           8
        .value_kind:     global_buffer
      - .offset:         64
        .size:           4
        .value_kind:     by_value
      - .offset:         68
        .size:           1
        .value_kind:     by_value
    .group_segment_fixed_size: 0
    .kernarg_segment_align: 8
    .kernarg_segment_size: 72
    .language:       OpenCL C
    .language_version:
      - 2
      - 0
    .max_flat_workgroup_size: 128
    .name:           _ZN9rocsparseL19gebsrmvn_2xn_kernelILj128ELj1ELj64EdEEvi20rocsparse_direction_NS_24const_host_device_scalarIT2_EEPKiS6_PKS3_S8_S4_PS3_21rocsparse_index_base_b
    .private_segment_fixed_size: 0
    .sgpr_count:     24
    .sgpr_spill_count: 0
    .symbol:         _ZN9rocsparseL19gebsrmvn_2xn_kernelILj128ELj1ELj64EdEEvi20rocsparse_direction_NS_24const_host_device_scalarIT2_EEPKiS6_PKS3_S8_S4_PS3_21rocsparse_index_base_b.kd
    .uniform_work_group_size: 1
    .uses_dynamic_stack: false
    .vgpr_count:     24
    .vgpr_spill_count: 0
    .wavefront_size: 64
  - .agpr_count:     0
    .args:
      - .offset:         0
        .size:           4
        .value_kind:     by_value
      - .offset:         4
        .size:           4
        .value_kind:     by_value
      - .offset:         8
        .size:           8
        .value_kind:     by_value
      - .actual_access:  read_only
        .address_space:  global
        .offset:         16
        .size:           8
        .value_kind:     global_buffer
      - .actual_access:  read_only
        .address_space:  global
        .offset:         24
        .size:           8
        .value_kind:     global_buffer
      - .actual_access:  read_only
        .address_space:  global
        .offset:         32
        .size:           8
        .value_kind:     global_buffer
      - .actual_access:  read_only
        .address_space:  global
        .offset:         40
        .size:           8
        .value_kind:     global_buffer
      - .offset:         48
        .size:           8
        .value_kind:     by_value
      - .address_space:  global
        .offset:         56
        .size:           8
        .value_kind:     global_buffer
      - .offset:         64
        .size:           4
        .value_kind:     by_value
      - .offset:         68
        .size:           1
        .value_kind:     by_value
    .group_segment_fixed_size: 0
    .kernarg_segment_align: 8
    .kernarg_segment_size: 72
    .language:       OpenCL C
    .language_version:
      - 2
      - 0
    .max_flat_workgroup_size: 128
    .name:           _ZN9rocsparseL19gebsrmvn_2xn_kernelILj128ELj3ELj4EdEEvi20rocsparse_direction_NS_24const_host_device_scalarIT2_EEPKiS6_PKS3_S8_S4_PS3_21rocsparse_index_base_b
    .private_segment_fixed_size: 0
    .sgpr_count:     24
    .sgpr_spill_count: 0
    .symbol:         _ZN9rocsparseL19gebsrmvn_2xn_kernelILj128ELj3ELj4EdEEvi20rocsparse_direction_NS_24const_host_device_scalarIT2_EEPKiS6_PKS3_S8_S4_PS3_21rocsparse_index_base_b.kd
    .uniform_work_group_size: 1
    .uses_dynamic_stack: false
    .vgpr_count:     40
    .vgpr_spill_count: 0
    .wavefront_size: 64
  - .agpr_count:     0
    .args:
      - .offset:         0
        .size:           4
        .value_kind:     by_value
      - .offset:         4
        .size:           4
        .value_kind:     by_value
      - .offset:         8
        .size:           8
        .value_kind:     by_value
      - .actual_access:  read_only
        .address_space:  global
        .offset:         16
        .size:           8
        .value_kind:     global_buffer
      - .actual_access:  read_only
        .address_space:  global
        .offset:         24
        .size:           8
        .value_kind:     global_buffer
      - .actual_access:  read_only
        .address_space:  global
        .offset:         32
        .size:           8
        .value_kind:     global_buffer
      - .actual_access:  read_only
        .address_space:  global
        .offset:         40
        .size:           8
        .value_kind:     global_buffer
      - .offset:         48
        .size:           8
        .value_kind:     by_value
      - .address_space:  global
        .offset:         56
        .size:           8
        .value_kind:     global_buffer
      - .offset:         64
        .size:           4
        .value_kind:     by_value
      - .offset:         68
        .size:           1
        .value_kind:     by_value
    .group_segment_fixed_size: 0
    .kernarg_segment_align: 8
    .kernarg_segment_size: 72
    .language:       OpenCL C
    .language_version:
      - 2
      - 0
    .max_flat_workgroup_size: 128
    .name:           _ZN9rocsparseL19gebsrmvn_2xn_kernelILj128ELj3ELj8EdEEvi20rocsparse_direction_NS_24const_host_device_scalarIT2_EEPKiS6_PKS3_S8_S4_PS3_21rocsparse_index_base_b
    .private_segment_fixed_size: 0
    .sgpr_count:     24
    .sgpr_spill_count: 0
    .symbol:         _ZN9rocsparseL19gebsrmvn_2xn_kernelILj128ELj3ELj8EdEEvi20rocsparse_direction_NS_24const_host_device_scalarIT2_EEPKiS6_PKS3_S8_S4_PS3_21rocsparse_index_base_b.kd
    .uniform_work_group_size: 1
    .uses_dynamic_stack: false
    .vgpr_count:     40
    .vgpr_spill_count: 0
    .wavefront_size: 64
  - .agpr_count:     0
    .args:
      - .offset:         0
        .size:           4
        .value_kind:     by_value
      - .offset:         4
        .size:           4
        .value_kind:     by_value
      - .offset:         8
        .size:           8
        .value_kind:     by_value
      - .actual_access:  read_only
        .address_space:  global
        .offset:         16
        .size:           8
        .value_kind:     global_buffer
      - .actual_access:  read_only
        .address_space:  global
        .offset:         24
        .size:           8
        .value_kind:     global_buffer
      - .actual_access:  read_only
        .address_space:  global
        .offset:         32
        .size:           8
        .value_kind:     global_buffer
      - .actual_access:  read_only
        .address_space:  global
        .offset:         40
        .size:           8
        .value_kind:     global_buffer
      - .offset:         48
        .size:           8
        .value_kind:     by_value
      - .address_space:  global
        .offset:         56
        .size:           8
        .value_kind:     global_buffer
      - .offset:         64
        .size:           4
        .value_kind:     by_value
      - .offset:         68
        .size:           1
        .value_kind:     by_value
    .group_segment_fixed_size: 0
    .kernarg_segment_align: 8
    .kernarg_segment_size: 72
    .language:       OpenCL C
    .language_version:
      - 2
      - 0
    .max_flat_workgroup_size: 128
    .name:           _ZN9rocsparseL19gebsrmvn_2xn_kernelILj128ELj3ELj16EdEEvi20rocsparse_direction_NS_24const_host_device_scalarIT2_EEPKiS6_PKS3_S8_S4_PS3_21rocsparse_index_base_b
    .private_segment_fixed_size: 0
    .sgpr_count:     24
    .sgpr_spill_count: 0
    .symbol:         _ZN9rocsparseL19gebsrmvn_2xn_kernelILj128ELj3ELj16EdEEvi20rocsparse_direction_NS_24const_host_device_scalarIT2_EEPKiS6_PKS3_S8_S4_PS3_21rocsparse_index_base_b.kd
    .uniform_work_group_size: 1
    .uses_dynamic_stack: false
    .vgpr_count:     40
    .vgpr_spill_count: 0
    .wavefront_size: 64
  - .agpr_count:     0
    .args:
      - .offset:         0
        .size:           4
        .value_kind:     by_value
      - .offset:         4
        .size:           4
        .value_kind:     by_value
      - .offset:         8
        .size:           8
        .value_kind:     by_value
      - .actual_access:  read_only
        .address_space:  global
        .offset:         16
        .size:           8
        .value_kind:     global_buffer
      - .actual_access:  read_only
        .address_space:  global
        .offset:         24
        .size:           8
        .value_kind:     global_buffer
      - .actual_access:  read_only
        .address_space:  global
        .offset:         32
        .size:           8
        .value_kind:     global_buffer
      - .actual_access:  read_only
        .address_space:  global
        .offset:         40
        .size:           8
        .value_kind:     global_buffer
      - .offset:         48
        .size:           8
        .value_kind:     by_value
      - .address_space:  global
        .offset:         56
        .size:           8
        .value_kind:     global_buffer
      - .offset:         64
        .size:           4
        .value_kind:     by_value
      - .offset:         68
        .size:           1
        .value_kind:     by_value
    .group_segment_fixed_size: 0
    .kernarg_segment_align: 8
    .kernarg_segment_size: 72
    .language:       OpenCL C
    .language_version:
      - 2
      - 0
    .max_flat_workgroup_size: 128
    .name:           _ZN9rocsparseL19gebsrmvn_2xn_kernelILj128ELj3ELj32EdEEvi20rocsparse_direction_NS_24const_host_device_scalarIT2_EEPKiS6_PKS3_S8_S4_PS3_21rocsparse_index_base_b
    .private_segment_fixed_size: 0
    .sgpr_count:     24
    .sgpr_spill_count: 0
    .symbol:         _ZN9rocsparseL19gebsrmvn_2xn_kernelILj128ELj3ELj32EdEEvi20rocsparse_direction_NS_24const_host_device_scalarIT2_EEPKiS6_PKS3_S8_S4_PS3_21rocsparse_index_base_b.kd
    .uniform_work_group_size: 1
    .uses_dynamic_stack: false
    .vgpr_count:     40
    .vgpr_spill_count: 0
    .wavefront_size: 64
  - .agpr_count:     0
    .args:
      - .offset:         0
        .size:           4
        .value_kind:     by_value
      - .offset:         4
        .size:           4
        .value_kind:     by_value
      - .offset:         8
        .size:           8
        .value_kind:     by_value
      - .actual_access:  read_only
        .address_space:  global
        .offset:         16
        .size:           8
        .value_kind:     global_buffer
      - .actual_access:  read_only
        .address_space:  global
        .offset:         24
        .size:           8
        .value_kind:     global_buffer
      - .actual_access:  read_only
        .address_space:  global
        .offset:         32
        .size:           8
        .value_kind:     global_buffer
      - .actual_access:  read_only
        .address_space:  global
        .offset:         40
        .size:           8
        .value_kind:     global_buffer
      - .offset:         48
        .size:           8
        .value_kind:     by_value
      - .address_space:  global
        .offset:         56
        .size:           8
        .value_kind:     global_buffer
      - .offset:         64
        .size:           4
        .value_kind:     by_value
      - .offset:         68
        .size:           1
        .value_kind:     by_value
    .group_segment_fixed_size: 0
    .kernarg_segment_align: 8
    .kernarg_segment_size: 72
    .language:       OpenCL C
    .language_version:
      - 2
      - 0
    .max_flat_workgroup_size: 128
    .name:           _ZN9rocsparseL19gebsrmvn_2xn_kernelILj128ELj3ELj64EdEEvi20rocsparse_direction_NS_24const_host_device_scalarIT2_EEPKiS6_PKS3_S8_S4_PS3_21rocsparse_index_base_b
    .private_segment_fixed_size: 0
    .sgpr_count:     24
    .sgpr_spill_count: 0
    .symbol:         _ZN9rocsparseL19gebsrmvn_2xn_kernelILj128ELj3ELj64EdEEvi20rocsparse_direction_NS_24const_host_device_scalarIT2_EEPKiS6_PKS3_S8_S4_PS3_21rocsparse_index_base_b.kd
    .uniform_work_group_size: 1
    .uses_dynamic_stack: false
    .vgpr_count:     40
    .vgpr_spill_count: 0
    .wavefront_size: 64
  - .agpr_count:     0
    .args:
      - .offset:         0
        .size:           4
        .value_kind:     by_value
      - .offset:         4
        .size:           4
        .value_kind:     by_value
      - .offset:         8
        .size:           8
        .value_kind:     by_value
      - .actual_access:  read_only
        .address_space:  global
        .offset:         16
        .size:           8
        .value_kind:     global_buffer
      - .actual_access:  read_only
        .address_space:  global
        .offset:         24
        .size:           8
        .value_kind:     global_buffer
      - .actual_access:  read_only
        .address_space:  global
        .offset:         32
        .size:           8
        .value_kind:     global_buffer
      - .actual_access:  read_only
        .address_space:  global
        .offset:         40
        .size:           8
        .value_kind:     global_buffer
      - .offset:         48
        .size:           8
        .value_kind:     by_value
      - .address_space:  global
        .offset:         56
        .size:           8
        .value_kind:     global_buffer
      - .offset:         64
        .size:           4
        .value_kind:     by_value
      - .offset:         68
        .size:           1
        .value_kind:     by_value
    .group_segment_fixed_size: 0
    .kernarg_segment_align: 8
    .kernarg_segment_size: 72
    .language:       OpenCL C
    .language_version:
      - 2
      - 0
    .max_flat_workgroup_size: 128
    .name:           _ZN9rocsparseL19gebsrmvn_2xn_kernelILj128ELj4ELj4EdEEvi20rocsparse_direction_NS_24const_host_device_scalarIT2_EEPKiS6_PKS3_S8_S4_PS3_21rocsparse_index_base_b
    .private_segment_fixed_size: 0
    .sgpr_count:     24
    .sgpr_spill_count: 0
    .symbol:         _ZN9rocsparseL19gebsrmvn_2xn_kernelILj128ELj4ELj4EdEEvi20rocsparse_direction_NS_24const_host_device_scalarIT2_EEPKiS6_PKS3_S8_S4_PS3_21rocsparse_index_base_b.kd
    .uniform_work_group_size: 1
    .uses_dynamic_stack: false
    .vgpr_count:     46
    .vgpr_spill_count: 0
    .wavefront_size: 64
  - .agpr_count:     0
    .args:
      - .offset:         0
        .size:           4
        .value_kind:     by_value
      - .offset:         4
        .size:           4
        .value_kind:     by_value
      - .offset:         8
        .size:           8
        .value_kind:     by_value
      - .actual_access:  read_only
        .address_space:  global
        .offset:         16
        .size:           8
        .value_kind:     global_buffer
      - .actual_access:  read_only
        .address_space:  global
        .offset:         24
        .size:           8
        .value_kind:     global_buffer
      - .actual_access:  read_only
        .address_space:  global
        .offset:         32
        .size:           8
        .value_kind:     global_buffer
      - .actual_access:  read_only
        .address_space:  global
        .offset:         40
        .size:           8
        .value_kind:     global_buffer
      - .offset:         48
        .size:           8
        .value_kind:     by_value
      - .address_space:  global
        .offset:         56
        .size:           8
        .value_kind:     global_buffer
      - .offset:         64
        .size:           4
        .value_kind:     by_value
      - .offset:         68
        .size:           1
        .value_kind:     by_value
    .group_segment_fixed_size: 0
    .kernarg_segment_align: 8
    .kernarg_segment_size: 72
    .language:       OpenCL C
    .language_version:
      - 2
      - 0
    .max_flat_workgroup_size: 128
    .name:           _ZN9rocsparseL19gebsrmvn_2xn_kernelILj128ELj4ELj8EdEEvi20rocsparse_direction_NS_24const_host_device_scalarIT2_EEPKiS6_PKS3_S8_S4_PS3_21rocsparse_index_base_b
    .private_segment_fixed_size: 0
    .sgpr_count:     24
    .sgpr_spill_count: 0
    .symbol:         _ZN9rocsparseL19gebsrmvn_2xn_kernelILj128ELj4ELj8EdEEvi20rocsparse_direction_NS_24const_host_device_scalarIT2_EEPKiS6_PKS3_S8_S4_PS3_21rocsparse_index_base_b.kd
    .uniform_work_group_size: 1
    .uses_dynamic_stack: false
    .vgpr_count:     46
    .vgpr_spill_count: 0
    .wavefront_size: 64
  - .agpr_count:     0
    .args:
      - .offset:         0
        .size:           4
        .value_kind:     by_value
      - .offset:         4
        .size:           4
        .value_kind:     by_value
      - .offset:         8
        .size:           8
        .value_kind:     by_value
      - .actual_access:  read_only
        .address_space:  global
        .offset:         16
        .size:           8
        .value_kind:     global_buffer
      - .actual_access:  read_only
        .address_space:  global
        .offset:         24
        .size:           8
        .value_kind:     global_buffer
      - .actual_access:  read_only
        .address_space:  global
        .offset:         32
        .size:           8
        .value_kind:     global_buffer
      - .actual_access:  read_only
        .address_space:  global
        .offset:         40
        .size:           8
        .value_kind:     global_buffer
      - .offset:         48
        .size:           8
        .value_kind:     by_value
      - .address_space:  global
        .offset:         56
        .size:           8
        .value_kind:     global_buffer
      - .offset:         64
        .size:           4
        .value_kind:     by_value
      - .offset:         68
        .size:           1
        .value_kind:     by_value
    .group_segment_fixed_size: 0
    .kernarg_segment_align: 8
    .kernarg_segment_size: 72
    .language:       OpenCL C
    .language_version:
      - 2
      - 0
    .max_flat_workgroup_size: 128
    .name:           _ZN9rocsparseL19gebsrmvn_2xn_kernelILj128ELj4ELj16EdEEvi20rocsparse_direction_NS_24const_host_device_scalarIT2_EEPKiS6_PKS3_S8_S4_PS3_21rocsparse_index_base_b
    .private_segment_fixed_size: 0
    .sgpr_count:     24
    .sgpr_spill_count: 0
    .symbol:         _ZN9rocsparseL19gebsrmvn_2xn_kernelILj128ELj4ELj16EdEEvi20rocsparse_direction_NS_24const_host_device_scalarIT2_EEPKiS6_PKS3_S8_S4_PS3_21rocsparse_index_base_b.kd
    .uniform_work_group_size: 1
    .uses_dynamic_stack: false
    .vgpr_count:     46
    .vgpr_spill_count: 0
    .wavefront_size: 64
  - .agpr_count:     0
    .args:
      - .offset:         0
        .size:           4
        .value_kind:     by_value
      - .offset:         4
        .size:           4
        .value_kind:     by_value
      - .offset:         8
        .size:           8
        .value_kind:     by_value
      - .actual_access:  read_only
        .address_space:  global
        .offset:         16
        .size:           8
        .value_kind:     global_buffer
      - .actual_access:  read_only
        .address_space:  global
        .offset:         24
        .size:           8
        .value_kind:     global_buffer
      - .actual_access:  read_only
        .address_space:  global
        .offset:         32
        .size:           8
        .value_kind:     global_buffer
      - .actual_access:  read_only
        .address_space:  global
        .offset:         40
        .size:           8
        .value_kind:     global_buffer
      - .offset:         48
        .size:           8
        .value_kind:     by_value
      - .address_space:  global
        .offset:         56
        .size:           8
        .value_kind:     global_buffer
      - .offset:         64
        .size:           4
        .value_kind:     by_value
      - .offset:         68
        .size:           1
        .value_kind:     by_value
    .group_segment_fixed_size: 0
    .kernarg_segment_align: 8
    .kernarg_segment_size: 72
    .language:       OpenCL C
    .language_version:
      - 2
      - 0
    .max_flat_workgroup_size: 128
    .name:           _ZN9rocsparseL19gebsrmvn_2xn_kernelILj128ELj4ELj32EdEEvi20rocsparse_direction_NS_24const_host_device_scalarIT2_EEPKiS6_PKS3_S8_S4_PS3_21rocsparse_index_base_b
    .private_segment_fixed_size: 0
    .sgpr_count:     24
    .sgpr_spill_count: 0
    .symbol:         _ZN9rocsparseL19gebsrmvn_2xn_kernelILj128ELj4ELj32EdEEvi20rocsparse_direction_NS_24const_host_device_scalarIT2_EEPKiS6_PKS3_S8_S4_PS3_21rocsparse_index_base_b.kd
    .uniform_work_group_size: 1
    .uses_dynamic_stack: false
    .vgpr_count:     46
    .vgpr_spill_count: 0
    .wavefront_size: 64
  - .agpr_count:     0
    .args:
      - .offset:         0
        .size:           4
        .value_kind:     by_value
      - .offset:         4
        .size:           4
        .value_kind:     by_value
      - .offset:         8
        .size:           8
        .value_kind:     by_value
      - .actual_access:  read_only
        .address_space:  global
        .offset:         16
        .size:           8
        .value_kind:     global_buffer
      - .actual_access:  read_only
        .address_space:  global
        .offset:         24
        .size:           8
        .value_kind:     global_buffer
      - .actual_access:  read_only
        .address_space:  global
        .offset:         32
        .size:           8
        .value_kind:     global_buffer
      - .actual_access:  read_only
        .address_space:  global
        .offset:         40
        .size:           8
        .value_kind:     global_buffer
      - .offset:         48
        .size:           8
        .value_kind:     by_value
      - .address_space:  global
        .offset:         56
        .size:           8
        .value_kind:     global_buffer
      - .offset:         64
        .size:           4
        .value_kind:     by_value
      - .offset:         68
        .size:           1
        .value_kind:     by_value
    .group_segment_fixed_size: 0
    .kernarg_segment_align: 8
    .kernarg_segment_size: 72
    .language:       OpenCL C
    .language_version:
      - 2
      - 0
    .max_flat_workgroup_size: 128
    .name:           _ZN9rocsparseL19gebsrmvn_2xn_kernelILj128ELj4ELj64EdEEvi20rocsparse_direction_NS_24const_host_device_scalarIT2_EEPKiS6_PKS3_S8_S4_PS3_21rocsparse_index_base_b
    .private_segment_fixed_size: 0
    .sgpr_count:     24
    .sgpr_spill_count: 0
    .symbol:         _ZN9rocsparseL19gebsrmvn_2xn_kernelILj128ELj4ELj64EdEEvi20rocsparse_direction_NS_24const_host_device_scalarIT2_EEPKiS6_PKS3_S8_S4_PS3_21rocsparse_index_base_b.kd
    .uniform_work_group_size: 1
    .uses_dynamic_stack: false
    .vgpr_count:     46
    .vgpr_spill_count: 0
    .wavefront_size: 64
  - .agpr_count:     0
    .args:
      - .offset:         0
        .size:           4
        .value_kind:     by_value
      - .offset:         4
        .size:           4
        .value_kind:     by_value
      - .offset:         8
        .size:           8
        .value_kind:     by_value
      - .actual_access:  read_only
        .address_space:  global
        .offset:         16
        .size:           8
        .value_kind:     global_buffer
      - .actual_access:  read_only
        .address_space:  global
        .offset:         24
        .size:           8
        .value_kind:     global_buffer
      - .actual_access:  read_only
        .address_space:  global
        .offset:         32
        .size:           8
        .value_kind:     global_buffer
      - .actual_access:  read_only
        .address_space:  global
        .offset:         40
        .size:           8
        .value_kind:     global_buffer
      - .offset:         48
        .size:           8
        .value_kind:     by_value
      - .address_space:  global
        .offset:         56
        .size:           8
        .value_kind:     global_buffer
      - .offset:         64
        .size:           4
        .value_kind:     by_value
      - .offset:         68
        .size:           1
        .value_kind:     by_value
    .group_segment_fixed_size: 0
    .kernarg_segment_align: 8
    .kernarg_segment_size: 72
    .language:       OpenCL C
    .language_version:
      - 2
      - 0
    .max_flat_workgroup_size: 128
    .name:           _ZN9rocsparseL19gebsrmvn_2xn_kernelILj128ELj5ELj4EdEEvi20rocsparse_direction_NS_24const_host_device_scalarIT2_EEPKiS6_PKS3_S8_S4_PS3_21rocsparse_index_base_b
    .private_segment_fixed_size: 0
    .sgpr_count:     24
    .sgpr_spill_count: 0
    .symbol:         _ZN9rocsparseL19gebsrmvn_2xn_kernelILj128ELj5ELj4EdEEvi20rocsparse_direction_NS_24const_host_device_scalarIT2_EEPKiS6_PKS3_S8_S4_PS3_21rocsparse_index_base_b.kd
    .uniform_work_group_size: 1
    .uses_dynamic_stack: false
    .vgpr_count:     50
    .vgpr_spill_count: 0
    .wavefront_size: 64
  - .agpr_count:     0
    .args:
      - .offset:         0
        .size:           4
        .value_kind:     by_value
      - .offset:         4
        .size:           4
        .value_kind:     by_value
      - .offset:         8
        .size:           8
        .value_kind:     by_value
      - .actual_access:  read_only
        .address_space:  global
        .offset:         16
        .size:           8
        .value_kind:     global_buffer
      - .actual_access:  read_only
        .address_space:  global
        .offset:         24
        .size:           8
        .value_kind:     global_buffer
      - .actual_access:  read_only
        .address_space:  global
        .offset:         32
        .size:           8
        .value_kind:     global_buffer
      - .actual_access:  read_only
        .address_space:  global
        .offset:         40
        .size:           8
        .value_kind:     global_buffer
      - .offset:         48
        .size:           8
        .value_kind:     by_value
      - .address_space:  global
        .offset:         56
        .size:           8
        .value_kind:     global_buffer
      - .offset:         64
        .size:           4
        .value_kind:     by_value
      - .offset:         68
        .size:           1
        .value_kind:     by_value
    .group_segment_fixed_size: 0
    .kernarg_segment_align: 8
    .kernarg_segment_size: 72
    .language:       OpenCL C
    .language_version:
      - 2
      - 0
    .max_flat_workgroup_size: 128
    .name:           _ZN9rocsparseL19gebsrmvn_2xn_kernelILj128ELj5ELj8EdEEvi20rocsparse_direction_NS_24const_host_device_scalarIT2_EEPKiS6_PKS3_S8_S4_PS3_21rocsparse_index_base_b
    .private_segment_fixed_size: 0
    .sgpr_count:     24
    .sgpr_spill_count: 0
    .symbol:         _ZN9rocsparseL19gebsrmvn_2xn_kernelILj128ELj5ELj8EdEEvi20rocsparse_direction_NS_24const_host_device_scalarIT2_EEPKiS6_PKS3_S8_S4_PS3_21rocsparse_index_base_b.kd
    .uniform_work_group_size: 1
    .uses_dynamic_stack: false
    .vgpr_count:     50
    .vgpr_spill_count: 0
    .wavefront_size: 64
  - .agpr_count:     0
    .args:
      - .offset:         0
        .size:           4
        .value_kind:     by_value
      - .offset:         4
        .size:           4
        .value_kind:     by_value
      - .offset:         8
        .size:           8
        .value_kind:     by_value
      - .actual_access:  read_only
        .address_space:  global
        .offset:         16
        .size:           8
        .value_kind:     global_buffer
      - .actual_access:  read_only
        .address_space:  global
        .offset:         24
        .size:           8
        .value_kind:     global_buffer
      - .actual_access:  read_only
        .address_space:  global
        .offset:         32
        .size:           8
        .value_kind:     global_buffer
      - .actual_access:  read_only
        .address_space:  global
        .offset:         40
        .size:           8
        .value_kind:     global_buffer
      - .offset:         48
        .size:           8
        .value_kind:     by_value
      - .address_space:  global
        .offset:         56
        .size:           8
        .value_kind:     global_buffer
      - .offset:         64
        .size:           4
        .value_kind:     by_value
      - .offset:         68
        .size:           1
        .value_kind:     by_value
    .group_segment_fixed_size: 0
    .kernarg_segment_align: 8
    .kernarg_segment_size: 72
    .language:       OpenCL C
    .language_version:
      - 2
      - 0
    .max_flat_workgroup_size: 128
    .name:           _ZN9rocsparseL19gebsrmvn_2xn_kernelILj128ELj5ELj16EdEEvi20rocsparse_direction_NS_24const_host_device_scalarIT2_EEPKiS6_PKS3_S8_S4_PS3_21rocsparse_index_base_b
    .private_segment_fixed_size: 0
    .sgpr_count:     24
    .sgpr_spill_count: 0
    .symbol:         _ZN9rocsparseL19gebsrmvn_2xn_kernelILj128ELj5ELj16EdEEvi20rocsparse_direction_NS_24const_host_device_scalarIT2_EEPKiS6_PKS3_S8_S4_PS3_21rocsparse_index_base_b.kd
    .uniform_work_group_size: 1
    .uses_dynamic_stack: false
    .vgpr_count:     50
    .vgpr_spill_count: 0
    .wavefront_size: 64
  - .agpr_count:     0
    .args:
      - .offset:         0
        .size:           4
        .value_kind:     by_value
      - .offset:         4
        .size:           4
        .value_kind:     by_value
      - .offset:         8
        .size:           8
        .value_kind:     by_value
      - .actual_access:  read_only
        .address_space:  global
        .offset:         16
        .size:           8
        .value_kind:     global_buffer
      - .actual_access:  read_only
        .address_space:  global
        .offset:         24
        .size:           8
        .value_kind:     global_buffer
      - .actual_access:  read_only
        .address_space:  global
        .offset:         32
        .size:           8
        .value_kind:     global_buffer
      - .actual_access:  read_only
        .address_space:  global
        .offset:         40
        .size:           8
        .value_kind:     global_buffer
      - .offset:         48
        .size:           8
        .value_kind:     by_value
      - .address_space:  global
        .offset:         56
        .size:           8
        .value_kind:     global_buffer
      - .offset:         64
        .size:           4
        .value_kind:     by_value
      - .offset:         68
        .size:           1
        .value_kind:     by_value
    .group_segment_fixed_size: 0
    .kernarg_segment_align: 8
    .kernarg_segment_size: 72
    .language:       OpenCL C
    .language_version:
      - 2
      - 0
    .max_flat_workgroup_size: 128
    .name:           _ZN9rocsparseL19gebsrmvn_2xn_kernelILj128ELj5ELj32EdEEvi20rocsparse_direction_NS_24const_host_device_scalarIT2_EEPKiS6_PKS3_S8_S4_PS3_21rocsparse_index_base_b
    .private_segment_fixed_size: 0
    .sgpr_count:     24
    .sgpr_spill_count: 0
    .symbol:         _ZN9rocsparseL19gebsrmvn_2xn_kernelILj128ELj5ELj32EdEEvi20rocsparse_direction_NS_24const_host_device_scalarIT2_EEPKiS6_PKS3_S8_S4_PS3_21rocsparse_index_base_b.kd
    .uniform_work_group_size: 1
    .uses_dynamic_stack: false
    .vgpr_count:     50
    .vgpr_spill_count: 0
    .wavefront_size: 64
  - .agpr_count:     0
    .args:
      - .offset:         0
        .size:           4
        .value_kind:     by_value
      - .offset:         4
        .size:           4
        .value_kind:     by_value
      - .offset:         8
        .size:           8
        .value_kind:     by_value
      - .actual_access:  read_only
        .address_space:  global
        .offset:         16
        .size:           8
        .value_kind:     global_buffer
      - .actual_access:  read_only
        .address_space:  global
        .offset:         24
        .size:           8
        .value_kind:     global_buffer
      - .actual_access:  read_only
        .address_space:  global
        .offset:         32
        .size:           8
        .value_kind:     global_buffer
      - .actual_access:  read_only
        .address_space:  global
        .offset:         40
        .size:           8
        .value_kind:     global_buffer
      - .offset:         48
        .size:           8
        .value_kind:     by_value
      - .address_space:  global
        .offset:         56
        .size:           8
        .value_kind:     global_buffer
      - .offset:         64
        .size:           4
        .value_kind:     by_value
      - .offset:         68
        .size:           1
        .value_kind:     by_value
    .group_segment_fixed_size: 0
    .kernarg_segment_align: 8
    .kernarg_segment_size: 72
    .language:       OpenCL C
    .language_version:
      - 2
      - 0
    .max_flat_workgroup_size: 128
    .name:           _ZN9rocsparseL19gebsrmvn_2xn_kernelILj128ELj5ELj64EdEEvi20rocsparse_direction_NS_24const_host_device_scalarIT2_EEPKiS6_PKS3_S8_S4_PS3_21rocsparse_index_base_b
    .private_segment_fixed_size: 0
    .sgpr_count:     24
    .sgpr_spill_count: 0
    .symbol:         _ZN9rocsparseL19gebsrmvn_2xn_kernelILj128ELj5ELj64EdEEvi20rocsparse_direction_NS_24const_host_device_scalarIT2_EEPKiS6_PKS3_S8_S4_PS3_21rocsparse_index_base_b.kd
    .uniform_work_group_size: 1
    .uses_dynamic_stack: false
    .vgpr_count:     50
    .vgpr_spill_count: 0
    .wavefront_size: 64
  - .agpr_count:     0
    .args:
      - .offset:         0
        .size:           4
        .value_kind:     by_value
      - .offset:         4
        .size:           4
        .value_kind:     by_value
      - .offset:         8
        .size:           8
        .value_kind:     by_value
      - .actual_access:  read_only
        .address_space:  global
        .offset:         16
        .size:           8
        .value_kind:     global_buffer
      - .actual_access:  read_only
        .address_space:  global
        .offset:         24
        .size:           8
        .value_kind:     global_buffer
      - .actual_access:  read_only
        .address_space:  global
        .offset:         32
        .size:           8
        .value_kind:     global_buffer
      - .actual_access:  read_only
        .address_space:  global
        .offset:         40
        .size:           8
        .value_kind:     global_buffer
      - .offset:         48
        .size:           8
        .value_kind:     by_value
      - .address_space:  global
        .offset:         56
        .size:           8
        .value_kind:     global_buffer
      - .offset:         64
        .size:           4
        .value_kind:     by_value
      - .offset:         68
        .size:           1
        .value_kind:     by_value
    .group_segment_fixed_size: 0
    .kernarg_segment_align: 8
    .kernarg_segment_size: 72
    .language:       OpenCL C
    .language_version:
      - 2
      - 0
    .max_flat_workgroup_size: 128
    .name:           _ZN9rocsparseL19gebsrmvn_2xn_kernelILj128ELj6ELj4EdEEvi20rocsparse_direction_NS_24const_host_device_scalarIT2_EEPKiS6_PKS3_S8_S4_PS3_21rocsparse_index_base_b
    .private_segment_fixed_size: 0
    .sgpr_count:     24
    .sgpr_spill_count: 0
    .symbol:         _ZN9rocsparseL19gebsrmvn_2xn_kernelILj128ELj6ELj4EdEEvi20rocsparse_direction_NS_24const_host_device_scalarIT2_EEPKiS6_PKS3_S8_S4_PS3_21rocsparse_index_base_b.kd
    .uniform_work_group_size: 1
    .uses_dynamic_stack: false
    .vgpr_count:     60
    .vgpr_spill_count: 0
    .wavefront_size: 64
  - .agpr_count:     0
    .args:
      - .offset:         0
        .size:           4
        .value_kind:     by_value
      - .offset:         4
        .size:           4
        .value_kind:     by_value
      - .offset:         8
        .size:           8
        .value_kind:     by_value
      - .actual_access:  read_only
        .address_space:  global
        .offset:         16
        .size:           8
        .value_kind:     global_buffer
      - .actual_access:  read_only
        .address_space:  global
        .offset:         24
        .size:           8
        .value_kind:     global_buffer
      - .actual_access:  read_only
        .address_space:  global
        .offset:         32
        .size:           8
        .value_kind:     global_buffer
      - .actual_access:  read_only
        .address_space:  global
        .offset:         40
        .size:           8
        .value_kind:     global_buffer
      - .offset:         48
        .size:           8
        .value_kind:     by_value
      - .address_space:  global
        .offset:         56
        .size:           8
        .value_kind:     global_buffer
      - .offset:         64
        .size:           4
        .value_kind:     by_value
      - .offset:         68
        .size:           1
        .value_kind:     by_value
    .group_segment_fixed_size: 0
    .kernarg_segment_align: 8
    .kernarg_segment_size: 72
    .language:       OpenCL C
    .language_version:
      - 2
      - 0
    .max_flat_workgroup_size: 128
    .name:           _ZN9rocsparseL19gebsrmvn_2xn_kernelILj128ELj6ELj8EdEEvi20rocsparse_direction_NS_24const_host_device_scalarIT2_EEPKiS6_PKS3_S8_S4_PS3_21rocsparse_index_base_b
    .private_segment_fixed_size: 0
    .sgpr_count:     24
    .sgpr_spill_count: 0
    .symbol:         _ZN9rocsparseL19gebsrmvn_2xn_kernelILj128ELj6ELj8EdEEvi20rocsparse_direction_NS_24const_host_device_scalarIT2_EEPKiS6_PKS3_S8_S4_PS3_21rocsparse_index_base_b.kd
    .uniform_work_group_size: 1
    .uses_dynamic_stack: false
    .vgpr_count:     60
    .vgpr_spill_count: 0
    .wavefront_size: 64
  - .agpr_count:     0
    .args:
      - .offset:         0
        .size:           4
        .value_kind:     by_value
      - .offset:         4
        .size:           4
        .value_kind:     by_value
      - .offset:         8
        .size:           8
        .value_kind:     by_value
      - .actual_access:  read_only
        .address_space:  global
        .offset:         16
        .size:           8
        .value_kind:     global_buffer
      - .actual_access:  read_only
        .address_space:  global
        .offset:         24
        .size:           8
        .value_kind:     global_buffer
      - .actual_access:  read_only
        .address_space:  global
        .offset:         32
        .size:           8
        .value_kind:     global_buffer
      - .actual_access:  read_only
        .address_space:  global
        .offset:         40
        .size:           8
        .value_kind:     global_buffer
      - .offset:         48
        .size:           8
        .value_kind:     by_value
      - .address_space:  global
        .offset:         56
        .size:           8
        .value_kind:     global_buffer
      - .offset:         64
        .size:           4
        .value_kind:     by_value
      - .offset:         68
        .size:           1
        .value_kind:     by_value
    .group_segment_fixed_size: 0
    .kernarg_segment_align: 8
    .kernarg_segment_size: 72
    .language:       OpenCL C
    .language_version:
      - 2
      - 0
    .max_flat_workgroup_size: 128
    .name:           _ZN9rocsparseL19gebsrmvn_2xn_kernelILj128ELj6ELj16EdEEvi20rocsparse_direction_NS_24const_host_device_scalarIT2_EEPKiS6_PKS3_S8_S4_PS3_21rocsparse_index_base_b
    .private_segment_fixed_size: 0
    .sgpr_count:     24
    .sgpr_spill_count: 0
    .symbol:         _ZN9rocsparseL19gebsrmvn_2xn_kernelILj128ELj6ELj16EdEEvi20rocsparse_direction_NS_24const_host_device_scalarIT2_EEPKiS6_PKS3_S8_S4_PS3_21rocsparse_index_base_b.kd
    .uniform_work_group_size: 1
    .uses_dynamic_stack: false
    .vgpr_count:     60
    .vgpr_spill_count: 0
    .wavefront_size: 64
  - .agpr_count:     0
    .args:
      - .offset:         0
        .size:           4
        .value_kind:     by_value
      - .offset:         4
        .size:           4
        .value_kind:     by_value
      - .offset:         8
        .size:           8
        .value_kind:     by_value
      - .actual_access:  read_only
        .address_space:  global
        .offset:         16
        .size:           8
        .value_kind:     global_buffer
      - .actual_access:  read_only
        .address_space:  global
        .offset:         24
        .size:           8
        .value_kind:     global_buffer
      - .actual_access:  read_only
        .address_space:  global
        .offset:         32
        .size:           8
        .value_kind:     global_buffer
      - .actual_access:  read_only
        .address_space:  global
        .offset:         40
        .size:           8
        .value_kind:     global_buffer
      - .offset:         48
        .size:           8
        .value_kind:     by_value
      - .address_space:  global
        .offset:         56
        .size:           8
        .value_kind:     global_buffer
      - .offset:         64
        .size:           4
        .value_kind:     by_value
      - .offset:         68
        .size:           1
        .value_kind:     by_value
    .group_segment_fixed_size: 0
    .kernarg_segment_align: 8
    .kernarg_segment_size: 72
    .language:       OpenCL C
    .language_version:
      - 2
      - 0
    .max_flat_workgroup_size: 128
    .name:           _ZN9rocsparseL19gebsrmvn_2xn_kernelILj128ELj6ELj32EdEEvi20rocsparse_direction_NS_24const_host_device_scalarIT2_EEPKiS6_PKS3_S8_S4_PS3_21rocsparse_index_base_b
    .private_segment_fixed_size: 0
    .sgpr_count:     24
    .sgpr_spill_count: 0
    .symbol:         _ZN9rocsparseL19gebsrmvn_2xn_kernelILj128ELj6ELj32EdEEvi20rocsparse_direction_NS_24const_host_device_scalarIT2_EEPKiS6_PKS3_S8_S4_PS3_21rocsparse_index_base_b.kd
    .uniform_work_group_size: 1
    .uses_dynamic_stack: false
    .vgpr_count:     60
    .vgpr_spill_count: 0
    .wavefront_size: 64
  - .agpr_count:     0
    .args:
      - .offset:         0
        .size:           4
        .value_kind:     by_value
      - .offset:         4
        .size:           4
        .value_kind:     by_value
      - .offset:         8
        .size:           8
        .value_kind:     by_value
      - .actual_access:  read_only
        .address_space:  global
        .offset:         16
        .size:           8
        .value_kind:     global_buffer
      - .actual_access:  read_only
        .address_space:  global
        .offset:         24
        .size:           8
        .value_kind:     global_buffer
      - .actual_access:  read_only
        .address_space:  global
        .offset:         32
        .size:           8
        .value_kind:     global_buffer
      - .actual_access:  read_only
        .address_space:  global
        .offset:         40
        .size:           8
        .value_kind:     global_buffer
      - .offset:         48
        .size:           8
        .value_kind:     by_value
      - .address_space:  global
        .offset:         56
        .size:           8
        .value_kind:     global_buffer
      - .offset:         64
        .size:           4
        .value_kind:     by_value
      - .offset:         68
        .size:           1
        .value_kind:     by_value
    .group_segment_fixed_size: 0
    .kernarg_segment_align: 8
    .kernarg_segment_size: 72
    .language:       OpenCL C
    .language_version:
      - 2
      - 0
    .max_flat_workgroup_size: 128
    .name:           _ZN9rocsparseL19gebsrmvn_2xn_kernelILj128ELj6ELj64EdEEvi20rocsparse_direction_NS_24const_host_device_scalarIT2_EEPKiS6_PKS3_S8_S4_PS3_21rocsparse_index_base_b
    .private_segment_fixed_size: 0
    .sgpr_count:     24
    .sgpr_spill_count: 0
    .symbol:         _ZN9rocsparseL19gebsrmvn_2xn_kernelILj128ELj6ELj64EdEEvi20rocsparse_direction_NS_24const_host_device_scalarIT2_EEPKiS6_PKS3_S8_S4_PS3_21rocsparse_index_base_b.kd
    .uniform_work_group_size: 1
    .uses_dynamic_stack: false
    .vgpr_count:     60
    .vgpr_spill_count: 0
    .wavefront_size: 64
  - .agpr_count:     0
    .args:
      - .offset:         0
        .size:           4
        .value_kind:     by_value
      - .offset:         4
        .size:           4
        .value_kind:     by_value
      - .offset:         8
        .size:           8
        .value_kind:     by_value
      - .actual_access:  read_only
        .address_space:  global
        .offset:         16
        .size:           8
        .value_kind:     global_buffer
      - .actual_access:  read_only
        .address_space:  global
        .offset:         24
        .size:           8
        .value_kind:     global_buffer
      - .actual_access:  read_only
        .address_space:  global
        .offset:         32
        .size:           8
        .value_kind:     global_buffer
      - .actual_access:  read_only
        .address_space:  global
        .offset:         40
        .size:           8
        .value_kind:     global_buffer
      - .offset:         48
        .size:           8
        .value_kind:     by_value
      - .address_space:  global
        .offset:         56
        .size:           8
        .value_kind:     global_buffer
      - .offset:         64
        .size:           4
        .value_kind:     by_value
      - .offset:         68
        .size:           1
        .value_kind:     by_value
    .group_segment_fixed_size: 0
    .kernarg_segment_align: 8
    .kernarg_segment_size: 72
    .language:       OpenCL C
    .language_version:
      - 2
      - 0
    .max_flat_workgroup_size: 128
    .name:           _ZN9rocsparseL19gebsrmvn_2xn_kernelILj128ELj7ELj4EdEEvi20rocsparse_direction_NS_24const_host_device_scalarIT2_EEPKiS6_PKS3_S8_S4_PS3_21rocsparse_index_base_b
    .private_segment_fixed_size: 0
    .sgpr_count:     24
    .sgpr_spill_count: 0
    .symbol:         _ZN9rocsparseL19gebsrmvn_2xn_kernelILj128ELj7ELj4EdEEvi20rocsparse_direction_NS_24const_host_device_scalarIT2_EEPKiS6_PKS3_S8_S4_PS3_21rocsparse_index_base_b.kd
    .uniform_work_group_size: 1
    .uses_dynamic_stack: false
    .vgpr_count:     62
    .vgpr_spill_count: 0
    .wavefront_size: 64
  - .agpr_count:     0
    .args:
      - .offset:         0
        .size:           4
        .value_kind:     by_value
      - .offset:         4
        .size:           4
        .value_kind:     by_value
      - .offset:         8
        .size:           8
        .value_kind:     by_value
      - .actual_access:  read_only
        .address_space:  global
        .offset:         16
        .size:           8
        .value_kind:     global_buffer
      - .actual_access:  read_only
        .address_space:  global
        .offset:         24
        .size:           8
        .value_kind:     global_buffer
      - .actual_access:  read_only
        .address_space:  global
        .offset:         32
        .size:           8
        .value_kind:     global_buffer
      - .actual_access:  read_only
        .address_space:  global
        .offset:         40
        .size:           8
        .value_kind:     global_buffer
      - .offset:         48
        .size:           8
        .value_kind:     by_value
      - .address_space:  global
        .offset:         56
        .size:           8
        .value_kind:     global_buffer
      - .offset:         64
        .size:           4
        .value_kind:     by_value
      - .offset:         68
        .size:           1
        .value_kind:     by_value
    .group_segment_fixed_size: 0
    .kernarg_segment_align: 8
    .kernarg_segment_size: 72
    .language:       OpenCL C
    .language_version:
      - 2
      - 0
    .max_flat_workgroup_size: 128
    .name:           _ZN9rocsparseL19gebsrmvn_2xn_kernelILj128ELj7ELj8EdEEvi20rocsparse_direction_NS_24const_host_device_scalarIT2_EEPKiS6_PKS3_S8_S4_PS3_21rocsparse_index_base_b
    .private_segment_fixed_size: 0
    .sgpr_count:     24
    .sgpr_spill_count: 0
    .symbol:         _ZN9rocsparseL19gebsrmvn_2xn_kernelILj128ELj7ELj8EdEEvi20rocsparse_direction_NS_24const_host_device_scalarIT2_EEPKiS6_PKS3_S8_S4_PS3_21rocsparse_index_base_b.kd
    .uniform_work_group_size: 1
    .uses_dynamic_stack: false
    .vgpr_count:     62
    .vgpr_spill_count: 0
    .wavefront_size: 64
  - .agpr_count:     0
    .args:
      - .offset:         0
        .size:           4
        .value_kind:     by_value
      - .offset:         4
        .size:           4
        .value_kind:     by_value
      - .offset:         8
        .size:           8
        .value_kind:     by_value
      - .actual_access:  read_only
        .address_space:  global
        .offset:         16
        .size:           8
        .value_kind:     global_buffer
      - .actual_access:  read_only
        .address_space:  global
        .offset:         24
        .size:           8
        .value_kind:     global_buffer
      - .actual_access:  read_only
        .address_space:  global
        .offset:         32
        .size:           8
        .value_kind:     global_buffer
      - .actual_access:  read_only
        .address_space:  global
        .offset:         40
        .size:           8
        .value_kind:     global_buffer
      - .offset:         48
        .size:           8
        .value_kind:     by_value
      - .address_space:  global
        .offset:         56
        .size:           8
        .value_kind:     global_buffer
      - .offset:         64
        .size:           4
        .value_kind:     by_value
      - .offset:         68
        .size:           1
        .value_kind:     by_value
    .group_segment_fixed_size: 0
    .kernarg_segment_align: 8
    .kernarg_segment_size: 72
    .language:       OpenCL C
    .language_version:
      - 2
      - 0
    .max_flat_workgroup_size: 128
    .name:           _ZN9rocsparseL19gebsrmvn_2xn_kernelILj128ELj7ELj16EdEEvi20rocsparse_direction_NS_24const_host_device_scalarIT2_EEPKiS6_PKS3_S8_S4_PS3_21rocsparse_index_base_b
    .private_segment_fixed_size: 0
    .sgpr_count:     24
    .sgpr_spill_count: 0
    .symbol:         _ZN9rocsparseL19gebsrmvn_2xn_kernelILj128ELj7ELj16EdEEvi20rocsparse_direction_NS_24const_host_device_scalarIT2_EEPKiS6_PKS3_S8_S4_PS3_21rocsparse_index_base_b.kd
    .uniform_work_group_size: 1
    .uses_dynamic_stack: false
    .vgpr_count:     62
    .vgpr_spill_count: 0
    .wavefront_size: 64
  - .agpr_count:     0
    .args:
      - .offset:         0
        .size:           4
        .value_kind:     by_value
      - .offset:         4
        .size:           4
        .value_kind:     by_value
      - .offset:         8
        .size:           8
        .value_kind:     by_value
      - .actual_access:  read_only
        .address_space:  global
        .offset:         16
        .size:           8
        .value_kind:     global_buffer
      - .actual_access:  read_only
        .address_space:  global
        .offset:         24
        .size:           8
        .value_kind:     global_buffer
      - .actual_access:  read_only
        .address_space:  global
        .offset:         32
        .size:           8
        .value_kind:     global_buffer
      - .actual_access:  read_only
        .address_space:  global
        .offset:         40
        .size:           8
        .value_kind:     global_buffer
      - .offset:         48
        .size:           8
        .value_kind:     by_value
      - .address_space:  global
        .offset:         56
        .size:           8
        .value_kind:     global_buffer
      - .offset:         64
        .size:           4
        .value_kind:     by_value
      - .offset:         68
        .size:           1
        .value_kind:     by_value
    .group_segment_fixed_size: 0
    .kernarg_segment_align: 8
    .kernarg_segment_size: 72
    .language:       OpenCL C
    .language_version:
      - 2
      - 0
    .max_flat_workgroup_size: 128
    .name:           _ZN9rocsparseL19gebsrmvn_2xn_kernelILj128ELj7ELj32EdEEvi20rocsparse_direction_NS_24const_host_device_scalarIT2_EEPKiS6_PKS3_S8_S4_PS3_21rocsparse_index_base_b
    .private_segment_fixed_size: 0
    .sgpr_count:     24
    .sgpr_spill_count: 0
    .symbol:         _ZN9rocsparseL19gebsrmvn_2xn_kernelILj128ELj7ELj32EdEEvi20rocsparse_direction_NS_24const_host_device_scalarIT2_EEPKiS6_PKS3_S8_S4_PS3_21rocsparse_index_base_b.kd
    .uniform_work_group_size: 1
    .uses_dynamic_stack: false
    .vgpr_count:     62
    .vgpr_spill_count: 0
    .wavefront_size: 64
  - .agpr_count:     0
    .args:
      - .offset:         0
        .size:           4
        .value_kind:     by_value
      - .offset:         4
        .size:           4
        .value_kind:     by_value
      - .offset:         8
        .size:           8
        .value_kind:     by_value
      - .actual_access:  read_only
        .address_space:  global
        .offset:         16
        .size:           8
        .value_kind:     global_buffer
      - .actual_access:  read_only
        .address_space:  global
        .offset:         24
        .size:           8
        .value_kind:     global_buffer
      - .actual_access:  read_only
        .address_space:  global
        .offset:         32
        .size:           8
        .value_kind:     global_buffer
      - .actual_access:  read_only
        .address_space:  global
        .offset:         40
        .size:           8
        .value_kind:     global_buffer
      - .offset:         48
        .size:           8
        .value_kind:     by_value
      - .address_space:  global
        .offset:         56
        .size:           8
        .value_kind:     global_buffer
      - .offset:         64
        .size:           4
        .value_kind:     by_value
      - .offset:         68
        .size:           1
        .value_kind:     by_value
    .group_segment_fixed_size: 0
    .kernarg_segment_align: 8
    .kernarg_segment_size: 72
    .language:       OpenCL C
    .language_version:
      - 2
      - 0
    .max_flat_workgroup_size: 128
    .name:           _ZN9rocsparseL19gebsrmvn_2xn_kernelILj128ELj7ELj64EdEEvi20rocsparse_direction_NS_24const_host_device_scalarIT2_EEPKiS6_PKS3_S8_S4_PS3_21rocsparse_index_base_b
    .private_segment_fixed_size: 0
    .sgpr_count:     24
    .sgpr_spill_count: 0
    .symbol:         _ZN9rocsparseL19gebsrmvn_2xn_kernelILj128ELj7ELj64EdEEvi20rocsparse_direction_NS_24const_host_device_scalarIT2_EEPKiS6_PKS3_S8_S4_PS3_21rocsparse_index_base_b.kd
    .uniform_work_group_size: 1
    .uses_dynamic_stack: false
    .vgpr_count:     62
    .vgpr_spill_count: 0
    .wavefront_size: 64
  - .agpr_count:     0
    .args:
      - .offset:         0
        .size:           4
        .value_kind:     by_value
      - .offset:         4
        .size:           4
        .value_kind:     by_value
      - .offset:         8
        .size:           8
        .value_kind:     by_value
      - .actual_access:  read_only
        .address_space:  global
        .offset:         16
        .size:           8
        .value_kind:     global_buffer
      - .actual_access:  read_only
        .address_space:  global
        .offset:         24
        .size:           8
        .value_kind:     global_buffer
      - .actual_access:  read_only
        .address_space:  global
        .offset:         32
        .size:           8
        .value_kind:     global_buffer
      - .actual_access:  read_only
        .address_space:  global
        .offset:         40
        .size:           8
        .value_kind:     global_buffer
      - .offset:         48
        .size:           8
        .value_kind:     by_value
      - .address_space:  global
        .offset:         56
        .size:           8
        .value_kind:     global_buffer
      - .offset:         64
        .size:           4
        .value_kind:     by_value
      - .offset:         68
        .size:           1
        .value_kind:     by_value
    .group_segment_fixed_size: 0
    .kernarg_segment_align: 8
    .kernarg_segment_size: 72
    .language:       OpenCL C
    .language_version:
      - 2
      - 0
    .max_flat_workgroup_size: 128
    .name:           _ZN9rocsparseL19gebsrmvn_2xn_kernelILj128ELj8ELj4EdEEvi20rocsparse_direction_NS_24const_host_device_scalarIT2_EEPKiS6_PKS3_S8_S4_PS3_21rocsparse_index_base_b
    .private_segment_fixed_size: 0
    .sgpr_count:     24
    .sgpr_spill_count: 0
    .symbol:         _ZN9rocsparseL19gebsrmvn_2xn_kernelILj128ELj8ELj4EdEEvi20rocsparse_direction_NS_24const_host_device_scalarIT2_EEPKiS6_PKS3_S8_S4_PS3_21rocsparse_index_base_b.kd
    .uniform_work_group_size: 1
    .uses_dynamic_stack: false
    .vgpr_count:     70
    .vgpr_spill_count: 0
    .wavefront_size: 64
  - .agpr_count:     0
    .args:
      - .offset:         0
        .size:           4
        .value_kind:     by_value
      - .offset:         4
        .size:           4
        .value_kind:     by_value
      - .offset:         8
        .size:           8
        .value_kind:     by_value
      - .actual_access:  read_only
        .address_space:  global
        .offset:         16
        .size:           8
        .value_kind:     global_buffer
      - .actual_access:  read_only
        .address_space:  global
        .offset:         24
        .size:           8
        .value_kind:     global_buffer
      - .actual_access:  read_only
        .address_space:  global
        .offset:         32
        .size:           8
        .value_kind:     global_buffer
      - .actual_access:  read_only
        .address_space:  global
        .offset:         40
        .size:           8
        .value_kind:     global_buffer
      - .offset:         48
        .size:           8
        .value_kind:     by_value
      - .address_space:  global
        .offset:         56
        .size:           8
        .value_kind:     global_buffer
      - .offset:         64
        .size:           4
        .value_kind:     by_value
      - .offset:         68
        .size:           1
        .value_kind:     by_value
    .group_segment_fixed_size: 0
    .kernarg_segment_align: 8
    .kernarg_segment_size: 72
    .language:       OpenCL C
    .language_version:
      - 2
      - 0
    .max_flat_workgroup_size: 128
    .name:           _ZN9rocsparseL19gebsrmvn_2xn_kernelILj128ELj8ELj8EdEEvi20rocsparse_direction_NS_24const_host_device_scalarIT2_EEPKiS6_PKS3_S8_S4_PS3_21rocsparse_index_base_b
    .private_segment_fixed_size: 0
    .sgpr_count:     24
    .sgpr_spill_count: 0
    .symbol:         _ZN9rocsparseL19gebsrmvn_2xn_kernelILj128ELj8ELj8EdEEvi20rocsparse_direction_NS_24const_host_device_scalarIT2_EEPKiS6_PKS3_S8_S4_PS3_21rocsparse_index_base_b.kd
    .uniform_work_group_size: 1
    .uses_dynamic_stack: false
    .vgpr_count:     70
    .vgpr_spill_count: 0
    .wavefront_size: 64
  - .agpr_count:     0
    .args:
      - .offset:         0
        .size:           4
        .value_kind:     by_value
      - .offset:         4
        .size:           4
        .value_kind:     by_value
      - .offset:         8
        .size:           8
        .value_kind:     by_value
      - .actual_access:  read_only
        .address_space:  global
        .offset:         16
        .size:           8
        .value_kind:     global_buffer
      - .actual_access:  read_only
        .address_space:  global
        .offset:         24
        .size:           8
        .value_kind:     global_buffer
      - .actual_access:  read_only
        .address_space:  global
        .offset:         32
        .size:           8
        .value_kind:     global_buffer
      - .actual_access:  read_only
        .address_space:  global
        .offset:         40
        .size:           8
        .value_kind:     global_buffer
      - .offset:         48
        .size:           8
        .value_kind:     by_value
      - .address_space:  global
        .offset:         56
        .size:           8
        .value_kind:     global_buffer
      - .offset:         64
        .size:           4
        .value_kind:     by_value
      - .offset:         68
        .size:           1
        .value_kind:     by_value
    .group_segment_fixed_size: 0
    .kernarg_segment_align: 8
    .kernarg_segment_size: 72
    .language:       OpenCL C
    .language_version:
      - 2
      - 0
    .max_flat_workgroup_size: 128
    .name:           _ZN9rocsparseL19gebsrmvn_2xn_kernelILj128ELj8ELj16EdEEvi20rocsparse_direction_NS_24const_host_device_scalarIT2_EEPKiS6_PKS3_S8_S4_PS3_21rocsparse_index_base_b
    .private_segment_fixed_size: 0
    .sgpr_count:     24
    .sgpr_spill_count: 0
    .symbol:         _ZN9rocsparseL19gebsrmvn_2xn_kernelILj128ELj8ELj16EdEEvi20rocsparse_direction_NS_24const_host_device_scalarIT2_EEPKiS6_PKS3_S8_S4_PS3_21rocsparse_index_base_b.kd
    .uniform_work_group_size: 1
    .uses_dynamic_stack: false
    .vgpr_count:     70
    .vgpr_spill_count: 0
    .wavefront_size: 64
  - .agpr_count:     0
    .args:
      - .offset:         0
        .size:           4
        .value_kind:     by_value
      - .offset:         4
        .size:           4
        .value_kind:     by_value
      - .offset:         8
        .size:           8
        .value_kind:     by_value
      - .actual_access:  read_only
        .address_space:  global
        .offset:         16
        .size:           8
        .value_kind:     global_buffer
      - .actual_access:  read_only
        .address_space:  global
        .offset:         24
        .size:           8
        .value_kind:     global_buffer
      - .actual_access:  read_only
        .address_space:  global
        .offset:         32
        .size:           8
        .value_kind:     global_buffer
      - .actual_access:  read_only
        .address_space:  global
        .offset:         40
        .size:           8
        .value_kind:     global_buffer
      - .offset:         48
        .size:           8
        .value_kind:     by_value
      - .address_space:  global
        .offset:         56
        .size:           8
        .value_kind:     global_buffer
      - .offset:         64
        .size:           4
        .value_kind:     by_value
      - .offset:         68
        .size:           1
        .value_kind:     by_value
    .group_segment_fixed_size: 0
    .kernarg_segment_align: 8
    .kernarg_segment_size: 72
    .language:       OpenCL C
    .language_version:
      - 2
      - 0
    .max_flat_workgroup_size: 128
    .name:           _ZN9rocsparseL19gebsrmvn_2xn_kernelILj128ELj8ELj32EdEEvi20rocsparse_direction_NS_24const_host_device_scalarIT2_EEPKiS6_PKS3_S8_S4_PS3_21rocsparse_index_base_b
    .private_segment_fixed_size: 0
    .sgpr_count:     24
    .sgpr_spill_count: 0
    .symbol:         _ZN9rocsparseL19gebsrmvn_2xn_kernelILj128ELj8ELj32EdEEvi20rocsparse_direction_NS_24const_host_device_scalarIT2_EEPKiS6_PKS3_S8_S4_PS3_21rocsparse_index_base_b.kd
    .uniform_work_group_size: 1
    .uses_dynamic_stack: false
    .vgpr_count:     70
    .vgpr_spill_count: 0
    .wavefront_size: 64
  - .agpr_count:     0
    .args:
      - .offset:         0
        .size:           4
        .value_kind:     by_value
      - .offset:         4
        .size:           4
        .value_kind:     by_value
      - .offset:         8
        .size:           8
        .value_kind:     by_value
      - .actual_access:  read_only
        .address_space:  global
        .offset:         16
        .size:           8
        .value_kind:     global_buffer
      - .actual_access:  read_only
        .address_space:  global
        .offset:         24
        .size:           8
        .value_kind:     global_buffer
      - .actual_access:  read_only
        .address_space:  global
        .offset:         32
        .size:           8
        .value_kind:     global_buffer
      - .actual_access:  read_only
        .address_space:  global
        .offset:         40
        .size:           8
        .value_kind:     global_buffer
      - .offset:         48
        .size:           8
        .value_kind:     by_value
      - .address_space:  global
        .offset:         56
        .size:           8
        .value_kind:     global_buffer
      - .offset:         64
        .size:           4
        .value_kind:     by_value
      - .offset:         68
        .size:           1
        .value_kind:     by_value
    .group_segment_fixed_size: 0
    .kernarg_segment_align: 8
    .kernarg_segment_size: 72
    .language:       OpenCL C
    .language_version:
      - 2
      - 0
    .max_flat_workgroup_size: 128
    .name:           _ZN9rocsparseL19gebsrmvn_2xn_kernelILj128ELj8ELj64EdEEvi20rocsparse_direction_NS_24const_host_device_scalarIT2_EEPKiS6_PKS3_S8_S4_PS3_21rocsparse_index_base_b
    .private_segment_fixed_size: 0
    .sgpr_count:     24
    .sgpr_spill_count: 0
    .symbol:         _ZN9rocsparseL19gebsrmvn_2xn_kernelILj128ELj8ELj64EdEEvi20rocsparse_direction_NS_24const_host_device_scalarIT2_EEPKiS6_PKS3_S8_S4_PS3_21rocsparse_index_base_b.kd
    .uniform_work_group_size: 1
    .uses_dynamic_stack: false
    .vgpr_count:     70
    .vgpr_spill_count: 0
    .wavefront_size: 64
  - .agpr_count:     0
    .args:
      - .offset:         0
        .size:           4
        .value_kind:     by_value
      - .offset:         4
        .size:           4
        .value_kind:     by_value
      - .offset:         8
        .size:           8
        .value_kind:     by_value
      - .actual_access:  read_only
        .address_space:  global
        .offset:         16
        .size:           8
        .value_kind:     global_buffer
      - .actual_access:  read_only
        .address_space:  global
        .offset:         24
        .size:           8
        .value_kind:     global_buffer
      - .actual_access:  read_only
        .address_space:  global
        .offset:         32
        .size:           8
        .value_kind:     global_buffer
      - .actual_access:  read_only
        .address_space:  global
        .offset:         40
        .size:           8
        .value_kind:     global_buffer
      - .offset:         48
        .size:           8
        .value_kind:     by_value
      - .address_space:  global
        .offset:         56
        .size:           8
        .value_kind:     global_buffer
      - .offset:         64
        .size:           4
        .value_kind:     by_value
      - .offset:         68
        .size:           1
        .value_kind:     by_value
    .group_segment_fixed_size: 0
    .kernarg_segment_align: 8
    .kernarg_segment_size: 72
    .language:       OpenCL C
    .language_version:
      - 2
      - 0
    .max_flat_workgroup_size: 128
    .name:           _ZN9rocsparseL19gebsrmvn_2xn_kernelILj128ELj9ELj4EdEEvi20rocsparse_direction_NS_24const_host_device_scalarIT2_EEPKiS6_PKS3_S8_S4_PS3_21rocsparse_index_base_b
    .private_segment_fixed_size: 0
    .sgpr_count:     24
    .sgpr_spill_count: 0
    .symbol:         _ZN9rocsparseL19gebsrmvn_2xn_kernelILj128ELj9ELj4EdEEvi20rocsparse_direction_NS_24const_host_device_scalarIT2_EEPKiS6_PKS3_S8_S4_PS3_21rocsparse_index_base_b.kd
    .uniform_work_group_size: 1
    .uses_dynamic_stack: false
    .vgpr_count:     62
    .vgpr_spill_count: 0
    .wavefront_size: 64
  - .agpr_count:     0
    .args:
      - .offset:         0
        .size:           4
        .value_kind:     by_value
      - .offset:         4
        .size:           4
        .value_kind:     by_value
      - .offset:         8
        .size:           8
        .value_kind:     by_value
      - .actual_access:  read_only
        .address_space:  global
        .offset:         16
        .size:           8
        .value_kind:     global_buffer
      - .actual_access:  read_only
        .address_space:  global
        .offset:         24
        .size:           8
        .value_kind:     global_buffer
      - .actual_access:  read_only
        .address_space:  global
        .offset:         32
        .size:           8
        .value_kind:     global_buffer
      - .actual_access:  read_only
        .address_space:  global
        .offset:         40
        .size:           8
        .value_kind:     global_buffer
      - .offset:         48
        .size:           8
        .value_kind:     by_value
      - .address_space:  global
        .offset:         56
        .size:           8
        .value_kind:     global_buffer
      - .offset:         64
        .size:           4
        .value_kind:     by_value
      - .offset:         68
        .size:           1
        .value_kind:     by_value
    .group_segment_fixed_size: 0
    .kernarg_segment_align: 8
    .kernarg_segment_size: 72
    .language:       OpenCL C
    .language_version:
      - 2
      - 0
    .max_flat_workgroup_size: 128
    .name:           _ZN9rocsparseL19gebsrmvn_2xn_kernelILj128ELj9ELj8EdEEvi20rocsparse_direction_NS_24const_host_device_scalarIT2_EEPKiS6_PKS3_S8_S4_PS3_21rocsparse_index_base_b
    .private_segment_fixed_size: 0
    .sgpr_count:     24
    .sgpr_spill_count: 0
    .symbol:         _ZN9rocsparseL19gebsrmvn_2xn_kernelILj128ELj9ELj8EdEEvi20rocsparse_direction_NS_24const_host_device_scalarIT2_EEPKiS6_PKS3_S8_S4_PS3_21rocsparse_index_base_b.kd
    .uniform_work_group_size: 1
    .uses_dynamic_stack: false
    .vgpr_count:     62
    .vgpr_spill_count: 0
    .wavefront_size: 64
  - .agpr_count:     0
    .args:
      - .offset:         0
        .size:           4
        .value_kind:     by_value
      - .offset:         4
        .size:           4
        .value_kind:     by_value
      - .offset:         8
        .size:           8
        .value_kind:     by_value
      - .actual_access:  read_only
        .address_space:  global
        .offset:         16
        .size:           8
        .value_kind:     global_buffer
      - .actual_access:  read_only
        .address_space:  global
        .offset:         24
        .size:           8
        .value_kind:     global_buffer
      - .actual_access:  read_only
        .address_space:  global
        .offset:         32
        .size:           8
        .value_kind:     global_buffer
      - .actual_access:  read_only
        .address_space:  global
        .offset:         40
        .size:           8
        .value_kind:     global_buffer
      - .offset:         48
        .size:           8
        .value_kind:     by_value
      - .address_space:  global
        .offset:         56
        .size:           8
        .value_kind:     global_buffer
      - .offset:         64
        .size:           4
        .value_kind:     by_value
      - .offset:         68
        .size:           1
        .value_kind:     by_value
    .group_segment_fixed_size: 0
    .kernarg_segment_align: 8
    .kernarg_segment_size: 72
    .language:       OpenCL C
    .language_version:
      - 2
      - 0
    .max_flat_workgroup_size: 128
    .name:           _ZN9rocsparseL19gebsrmvn_2xn_kernelILj128ELj9ELj16EdEEvi20rocsparse_direction_NS_24const_host_device_scalarIT2_EEPKiS6_PKS3_S8_S4_PS3_21rocsparse_index_base_b
    .private_segment_fixed_size: 0
    .sgpr_count:     24
    .sgpr_spill_count: 0
    .symbol:         _ZN9rocsparseL19gebsrmvn_2xn_kernelILj128ELj9ELj16EdEEvi20rocsparse_direction_NS_24const_host_device_scalarIT2_EEPKiS6_PKS3_S8_S4_PS3_21rocsparse_index_base_b.kd
    .uniform_work_group_size: 1
    .uses_dynamic_stack: false
    .vgpr_count:     62
    .vgpr_spill_count: 0
    .wavefront_size: 64
  - .agpr_count:     0
    .args:
      - .offset:         0
        .size:           4
        .value_kind:     by_value
      - .offset:         4
        .size:           4
        .value_kind:     by_value
      - .offset:         8
        .size:           8
        .value_kind:     by_value
      - .actual_access:  read_only
        .address_space:  global
        .offset:         16
        .size:           8
        .value_kind:     global_buffer
      - .actual_access:  read_only
        .address_space:  global
        .offset:         24
        .size:           8
        .value_kind:     global_buffer
      - .actual_access:  read_only
        .address_space:  global
        .offset:         32
        .size:           8
        .value_kind:     global_buffer
      - .actual_access:  read_only
        .address_space:  global
        .offset:         40
        .size:           8
        .value_kind:     global_buffer
      - .offset:         48
        .size:           8
        .value_kind:     by_value
      - .address_space:  global
        .offset:         56
        .size:           8
        .value_kind:     global_buffer
      - .offset:         64
        .size:           4
        .value_kind:     by_value
      - .offset:         68
        .size:           1
        .value_kind:     by_value
    .group_segment_fixed_size: 0
    .kernarg_segment_align: 8
    .kernarg_segment_size: 72
    .language:       OpenCL C
    .language_version:
      - 2
      - 0
    .max_flat_workgroup_size: 128
    .name:           _ZN9rocsparseL19gebsrmvn_2xn_kernelILj128ELj9ELj32EdEEvi20rocsparse_direction_NS_24const_host_device_scalarIT2_EEPKiS6_PKS3_S8_S4_PS3_21rocsparse_index_base_b
    .private_segment_fixed_size: 0
    .sgpr_count:     24
    .sgpr_spill_count: 0
    .symbol:         _ZN9rocsparseL19gebsrmvn_2xn_kernelILj128ELj9ELj32EdEEvi20rocsparse_direction_NS_24const_host_device_scalarIT2_EEPKiS6_PKS3_S8_S4_PS3_21rocsparse_index_base_b.kd
    .uniform_work_group_size: 1
    .uses_dynamic_stack: false
    .vgpr_count:     62
    .vgpr_spill_count: 0
    .wavefront_size: 64
  - .agpr_count:     0
    .args:
      - .offset:         0
        .size:           4
        .value_kind:     by_value
      - .offset:         4
        .size:           4
        .value_kind:     by_value
      - .offset:         8
        .size:           8
        .value_kind:     by_value
      - .actual_access:  read_only
        .address_space:  global
        .offset:         16
        .size:           8
        .value_kind:     global_buffer
      - .actual_access:  read_only
        .address_space:  global
        .offset:         24
        .size:           8
        .value_kind:     global_buffer
      - .actual_access:  read_only
        .address_space:  global
        .offset:         32
        .size:           8
        .value_kind:     global_buffer
      - .actual_access:  read_only
        .address_space:  global
        .offset:         40
        .size:           8
        .value_kind:     global_buffer
      - .offset:         48
        .size:           8
        .value_kind:     by_value
      - .address_space:  global
        .offset:         56
        .size:           8
        .value_kind:     global_buffer
      - .offset:         64
        .size:           4
        .value_kind:     by_value
      - .offset:         68
        .size:           1
        .value_kind:     by_value
    .group_segment_fixed_size: 0
    .kernarg_segment_align: 8
    .kernarg_segment_size: 72
    .language:       OpenCL C
    .language_version:
      - 2
      - 0
    .max_flat_workgroup_size: 128
    .name:           _ZN9rocsparseL19gebsrmvn_2xn_kernelILj128ELj9ELj64EdEEvi20rocsparse_direction_NS_24const_host_device_scalarIT2_EEPKiS6_PKS3_S8_S4_PS3_21rocsparse_index_base_b
    .private_segment_fixed_size: 0
    .sgpr_count:     24
    .sgpr_spill_count: 0
    .symbol:         _ZN9rocsparseL19gebsrmvn_2xn_kernelILj128ELj9ELj64EdEEvi20rocsparse_direction_NS_24const_host_device_scalarIT2_EEPKiS6_PKS3_S8_S4_PS3_21rocsparse_index_base_b.kd
    .uniform_work_group_size: 1
    .uses_dynamic_stack: false
    .vgpr_count:     62
    .vgpr_spill_count: 0
    .wavefront_size: 64
  - .agpr_count:     0
    .args:
      - .offset:         0
        .size:           4
        .value_kind:     by_value
      - .offset:         4
        .size:           4
        .value_kind:     by_value
      - .offset:         8
        .size:           8
        .value_kind:     by_value
      - .actual_access:  read_only
        .address_space:  global
        .offset:         16
        .size:           8
        .value_kind:     global_buffer
      - .actual_access:  read_only
        .address_space:  global
        .offset:         24
        .size:           8
        .value_kind:     global_buffer
      - .actual_access:  read_only
        .address_space:  global
        .offset:         32
        .size:           8
        .value_kind:     global_buffer
      - .actual_access:  read_only
        .address_space:  global
        .offset:         40
        .size:           8
        .value_kind:     global_buffer
      - .offset:         48
        .size:           8
        .value_kind:     by_value
      - .address_space:  global
        .offset:         56
        .size:           8
        .value_kind:     global_buffer
      - .offset:         64
        .size:           4
        .value_kind:     by_value
      - .offset:         68
        .size:           1
        .value_kind:     by_value
    .group_segment_fixed_size: 0
    .kernarg_segment_align: 8
    .kernarg_segment_size: 72
    .language:       OpenCL C
    .language_version:
      - 2
      - 0
    .max_flat_workgroup_size: 128
    .name:           _ZN9rocsparseL19gebsrmvn_2xn_kernelILj128ELj10ELj4EdEEvi20rocsparse_direction_NS_24const_host_device_scalarIT2_EEPKiS6_PKS3_S8_S4_PS3_21rocsparse_index_base_b
    .private_segment_fixed_size: 0
    .sgpr_count:     24
    .sgpr_spill_count: 0
    .symbol:         _ZN9rocsparseL19gebsrmvn_2xn_kernelILj128ELj10ELj4EdEEvi20rocsparse_direction_NS_24const_host_device_scalarIT2_EEPKiS6_PKS3_S8_S4_PS3_21rocsparse_index_base_b.kd
    .uniform_work_group_size: 1
    .uses_dynamic_stack: false
    .vgpr_count:     68
    .vgpr_spill_count: 0
    .wavefront_size: 64
  - .agpr_count:     0
    .args:
      - .offset:         0
        .size:           4
        .value_kind:     by_value
      - .offset:         4
        .size:           4
        .value_kind:     by_value
      - .offset:         8
        .size:           8
        .value_kind:     by_value
      - .actual_access:  read_only
        .address_space:  global
        .offset:         16
        .size:           8
        .value_kind:     global_buffer
      - .actual_access:  read_only
        .address_space:  global
        .offset:         24
        .size:           8
        .value_kind:     global_buffer
      - .actual_access:  read_only
        .address_space:  global
        .offset:         32
        .size:           8
        .value_kind:     global_buffer
      - .actual_access:  read_only
        .address_space:  global
        .offset:         40
        .size:           8
        .value_kind:     global_buffer
      - .offset:         48
        .size:           8
        .value_kind:     by_value
      - .address_space:  global
        .offset:         56
        .size:           8
        .value_kind:     global_buffer
      - .offset:         64
        .size:           4
        .value_kind:     by_value
      - .offset:         68
        .size:           1
        .value_kind:     by_value
    .group_segment_fixed_size: 0
    .kernarg_segment_align: 8
    .kernarg_segment_size: 72
    .language:       OpenCL C
    .language_version:
      - 2
      - 0
    .max_flat_workgroup_size: 128
    .name:           _ZN9rocsparseL19gebsrmvn_2xn_kernelILj128ELj10ELj8EdEEvi20rocsparse_direction_NS_24const_host_device_scalarIT2_EEPKiS6_PKS3_S8_S4_PS3_21rocsparse_index_base_b
    .private_segment_fixed_size: 0
    .sgpr_count:     24
    .sgpr_spill_count: 0
    .symbol:         _ZN9rocsparseL19gebsrmvn_2xn_kernelILj128ELj10ELj8EdEEvi20rocsparse_direction_NS_24const_host_device_scalarIT2_EEPKiS6_PKS3_S8_S4_PS3_21rocsparse_index_base_b.kd
    .uniform_work_group_size: 1
    .uses_dynamic_stack: false
    .vgpr_count:     68
    .vgpr_spill_count: 0
    .wavefront_size: 64
  - .agpr_count:     0
    .args:
      - .offset:         0
        .size:           4
        .value_kind:     by_value
      - .offset:         4
        .size:           4
        .value_kind:     by_value
      - .offset:         8
        .size:           8
        .value_kind:     by_value
      - .actual_access:  read_only
        .address_space:  global
        .offset:         16
        .size:           8
        .value_kind:     global_buffer
      - .actual_access:  read_only
        .address_space:  global
        .offset:         24
        .size:           8
        .value_kind:     global_buffer
      - .actual_access:  read_only
        .address_space:  global
        .offset:         32
        .size:           8
        .value_kind:     global_buffer
      - .actual_access:  read_only
        .address_space:  global
        .offset:         40
        .size:           8
        .value_kind:     global_buffer
      - .offset:         48
        .size:           8
        .value_kind:     by_value
      - .address_space:  global
        .offset:         56
        .size:           8
        .value_kind:     global_buffer
      - .offset:         64
        .size:           4
        .value_kind:     by_value
      - .offset:         68
        .size:           1
        .value_kind:     by_value
    .group_segment_fixed_size: 0
    .kernarg_segment_align: 8
    .kernarg_segment_size: 72
    .language:       OpenCL C
    .language_version:
      - 2
      - 0
    .max_flat_workgroup_size: 128
    .name:           _ZN9rocsparseL19gebsrmvn_2xn_kernelILj128ELj10ELj16EdEEvi20rocsparse_direction_NS_24const_host_device_scalarIT2_EEPKiS6_PKS3_S8_S4_PS3_21rocsparse_index_base_b
    .private_segment_fixed_size: 0
    .sgpr_count:     24
    .sgpr_spill_count: 0
    .symbol:         _ZN9rocsparseL19gebsrmvn_2xn_kernelILj128ELj10ELj16EdEEvi20rocsparse_direction_NS_24const_host_device_scalarIT2_EEPKiS6_PKS3_S8_S4_PS3_21rocsparse_index_base_b.kd
    .uniform_work_group_size: 1
    .uses_dynamic_stack: false
    .vgpr_count:     68
    .vgpr_spill_count: 0
    .wavefront_size: 64
  - .agpr_count:     0
    .args:
      - .offset:         0
        .size:           4
        .value_kind:     by_value
      - .offset:         4
        .size:           4
        .value_kind:     by_value
      - .offset:         8
        .size:           8
        .value_kind:     by_value
      - .actual_access:  read_only
        .address_space:  global
        .offset:         16
        .size:           8
        .value_kind:     global_buffer
      - .actual_access:  read_only
        .address_space:  global
        .offset:         24
        .size:           8
        .value_kind:     global_buffer
      - .actual_access:  read_only
        .address_space:  global
        .offset:         32
        .size:           8
        .value_kind:     global_buffer
      - .actual_access:  read_only
        .address_space:  global
        .offset:         40
        .size:           8
        .value_kind:     global_buffer
      - .offset:         48
        .size:           8
        .value_kind:     by_value
      - .address_space:  global
        .offset:         56
        .size:           8
        .value_kind:     global_buffer
      - .offset:         64
        .size:           4
        .value_kind:     by_value
      - .offset:         68
        .size:           1
        .value_kind:     by_value
    .group_segment_fixed_size: 0
    .kernarg_segment_align: 8
    .kernarg_segment_size: 72
    .language:       OpenCL C
    .language_version:
      - 2
      - 0
    .max_flat_workgroup_size: 128
    .name:           _ZN9rocsparseL19gebsrmvn_2xn_kernelILj128ELj10ELj32EdEEvi20rocsparse_direction_NS_24const_host_device_scalarIT2_EEPKiS6_PKS3_S8_S4_PS3_21rocsparse_index_base_b
    .private_segment_fixed_size: 0
    .sgpr_count:     24
    .sgpr_spill_count: 0
    .symbol:         _ZN9rocsparseL19gebsrmvn_2xn_kernelILj128ELj10ELj32EdEEvi20rocsparse_direction_NS_24const_host_device_scalarIT2_EEPKiS6_PKS3_S8_S4_PS3_21rocsparse_index_base_b.kd
    .uniform_work_group_size: 1
    .uses_dynamic_stack: false
    .vgpr_count:     68
    .vgpr_spill_count: 0
    .wavefront_size: 64
  - .agpr_count:     0
    .args:
      - .offset:         0
        .size:           4
        .value_kind:     by_value
      - .offset:         4
        .size:           4
        .value_kind:     by_value
      - .offset:         8
        .size:           8
        .value_kind:     by_value
      - .actual_access:  read_only
        .address_space:  global
        .offset:         16
        .size:           8
        .value_kind:     global_buffer
      - .actual_access:  read_only
        .address_space:  global
        .offset:         24
        .size:           8
        .value_kind:     global_buffer
      - .actual_access:  read_only
        .address_space:  global
        .offset:         32
        .size:           8
        .value_kind:     global_buffer
      - .actual_access:  read_only
        .address_space:  global
        .offset:         40
        .size:           8
        .value_kind:     global_buffer
      - .offset:         48
        .size:           8
        .value_kind:     by_value
      - .address_space:  global
        .offset:         56
        .size:           8
        .value_kind:     global_buffer
      - .offset:         64
        .size:           4
        .value_kind:     by_value
      - .offset:         68
        .size:           1
        .value_kind:     by_value
    .group_segment_fixed_size: 0
    .kernarg_segment_align: 8
    .kernarg_segment_size: 72
    .language:       OpenCL C
    .language_version:
      - 2
      - 0
    .max_flat_workgroup_size: 128
    .name:           _ZN9rocsparseL19gebsrmvn_2xn_kernelILj128ELj10ELj64EdEEvi20rocsparse_direction_NS_24const_host_device_scalarIT2_EEPKiS6_PKS3_S8_S4_PS3_21rocsparse_index_base_b
    .private_segment_fixed_size: 0
    .sgpr_count:     24
    .sgpr_spill_count: 0
    .symbol:         _ZN9rocsparseL19gebsrmvn_2xn_kernelILj128ELj10ELj64EdEEvi20rocsparse_direction_NS_24const_host_device_scalarIT2_EEPKiS6_PKS3_S8_S4_PS3_21rocsparse_index_base_b.kd
    .uniform_work_group_size: 1
    .uses_dynamic_stack: false
    .vgpr_count:     68
    .vgpr_spill_count: 0
    .wavefront_size: 64
  - .agpr_count:     0
    .args:
      - .offset:         0
        .size:           4
        .value_kind:     by_value
      - .offset:         4
        .size:           4
        .value_kind:     by_value
      - .offset:         8
        .size:           8
        .value_kind:     by_value
      - .actual_access:  read_only
        .address_space:  global
        .offset:         16
        .size:           8
        .value_kind:     global_buffer
      - .actual_access:  read_only
        .address_space:  global
        .offset:         24
        .size:           8
        .value_kind:     global_buffer
      - .actual_access:  read_only
        .address_space:  global
        .offset:         32
        .size:           8
        .value_kind:     global_buffer
      - .actual_access:  read_only
        .address_space:  global
        .offset:         40
        .size:           8
        .value_kind:     global_buffer
      - .offset:         48
        .size:           8
        .value_kind:     by_value
      - .address_space:  global
        .offset:         56
        .size:           8
        .value_kind:     global_buffer
      - .offset:         64
        .size:           4
        .value_kind:     by_value
      - .offset:         68
        .size:           1
        .value_kind:     by_value
    .group_segment_fixed_size: 0
    .kernarg_segment_align: 8
    .kernarg_segment_size: 72
    .language:       OpenCL C
    .language_version:
      - 2
      - 0
    .max_flat_workgroup_size: 128
    .name:           _ZN9rocsparseL19gebsrmvn_2xn_kernelILj128ELj11ELj4EdEEvi20rocsparse_direction_NS_24const_host_device_scalarIT2_EEPKiS6_PKS3_S8_S4_PS3_21rocsparse_index_base_b
    .private_segment_fixed_size: 0
    .sgpr_count:     24
    .sgpr_spill_count: 0
    .symbol:         _ZN9rocsparseL19gebsrmvn_2xn_kernelILj128ELj11ELj4EdEEvi20rocsparse_direction_NS_24const_host_device_scalarIT2_EEPKiS6_PKS3_S8_S4_PS3_21rocsparse_index_base_b.kd
    .uniform_work_group_size: 1
    .uses_dynamic_stack: false
    .vgpr_count:     70
    .vgpr_spill_count: 0
    .wavefront_size: 64
  - .agpr_count:     0
    .args:
      - .offset:         0
        .size:           4
        .value_kind:     by_value
      - .offset:         4
        .size:           4
        .value_kind:     by_value
      - .offset:         8
        .size:           8
        .value_kind:     by_value
      - .actual_access:  read_only
        .address_space:  global
        .offset:         16
        .size:           8
        .value_kind:     global_buffer
      - .actual_access:  read_only
        .address_space:  global
        .offset:         24
        .size:           8
        .value_kind:     global_buffer
      - .actual_access:  read_only
        .address_space:  global
        .offset:         32
        .size:           8
        .value_kind:     global_buffer
      - .actual_access:  read_only
        .address_space:  global
        .offset:         40
        .size:           8
        .value_kind:     global_buffer
      - .offset:         48
        .size:           8
        .value_kind:     by_value
      - .address_space:  global
        .offset:         56
        .size:           8
        .value_kind:     global_buffer
      - .offset:         64
        .size:           4
        .value_kind:     by_value
      - .offset:         68
        .size:           1
        .value_kind:     by_value
    .group_segment_fixed_size: 0
    .kernarg_segment_align: 8
    .kernarg_segment_size: 72
    .language:       OpenCL C
    .language_version:
      - 2
      - 0
    .max_flat_workgroup_size: 128
    .name:           _ZN9rocsparseL19gebsrmvn_2xn_kernelILj128ELj11ELj8EdEEvi20rocsparse_direction_NS_24const_host_device_scalarIT2_EEPKiS6_PKS3_S8_S4_PS3_21rocsparse_index_base_b
    .private_segment_fixed_size: 0
    .sgpr_count:     24
    .sgpr_spill_count: 0
    .symbol:         _ZN9rocsparseL19gebsrmvn_2xn_kernelILj128ELj11ELj8EdEEvi20rocsparse_direction_NS_24const_host_device_scalarIT2_EEPKiS6_PKS3_S8_S4_PS3_21rocsparse_index_base_b.kd
    .uniform_work_group_size: 1
    .uses_dynamic_stack: false
    .vgpr_count:     70
    .vgpr_spill_count: 0
    .wavefront_size: 64
  - .agpr_count:     0
    .args:
      - .offset:         0
        .size:           4
        .value_kind:     by_value
      - .offset:         4
        .size:           4
        .value_kind:     by_value
      - .offset:         8
        .size:           8
        .value_kind:     by_value
      - .actual_access:  read_only
        .address_space:  global
        .offset:         16
        .size:           8
        .value_kind:     global_buffer
      - .actual_access:  read_only
        .address_space:  global
        .offset:         24
        .size:           8
        .value_kind:     global_buffer
      - .actual_access:  read_only
        .address_space:  global
        .offset:         32
        .size:           8
        .value_kind:     global_buffer
      - .actual_access:  read_only
        .address_space:  global
        .offset:         40
        .size:           8
        .value_kind:     global_buffer
      - .offset:         48
        .size:           8
        .value_kind:     by_value
      - .address_space:  global
        .offset:         56
        .size:           8
        .value_kind:     global_buffer
      - .offset:         64
        .size:           4
        .value_kind:     by_value
      - .offset:         68
        .size:           1
        .value_kind:     by_value
    .group_segment_fixed_size: 0
    .kernarg_segment_align: 8
    .kernarg_segment_size: 72
    .language:       OpenCL C
    .language_version:
      - 2
      - 0
    .max_flat_workgroup_size: 128
    .name:           _ZN9rocsparseL19gebsrmvn_2xn_kernelILj128ELj11ELj16EdEEvi20rocsparse_direction_NS_24const_host_device_scalarIT2_EEPKiS6_PKS3_S8_S4_PS3_21rocsparse_index_base_b
    .private_segment_fixed_size: 0
    .sgpr_count:     24
    .sgpr_spill_count: 0
    .symbol:         _ZN9rocsparseL19gebsrmvn_2xn_kernelILj128ELj11ELj16EdEEvi20rocsparse_direction_NS_24const_host_device_scalarIT2_EEPKiS6_PKS3_S8_S4_PS3_21rocsparse_index_base_b.kd
    .uniform_work_group_size: 1
    .uses_dynamic_stack: false
    .vgpr_count:     70
    .vgpr_spill_count: 0
    .wavefront_size: 64
  - .agpr_count:     0
    .args:
      - .offset:         0
        .size:           4
        .value_kind:     by_value
      - .offset:         4
        .size:           4
        .value_kind:     by_value
      - .offset:         8
        .size:           8
        .value_kind:     by_value
      - .actual_access:  read_only
        .address_space:  global
        .offset:         16
        .size:           8
        .value_kind:     global_buffer
      - .actual_access:  read_only
        .address_space:  global
        .offset:         24
        .size:           8
        .value_kind:     global_buffer
      - .actual_access:  read_only
        .address_space:  global
        .offset:         32
        .size:           8
        .value_kind:     global_buffer
      - .actual_access:  read_only
        .address_space:  global
        .offset:         40
        .size:           8
        .value_kind:     global_buffer
      - .offset:         48
        .size:           8
        .value_kind:     by_value
      - .address_space:  global
        .offset:         56
        .size:           8
        .value_kind:     global_buffer
      - .offset:         64
        .size:           4
        .value_kind:     by_value
      - .offset:         68
        .size:           1
        .value_kind:     by_value
    .group_segment_fixed_size: 0
    .kernarg_segment_align: 8
    .kernarg_segment_size: 72
    .language:       OpenCL C
    .language_version:
      - 2
      - 0
    .max_flat_workgroup_size: 128
    .name:           _ZN9rocsparseL19gebsrmvn_2xn_kernelILj128ELj11ELj32EdEEvi20rocsparse_direction_NS_24const_host_device_scalarIT2_EEPKiS6_PKS3_S8_S4_PS3_21rocsparse_index_base_b
    .private_segment_fixed_size: 0
    .sgpr_count:     24
    .sgpr_spill_count: 0
    .symbol:         _ZN9rocsparseL19gebsrmvn_2xn_kernelILj128ELj11ELj32EdEEvi20rocsparse_direction_NS_24const_host_device_scalarIT2_EEPKiS6_PKS3_S8_S4_PS3_21rocsparse_index_base_b.kd
    .uniform_work_group_size: 1
    .uses_dynamic_stack: false
    .vgpr_count:     70
    .vgpr_spill_count: 0
    .wavefront_size: 64
  - .agpr_count:     0
    .args:
      - .offset:         0
        .size:           4
        .value_kind:     by_value
      - .offset:         4
        .size:           4
        .value_kind:     by_value
      - .offset:         8
        .size:           8
        .value_kind:     by_value
      - .actual_access:  read_only
        .address_space:  global
        .offset:         16
        .size:           8
        .value_kind:     global_buffer
      - .actual_access:  read_only
        .address_space:  global
        .offset:         24
        .size:           8
        .value_kind:     global_buffer
      - .actual_access:  read_only
        .address_space:  global
        .offset:         32
        .size:           8
        .value_kind:     global_buffer
      - .actual_access:  read_only
        .address_space:  global
        .offset:         40
        .size:           8
        .value_kind:     global_buffer
      - .offset:         48
        .size:           8
        .value_kind:     by_value
      - .address_space:  global
        .offset:         56
        .size:           8
        .value_kind:     global_buffer
      - .offset:         64
        .size:           4
        .value_kind:     by_value
      - .offset:         68
        .size:           1
        .value_kind:     by_value
    .group_segment_fixed_size: 0
    .kernarg_segment_align: 8
    .kernarg_segment_size: 72
    .language:       OpenCL C
    .language_version:
      - 2
      - 0
    .max_flat_workgroup_size: 128
    .name:           _ZN9rocsparseL19gebsrmvn_2xn_kernelILj128ELj11ELj64EdEEvi20rocsparse_direction_NS_24const_host_device_scalarIT2_EEPKiS6_PKS3_S8_S4_PS3_21rocsparse_index_base_b
    .private_segment_fixed_size: 0
    .sgpr_count:     24
    .sgpr_spill_count: 0
    .symbol:         _ZN9rocsparseL19gebsrmvn_2xn_kernelILj128ELj11ELj64EdEEvi20rocsparse_direction_NS_24const_host_device_scalarIT2_EEPKiS6_PKS3_S8_S4_PS3_21rocsparse_index_base_b.kd
    .uniform_work_group_size: 1
    .uses_dynamic_stack: false
    .vgpr_count:     70
    .vgpr_spill_count: 0
    .wavefront_size: 64
  - .agpr_count:     0
    .args:
      - .offset:         0
        .size:           4
        .value_kind:     by_value
      - .offset:         4
        .size:           4
        .value_kind:     by_value
      - .offset:         8
        .size:           8
        .value_kind:     by_value
      - .actual_access:  read_only
        .address_space:  global
        .offset:         16
        .size:           8
        .value_kind:     global_buffer
      - .actual_access:  read_only
        .address_space:  global
        .offset:         24
        .size:           8
        .value_kind:     global_buffer
      - .actual_access:  read_only
        .address_space:  global
        .offset:         32
        .size:           8
        .value_kind:     global_buffer
      - .actual_access:  read_only
        .address_space:  global
        .offset:         40
        .size:           8
        .value_kind:     global_buffer
      - .offset:         48
        .size:           8
        .value_kind:     by_value
      - .address_space:  global
        .offset:         56
        .size:           8
        .value_kind:     global_buffer
      - .offset:         64
        .size:           4
        .value_kind:     by_value
      - .offset:         68
        .size:           1
        .value_kind:     by_value
    .group_segment_fixed_size: 0
    .kernarg_segment_align: 8
    .kernarg_segment_size: 72
    .language:       OpenCL C
    .language_version:
      - 2
      - 0
    .max_flat_workgroup_size: 128
    .name:           _ZN9rocsparseL19gebsrmvn_2xn_kernelILj128ELj12ELj4EdEEvi20rocsparse_direction_NS_24const_host_device_scalarIT2_EEPKiS6_PKS3_S8_S4_PS3_21rocsparse_index_base_b
    .private_segment_fixed_size: 0
    .sgpr_count:     24
    .sgpr_spill_count: 0
    .symbol:         _ZN9rocsparseL19gebsrmvn_2xn_kernelILj128ELj12ELj4EdEEvi20rocsparse_direction_NS_24const_host_device_scalarIT2_EEPKiS6_PKS3_S8_S4_PS3_21rocsparse_index_base_b.kd
    .uniform_work_group_size: 1
    .uses_dynamic_stack: false
    .vgpr_count:     86
    .vgpr_spill_count: 0
    .wavefront_size: 64
  - .agpr_count:     0
    .args:
      - .offset:         0
        .size:           4
        .value_kind:     by_value
      - .offset:         4
        .size:           4
        .value_kind:     by_value
      - .offset:         8
        .size:           8
        .value_kind:     by_value
      - .actual_access:  read_only
        .address_space:  global
        .offset:         16
        .size:           8
        .value_kind:     global_buffer
      - .actual_access:  read_only
        .address_space:  global
        .offset:         24
        .size:           8
        .value_kind:     global_buffer
      - .actual_access:  read_only
        .address_space:  global
        .offset:         32
        .size:           8
        .value_kind:     global_buffer
      - .actual_access:  read_only
        .address_space:  global
        .offset:         40
        .size:           8
        .value_kind:     global_buffer
      - .offset:         48
        .size:           8
        .value_kind:     by_value
      - .address_space:  global
        .offset:         56
        .size:           8
        .value_kind:     global_buffer
      - .offset:         64
        .size:           4
        .value_kind:     by_value
      - .offset:         68
        .size:           1
        .value_kind:     by_value
    .group_segment_fixed_size: 0
    .kernarg_segment_align: 8
    .kernarg_segment_size: 72
    .language:       OpenCL C
    .language_version:
      - 2
      - 0
    .max_flat_workgroup_size: 128
    .name:           _ZN9rocsparseL19gebsrmvn_2xn_kernelILj128ELj12ELj8EdEEvi20rocsparse_direction_NS_24const_host_device_scalarIT2_EEPKiS6_PKS3_S8_S4_PS3_21rocsparse_index_base_b
    .private_segment_fixed_size: 0
    .sgpr_count:     24
    .sgpr_spill_count: 0
    .symbol:         _ZN9rocsparseL19gebsrmvn_2xn_kernelILj128ELj12ELj8EdEEvi20rocsparse_direction_NS_24const_host_device_scalarIT2_EEPKiS6_PKS3_S8_S4_PS3_21rocsparse_index_base_b.kd
    .uniform_work_group_size: 1
    .uses_dynamic_stack: false
    .vgpr_count:     86
    .vgpr_spill_count: 0
    .wavefront_size: 64
  - .agpr_count:     0
    .args:
      - .offset:         0
        .size:           4
        .value_kind:     by_value
      - .offset:         4
        .size:           4
        .value_kind:     by_value
      - .offset:         8
        .size:           8
        .value_kind:     by_value
      - .actual_access:  read_only
        .address_space:  global
        .offset:         16
        .size:           8
        .value_kind:     global_buffer
      - .actual_access:  read_only
        .address_space:  global
        .offset:         24
        .size:           8
        .value_kind:     global_buffer
      - .actual_access:  read_only
        .address_space:  global
        .offset:         32
        .size:           8
        .value_kind:     global_buffer
      - .actual_access:  read_only
        .address_space:  global
        .offset:         40
        .size:           8
        .value_kind:     global_buffer
      - .offset:         48
        .size:           8
        .value_kind:     by_value
      - .address_space:  global
        .offset:         56
        .size:           8
        .value_kind:     global_buffer
      - .offset:         64
        .size:           4
        .value_kind:     by_value
      - .offset:         68
        .size:           1
        .value_kind:     by_value
    .group_segment_fixed_size: 0
    .kernarg_segment_align: 8
    .kernarg_segment_size: 72
    .language:       OpenCL C
    .language_version:
      - 2
      - 0
    .max_flat_workgroup_size: 128
    .name:           _ZN9rocsparseL19gebsrmvn_2xn_kernelILj128ELj12ELj16EdEEvi20rocsparse_direction_NS_24const_host_device_scalarIT2_EEPKiS6_PKS3_S8_S4_PS3_21rocsparse_index_base_b
    .private_segment_fixed_size: 0
    .sgpr_count:     24
    .sgpr_spill_count: 0
    .symbol:         _ZN9rocsparseL19gebsrmvn_2xn_kernelILj128ELj12ELj16EdEEvi20rocsparse_direction_NS_24const_host_device_scalarIT2_EEPKiS6_PKS3_S8_S4_PS3_21rocsparse_index_base_b.kd
    .uniform_work_group_size: 1
    .uses_dynamic_stack: false
    .vgpr_count:     86
    .vgpr_spill_count: 0
    .wavefront_size: 64
  - .agpr_count:     0
    .args:
      - .offset:         0
        .size:           4
        .value_kind:     by_value
      - .offset:         4
        .size:           4
        .value_kind:     by_value
      - .offset:         8
        .size:           8
        .value_kind:     by_value
      - .actual_access:  read_only
        .address_space:  global
        .offset:         16
        .size:           8
        .value_kind:     global_buffer
      - .actual_access:  read_only
        .address_space:  global
        .offset:         24
        .size:           8
        .value_kind:     global_buffer
      - .actual_access:  read_only
        .address_space:  global
        .offset:         32
        .size:           8
        .value_kind:     global_buffer
      - .actual_access:  read_only
        .address_space:  global
        .offset:         40
        .size:           8
        .value_kind:     global_buffer
      - .offset:         48
        .size:           8
        .value_kind:     by_value
      - .address_space:  global
        .offset:         56
        .size:           8
        .value_kind:     global_buffer
      - .offset:         64
        .size:           4
        .value_kind:     by_value
      - .offset:         68
        .size:           1
        .value_kind:     by_value
    .group_segment_fixed_size: 0
    .kernarg_segment_align: 8
    .kernarg_segment_size: 72
    .language:       OpenCL C
    .language_version:
      - 2
      - 0
    .max_flat_workgroup_size: 128
    .name:           _ZN9rocsparseL19gebsrmvn_2xn_kernelILj128ELj12ELj32EdEEvi20rocsparse_direction_NS_24const_host_device_scalarIT2_EEPKiS6_PKS3_S8_S4_PS3_21rocsparse_index_base_b
    .private_segment_fixed_size: 0
    .sgpr_count:     24
    .sgpr_spill_count: 0
    .symbol:         _ZN9rocsparseL19gebsrmvn_2xn_kernelILj128ELj12ELj32EdEEvi20rocsparse_direction_NS_24const_host_device_scalarIT2_EEPKiS6_PKS3_S8_S4_PS3_21rocsparse_index_base_b.kd
    .uniform_work_group_size: 1
    .uses_dynamic_stack: false
    .vgpr_count:     86
    .vgpr_spill_count: 0
    .wavefront_size: 64
  - .agpr_count:     0
    .args:
      - .offset:         0
        .size:           4
        .value_kind:     by_value
      - .offset:         4
        .size:           4
        .value_kind:     by_value
      - .offset:         8
        .size:           8
        .value_kind:     by_value
      - .actual_access:  read_only
        .address_space:  global
        .offset:         16
        .size:           8
        .value_kind:     global_buffer
      - .actual_access:  read_only
        .address_space:  global
        .offset:         24
        .size:           8
        .value_kind:     global_buffer
      - .actual_access:  read_only
        .address_space:  global
        .offset:         32
        .size:           8
        .value_kind:     global_buffer
      - .actual_access:  read_only
        .address_space:  global
        .offset:         40
        .size:           8
        .value_kind:     global_buffer
      - .offset:         48
        .size:           8
        .value_kind:     by_value
      - .address_space:  global
        .offset:         56
        .size:           8
        .value_kind:     global_buffer
      - .offset:         64
        .size:           4
        .value_kind:     by_value
      - .offset:         68
        .size:           1
        .value_kind:     by_value
    .group_segment_fixed_size: 0
    .kernarg_segment_align: 8
    .kernarg_segment_size: 72
    .language:       OpenCL C
    .language_version:
      - 2
      - 0
    .max_flat_workgroup_size: 128
    .name:           _ZN9rocsparseL19gebsrmvn_2xn_kernelILj128ELj12ELj64EdEEvi20rocsparse_direction_NS_24const_host_device_scalarIT2_EEPKiS6_PKS3_S8_S4_PS3_21rocsparse_index_base_b
    .private_segment_fixed_size: 0
    .sgpr_count:     24
    .sgpr_spill_count: 0
    .symbol:         _ZN9rocsparseL19gebsrmvn_2xn_kernelILj128ELj12ELj64EdEEvi20rocsparse_direction_NS_24const_host_device_scalarIT2_EEPKiS6_PKS3_S8_S4_PS3_21rocsparse_index_base_b.kd
    .uniform_work_group_size: 1
    .uses_dynamic_stack: false
    .vgpr_count:     86
    .vgpr_spill_count: 0
    .wavefront_size: 64
  - .agpr_count:     0
    .args:
      - .offset:         0
        .size:           4
        .value_kind:     by_value
      - .offset:         4
        .size:           4
        .value_kind:     by_value
      - .offset:         8
        .size:           8
        .value_kind:     by_value
      - .actual_access:  read_only
        .address_space:  global
        .offset:         16
        .size:           8
        .value_kind:     global_buffer
      - .actual_access:  read_only
        .address_space:  global
        .offset:         24
        .size:           8
        .value_kind:     global_buffer
      - .actual_access:  read_only
        .address_space:  global
        .offset:         32
        .size:           8
        .value_kind:     global_buffer
      - .actual_access:  read_only
        .address_space:  global
        .offset:         40
        .size:           8
        .value_kind:     global_buffer
      - .offset:         48
        .size:           8
        .value_kind:     by_value
      - .address_space:  global
        .offset:         56
        .size:           8
        .value_kind:     global_buffer
      - .offset:         64
        .size:           4
        .value_kind:     by_value
      - .offset:         68
        .size:           1
        .value_kind:     by_value
    .group_segment_fixed_size: 0
    .kernarg_segment_align: 8
    .kernarg_segment_size: 72
    .language:       OpenCL C
    .language_version:
      - 2
      - 0
    .max_flat_workgroup_size: 128
    .name:           _ZN9rocsparseL19gebsrmvn_2xn_kernelILj128ELj13ELj4EdEEvi20rocsparse_direction_NS_24const_host_device_scalarIT2_EEPKiS6_PKS3_S8_S4_PS3_21rocsparse_index_base_b
    .private_segment_fixed_size: 0
    .sgpr_count:     24
    .sgpr_spill_count: 0
    .symbol:         _ZN9rocsparseL19gebsrmvn_2xn_kernelILj128ELj13ELj4EdEEvi20rocsparse_direction_NS_24const_host_device_scalarIT2_EEPKiS6_PKS3_S8_S4_PS3_21rocsparse_index_base_b.kd
    .uniform_work_group_size: 1
    .uses_dynamic_stack: false
    .vgpr_count:     70
    .vgpr_spill_count: 0
    .wavefront_size: 64
  - .agpr_count:     0
    .args:
      - .offset:         0
        .size:           4
        .value_kind:     by_value
      - .offset:         4
        .size:           4
        .value_kind:     by_value
      - .offset:         8
        .size:           8
        .value_kind:     by_value
      - .actual_access:  read_only
        .address_space:  global
        .offset:         16
        .size:           8
        .value_kind:     global_buffer
      - .actual_access:  read_only
        .address_space:  global
        .offset:         24
        .size:           8
        .value_kind:     global_buffer
      - .actual_access:  read_only
        .address_space:  global
        .offset:         32
        .size:           8
        .value_kind:     global_buffer
      - .actual_access:  read_only
        .address_space:  global
        .offset:         40
        .size:           8
        .value_kind:     global_buffer
      - .offset:         48
        .size:           8
        .value_kind:     by_value
      - .address_space:  global
        .offset:         56
        .size:           8
        .value_kind:     global_buffer
      - .offset:         64
        .size:           4
        .value_kind:     by_value
      - .offset:         68
        .size:           1
        .value_kind:     by_value
    .group_segment_fixed_size: 0
    .kernarg_segment_align: 8
    .kernarg_segment_size: 72
    .language:       OpenCL C
    .language_version:
      - 2
      - 0
    .max_flat_workgroup_size: 128
    .name:           _ZN9rocsparseL19gebsrmvn_2xn_kernelILj128ELj13ELj8EdEEvi20rocsparse_direction_NS_24const_host_device_scalarIT2_EEPKiS6_PKS3_S8_S4_PS3_21rocsparse_index_base_b
    .private_segment_fixed_size: 0
    .sgpr_count:     24
    .sgpr_spill_count: 0
    .symbol:         _ZN9rocsparseL19gebsrmvn_2xn_kernelILj128ELj13ELj8EdEEvi20rocsparse_direction_NS_24const_host_device_scalarIT2_EEPKiS6_PKS3_S8_S4_PS3_21rocsparse_index_base_b.kd
    .uniform_work_group_size: 1
    .uses_dynamic_stack: false
    .vgpr_count:     70
    .vgpr_spill_count: 0
    .wavefront_size: 64
  - .agpr_count:     0
    .args:
      - .offset:         0
        .size:           4
        .value_kind:     by_value
      - .offset:         4
        .size:           4
        .value_kind:     by_value
      - .offset:         8
        .size:           8
        .value_kind:     by_value
      - .actual_access:  read_only
        .address_space:  global
        .offset:         16
        .size:           8
        .value_kind:     global_buffer
      - .actual_access:  read_only
        .address_space:  global
        .offset:         24
        .size:           8
        .value_kind:     global_buffer
      - .actual_access:  read_only
        .address_space:  global
        .offset:         32
        .size:           8
        .value_kind:     global_buffer
      - .actual_access:  read_only
        .address_space:  global
        .offset:         40
        .size:           8
        .value_kind:     global_buffer
      - .offset:         48
        .size:           8
        .value_kind:     by_value
      - .address_space:  global
        .offset:         56
        .size:           8
        .value_kind:     global_buffer
      - .offset:         64
        .size:           4
        .value_kind:     by_value
      - .offset:         68
        .size:           1
        .value_kind:     by_value
    .group_segment_fixed_size: 0
    .kernarg_segment_align: 8
    .kernarg_segment_size: 72
    .language:       OpenCL C
    .language_version:
      - 2
      - 0
    .max_flat_workgroup_size: 128
    .name:           _ZN9rocsparseL19gebsrmvn_2xn_kernelILj128ELj13ELj16EdEEvi20rocsparse_direction_NS_24const_host_device_scalarIT2_EEPKiS6_PKS3_S8_S4_PS3_21rocsparse_index_base_b
    .private_segment_fixed_size: 0
    .sgpr_count:     24
    .sgpr_spill_count: 0
    .symbol:         _ZN9rocsparseL19gebsrmvn_2xn_kernelILj128ELj13ELj16EdEEvi20rocsparse_direction_NS_24const_host_device_scalarIT2_EEPKiS6_PKS3_S8_S4_PS3_21rocsparse_index_base_b.kd
    .uniform_work_group_size: 1
    .uses_dynamic_stack: false
    .vgpr_count:     70
    .vgpr_spill_count: 0
    .wavefront_size: 64
  - .agpr_count:     0
    .args:
      - .offset:         0
        .size:           4
        .value_kind:     by_value
      - .offset:         4
        .size:           4
        .value_kind:     by_value
      - .offset:         8
        .size:           8
        .value_kind:     by_value
      - .actual_access:  read_only
        .address_space:  global
        .offset:         16
        .size:           8
        .value_kind:     global_buffer
      - .actual_access:  read_only
        .address_space:  global
        .offset:         24
        .size:           8
        .value_kind:     global_buffer
      - .actual_access:  read_only
        .address_space:  global
        .offset:         32
        .size:           8
        .value_kind:     global_buffer
      - .actual_access:  read_only
        .address_space:  global
        .offset:         40
        .size:           8
        .value_kind:     global_buffer
      - .offset:         48
        .size:           8
        .value_kind:     by_value
      - .address_space:  global
        .offset:         56
        .size:           8
        .value_kind:     global_buffer
      - .offset:         64
        .size:           4
        .value_kind:     by_value
      - .offset:         68
        .size:           1
        .value_kind:     by_value
    .group_segment_fixed_size: 0
    .kernarg_segment_align: 8
    .kernarg_segment_size: 72
    .language:       OpenCL C
    .language_version:
      - 2
      - 0
    .max_flat_workgroup_size: 128
    .name:           _ZN9rocsparseL19gebsrmvn_2xn_kernelILj128ELj13ELj32EdEEvi20rocsparse_direction_NS_24const_host_device_scalarIT2_EEPKiS6_PKS3_S8_S4_PS3_21rocsparse_index_base_b
    .private_segment_fixed_size: 0
    .sgpr_count:     24
    .sgpr_spill_count: 0
    .symbol:         _ZN9rocsparseL19gebsrmvn_2xn_kernelILj128ELj13ELj32EdEEvi20rocsparse_direction_NS_24const_host_device_scalarIT2_EEPKiS6_PKS3_S8_S4_PS3_21rocsparse_index_base_b.kd
    .uniform_work_group_size: 1
    .uses_dynamic_stack: false
    .vgpr_count:     70
    .vgpr_spill_count: 0
    .wavefront_size: 64
  - .agpr_count:     0
    .args:
      - .offset:         0
        .size:           4
        .value_kind:     by_value
      - .offset:         4
        .size:           4
        .value_kind:     by_value
      - .offset:         8
        .size:           8
        .value_kind:     by_value
      - .actual_access:  read_only
        .address_space:  global
        .offset:         16
        .size:           8
        .value_kind:     global_buffer
      - .actual_access:  read_only
        .address_space:  global
        .offset:         24
        .size:           8
        .value_kind:     global_buffer
      - .actual_access:  read_only
        .address_space:  global
        .offset:         32
        .size:           8
        .value_kind:     global_buffer
      - .actual_access:  read_only
        .address_space:  global
        .offset:         40
        .size:           8
        .value_kind:     global_buffer
      - .offset:         48
        .size:           8
        .value_kind:     by_value
      - .address_space:  global
        .offset:         56
        .size:           8
        .value_kind:     global_buffer
      - .offset:         64
        .size:           4
        .value_kind:     by_value
      - .offset:         68
        .size:           1
        .value_kind:     by_value
    .group_segment_fixed_size: 0
    .kernarg_segment_align: 8
    .kernarg_segment_size: 72
    .language:       OpenCL C
    .language_version:
      - 2
      - 0
    .max_flat_workgroup_size: 128
    .name:           _ZN9rocsparseL19gebsrmvn_2xn_kernelILj128ELj13ELj64EdEEvi20rocsparse_direction_NS_24const_host_device_scalarIT2_EEPKiS6_PKS3_S8_S4_PS3_21rocsparse_index_base_b
    .private_segment_fixed_size: 0
    .sgpr_count:     24
    .sgpr_spill_count: 0
    .symbol:         _ZN9rocsparseL19gebsrmvn_2xn_kernelILj128ELj13ELj64EdEEvi20rocsparse_direction_NS_24const_host_device_scalarIT2_EEPKiS6_PKS3_S8_S4_PS3_21rocsparse_index_base_b.kd
    .uniform_work_group_size: 1
    .uses_dynamic_stack: false
    .vgpr_count:     70
    .vgpr_spill_count: 0
    .wavefront_size: 64
  - .agpr_count:     0
    .args:
      - .offset:         0
        .size:           4
        .value_kind:     by_value
      - .offset:         4
        .size:           4
        .value_kind:     by_value
      - .offset:         8
        .size:           8
        .value_kind:     by_value
      - .actual_access:  read_only
        .address_space:  global
        .offset:         16
        .size:           8
        .value_kind:     global_buffer
      - .actual_access:  read_only
        .address_space:  global
        .offset:         24
        .size:           8
        .value_kind:     global_buffer
      - .actual_access:  read_only
        .address_space:  global
        .offset:         32
        .size:           8
        .value_kind:     global_buffer
      - .actual_access:  read_only
        .address_space:  global
        .offset:         40
        .size:           8
        .value_kind:     global_buffer
      - .offset:         48
        .size:           8
        .value_kind:     by_value
      - .address_space:  global
        .offset:         56
        .size:           8
        .value_kind:     global_buffer
      - .offset:         64
        .size:           4
        .value_kind:     by_value
      - .offset:         68
        .size:           1
        .value_kind:     by_value
    .group_segment_fixed_size: 0
    .kernarg_segment_align: 8
    .kernarg_segment_size: 72
    .language:       OpenCL C
    .language_version:
      - 2
      - 0
    .max_flat_workgroup_size: 128
    .name:           _ZN9rocsparseL19gebsrmvn_2xn_kernelILj128ELj14ELj4EdEEvi20rocsparse_direction_NS_24const_host_device_scalarIT2_EEPKiS6_PKS3_S8_S4_PS3_21rocsparse_index_base_b
    .private_segment_fixed_size: 0
    .sgpr_count:     24
    .sgpr_spill_count: 0
    .symbol:         _ZN9rocsparseL19gebsrmvn_2xn_kernelILj128ELj14ELj4EdEEvi20rocsparse_direction_NS_24const_host_device_scalarIT2_EEPKiS6_PKS3_S8_S4_PS3_21rocsparse_index_base_b.kd
    .uniform_work_group_size: 1
    .uses_dynamic_stack: false
    .vgpr_count:     88
    .vgpr_spill_count: 0
    .wavefront_size: 64
  - .agpr_count:     0
    .args:
      - .offset:         0
        .size:           4
        .value_kind:     by_value
      - .offset:         4
        .size:           4
        .value_kind:     by_value
      - .offset:         8
        .size:           8
        .value_kind:     by_value
      - .actual_access:  read_only
        .address_space:  global
        .offset:         16
        .size:           8
        .value_kind:     global_buffer
      - .actual_access:  read_only
        .address_space:  global
        .offset:         24
        .size:           8
        .value_kind:     global_buffer
      - .actual_access:  read_only
        .address_space:  global
        .offset:         32
        .size:           8
        .value_kind:     global_buffer
      - .actual_access:  read_only
        .address_space:  global
        .offset:         40
        .size:           8
        .value_kind:     global_buffer
      - .offset:         48
        .size:           8
        .value_kind:     by_value
      - .address_space:  global
        .offset:         56
        .size:           8
        .value_kind:     global_buffer
      - .offset:         64
        .size:           4
        .value_kind:     by_value
      - .offset:         68
        .size:           1
        .value_kind:     by_value
    .group_segment_fixed_size: 0
    .kernarg_segment_align: 8
    .kernarg_segment_size: 72
    .language:       OpenCL C
    .language_version:
      - 2
      - 0
    .max_flat_workgroup_size: 128
    .name:           _ZN9rocsparseL19gebsrmvn_2xn_kernelILj128ELj14ELj8EdEEvi20rocsparse_direction_NS_24const_host_device_scalarIT2_EEPKiS6_PKS3_S8_S4_PS3_21rocsparse_index_base_b
    .private_segment_fixed_size: 0
    .sgpr_count:     24
    .sgpr_spill_count: 0
    .symbol:         _ZN9rocsparseL19gebsrmvn_2xn_kernelILj128ELj14ELj8EdEEvi20rocsparse_direction_NS_24const_host_device_scalarIT2_EEPKiS6_PKS3_S8_S4_PS3_21rocsparse_index_base_b.kd
    .uniform_work_group_size: 1
    .uses_dynamic_stack: false
    .vgpr_count:     88
    .vgpr_spill_count: 0
    .wavefront_size: 64
  - .agpr_count:     0
    .args:
      - .offset:         0
        .size:           4
        .value_kind:     by_value
      - .offset:         4
        .size:           4
        .value_kind:     by_value
      - .offset:         8
        .size:           8
        .value_kind:     by_value
      - .actual_access:  read_only
        .address_space:  global
        .offset:         16
        .size:           8
        .value_kind:     global_buffer
      - .actual_access:  read_only
        .address_space:  global
        .offset:         24
        .size:           8
        .value_kind:     global_buffer
      - .actual_access:  read_only
        .address_space:  global
        .offset:         32
        .size:           8
        .value_kind:     global_buffer
      - .actual_access:  read_only
        .address_space:  global
        .offset:         40
        .size:           8
        .value_kind:     global_buffer
      - .offset:         48
        .size:           8
        .value_kind:     by_value
      - .address_space:  global
        .offset:         56
        .size:           8
        .value_kind:     global_buffer
      - .offset:         64
        .size:           4
        .value_kind:     by_value
      - .offset:         68
        .size:           1
        .value_kind:     by_value
    .group_segment_fixed_size: 0
    .kernarg_segment_align: 8
    .kernarg_segment_size: 72
    .language:       OpenCL C
    .language_version:
      - 2
      - 0
    .max_flat_workgroup_size: 128
    .name:           _ZN9rocsparseL19gebsrmvn_2xn_kernelILj128ELj14ELj16EdEEvi20rocsparse_direction_NS_24const_host_device_scalarIT2_EEPKiS6_PKS3_S8_S4_PS3_21rocsparse_index_base_b
    .private_segment_fixed_size: 0
    .sgpr_count:     24
    .sgpr_spill_count: 0
    .symbol:         _ZN9rocsparseL19gebsrmvn_2xn_kernelILj128ELj14ELj16EdEEvi20rocsparse_direction_NS_24const_host_device_scalarIT2_EEPKiS6_PKS3_S8_S4_PS3_21rocsparse_index_base_b.kd
    .uniform_work_group_size: 1
    .uses_dynamic_stack: false
    .vgpr_count:     88
    .vgpr_spill_count: 0
    .wavefront_size: 64
  - .agpr_count:     0
    .args:
      - .offset:         0
        .size:           4
        .value_kind:     by_value
      - .offset:         4
        .size:           4
        .value_kind:     by_value
      - .offset:         8
        .size:           8
        .value_kind:     by_value
      - .actual_access:  read_only
        .address_space:  global
        .offset:         16
        .size:           8
        .value_kind:     global_buffer
      - .actual_access:  read_only
        .address_space:  global
        .offset:         24
        .size:           8
        .value_kind:     global_buffer
      - .actual_access:  read_only
        .address_space:  global
        .offset:         32
        .size:           8
        .value_kind:     global_buffer
      - .actual_access:  read_only
        .address_space:  global
        .offset:         40
        .size:           8
        .value_kind:     global_buffer
      - .offset:         48
        .size:           8
        .value_kind:     by_value
      - .address_space:  global
        .offset:         56
        .size:           8
        .value_kind:     global_buffer
      - .offset:         64
        .size:           4
        .value_kind:     by_value
      - .offset:         68
        .size:           1
        .value_kind:     by_value
    .group_segment_fixed_size: 0
    .kernarg_segment_align: 8
    .kernarg_segment_size: 72
    .language:       OpenCL C
    .language_version:
      - 2
      - 0
    .max_flat_workgroup_size: 128
    .name:           _ZN9rocsparseL19gebsrmvn_2xn_kernelILj128ELj14ELj32EdEEvi20rocsparse_direction_NS_24const_host_device_scalarIT2_EEPKiS6_PKS3_S8_S4_PS3_21rocsparse_index_base_b
    .private_segment_fixed_size: 0
    .sgpr_count:     24
    .sgpr_spill_count: 0
    .symbol:         _ZN9rocsparseL19gebsrmvn_2xn_kernelILj128ELj14ELj32EdEEvi20rocsparse_direction_NS_24const_host_device_scalarIT2_EEPKiS6_PKS3_S8_S4_PS3_21rocsparse_index_base_b.kd
    .uniform_work_group_size: 1
    .uses_dynamic_stack: false
    .vgpr_count:     88
    .vgpr_spill_count: 0
    .wavefront_size: 64
  - .agpr_count:     0
    .args:
      - .offset:         0
        .size:           4
        .value_kind:     by_value
      - .offset:         4
        .size:           4
        .value_kind:     by_value
      - .offset:         8
        .size:           8
        .value_kind:     by_value
      - .actual_access:  read_only
        .address_space:  global
        .offset:         16
        .size:           8
        .value_kind:     global_buffer
      - .actual_access:  read_only
        .address_space:  global
        .offset:         24
        .size:           8
        .value_kind:     global_buffer
      - .actual_access:  read_only
        .address_space:  global
        .offset:         32
        .size:           8
        .value_kind:     global_buffer
      - .actual_access:  read_only
        .address_space:  global
        .offset:         40
        .size:           8
        .value_kind:     global_buffer
      - .offset:         48
        .size:           8
        .value_kind:     by_value
      - .address_space:  global
        .offset:         56
        .size:           8
        .value_kind:     global_buffer
      - .offset:         64
        .size:           4
        .value_kind:     by_value
      - .offset:         68
        .size:           1
        .value_kind:     by_value
    .group_segment_fixed_size: 0
    .kernarg_segment_align: 8
    .kernarg_segment_size: 72
    .language:       OpenCL C
    .language_version:
      - 2
      - 0
    .max_flat_workgroup_size: 128
    .name:           _ZN9rocsparseL19gebsrmvn_2xn_kernelILj128ELj14ELj64EdEEvi20rocsparse_direction_NS_24const_host_device_scalarIT2_EEPKiS6_PKS3_S8_S4_PS3_21rocsparse_index_base_b
    .private_segment_fixed_size: 0
    .sgpr_count:     24
    .sgpr_spill_count: 0
    .symbol:         _ZN9rocsparseL19gebsrmvn_2xn_kernelILj128ELj14ELj64EdEEvi20rocsparse_direction_NS_24const_host_device_scalarIT2_EEPKiS6_PKS3_S8_S4_PS3_21rocsparse_index_base_b.kd
    .uniform_work_group_size: 1
    .uses_dynamic_stack: false
    .vgpr_count:     88
    .vgpr_spill_count: 0
    .wavefront_size: 64
  - .agpr_count:     0
    .args:
      - .offset:         0
        .size:           4
        .value_kind:     by_value
      - .offset:         4
        .size:           4
        .value_kind:     by_value
      - .offset:         8
        .size:           8
        .value_kind:     by_value
      - .actual_access:  read_only
        .address_space:  global
        .offset:         16
        .size:           8
        .value_kind:     global_buffer
      - .actual_access:  read_only
        .address_space:  global
        .offset:         24
        .size:           8
        .value_kind:     global_buffer
      - .actual_access:  read_only
        .address_space:  global
        .offset:         32
        .size:           8
        .value_kind:     global_buffer
      - .actual_access:  read_only
        .address_space:  global
        .offset:         40
        .size:           8
        .value_kind:     global_buffer
      - .offset:         48
        .size:           8
        .value_kind:     by_value
      - .address_space:  global
        .offset:         56
        .size:           8
        .value_kind:     global_buffer
      - .offset:         64
        .size:           4
        .value_kind:     by_value
      - .offset:         68
        .size:           1
        .value_kind:     by_value
    .group_segment_fixed_size: 0
    .kernarg_segment_align: 8
    .kernarg_segment_size: 72
    .language:       OpenCL C
    .language_version:
      - 2
      - 0
    .max_flat_workgroup_size: 128
    .name:           _ZN9rocsparseL19gebsrmvn_2xn_kernelILj128ELj15ELj4EdEEvi20rocsparse_direction_NS_24const_host_device_scalarIT2_EEPKiS6_PKS3_S8_S4_PS3_21rocsparse_index_base_b
    .private_segment_fixed_size: 0
    .sgpr_count:     24
    .sgpr_spill_count: 0
    .symbol:         _ZN9rocsparseL19gebsrmvn_2xn_kernelILj128ELj15ELj4EdEEvi20rocsparse_direction_NS_24const_host_device_scalarIT2_EEPKiS6_PKS3_S8_S4_PS3_21rocsparse_index_base_b.kd
    .uniform_work_group_size: 1
    .uses_dynamic_stack: false
    .vgpr_count:     70
    .vgpr_spill_count: 0
    .wavefront_size: 64
  - .agpr_count:     0
    .args:
      - .offset:         0
        .size:           4
        .value_kind:     by_value
      - .offset:         4
        .size:           4
        .value_kind:     by_value
      - .offset:         8
        .size:           8
        .value_kind:     by_value
      - .actual_access:  read_only
        .address_space:  global
        .offset:         16
        .size:           8
        .value_kind:     global_buffer
      - .actual_access:  read_only
        .address_space:  global
        .offset:         24
        .size:           8
        .value_kind:     global_buffer
      - .actual_access:  read_only
        .address_space:  global
        .offset:         32
        .size:           8
        .value_kind:     global_buffer
      - .actual_access:  read_only
        .address_space:  global
        .offset:         40
        .size:           8
        .value_kind:     global_buffer
      - .offset:         48
        .size:           8
        .value_kind:     by_value
      - .address_space:  global
        .offset:         56
        .size:           8
        .value_kind:     global_buffer
      - .offset:         64
        .size:           4
        .value_kind:     by_value
      - .offset:         68
        .size:           1
        .value_kind:     by_value
    .group_segment_fixed_size: 0
    .kernarg_segment_align: 8
    .kernarg_segment_size: 72
    .language:       OpenCL C
    .language_version:
      - 2
      - 0
    .max_flat_workgroup_size: 128
    .name:           _ZN9rocsparseL19gebsrmvn_2xn_kernelILj128ELj15ELj8EdEEvi20rocsparse_direction_NS_24const_host_device_scalarIT2_EEPKiS6_PKS3_S8_S4_PS3_21rocsparse_index_base_b
    .private_segment_fixed_size: 0
    .sgpr_count:     24
    .sgpr_spill_count: 0
    .symbol:         _ZN9rocsparseL19gebsrmvn_2xn_kernelILj128ELj15ELj8EdEEvi20rocsparse_direction_NS_24const_host_device_scalarIT2_EEPKiS6_PKS3_S8_S4_PS3_21rocsparse_index_base_b.kd
    .uniform_work_group_size: 1
    .uses_dynamic_stack: false
    .vgpr_count:     70
    .vgpr_spill_count: 0
    .wavefront_size: 64
  - .agpr_count:     0
    .args:
      - .offset:         0
        .size:           4
        .value_kind:     by_value
      - .offset:         4
        .size:           4
        .value_kind:     by_value
      - .offset:         8
        .size:           8
        .value_kind:     by_value
      - .actual_access:  read_only
        .address_space:  global
        .offset:         16
        .size:           8
        .value_kind:     global_buffer
      - .actual_access:  read_only
        .address_space:  global
        .offset:         24
        .size:           8
        .value_kind:     global_buffer
      - .actual_access:  read_only
        .address_space:  global
        .offset:         32
        .size:           8
        .value_kind:     global_buffer
      - .actual_access:  read_only
        .address_space:  global
        .offset:         40
        .size:           8
        .value_kind:     global_buffer
      - .offset:         48
        .size:           8
        .value_kind:     by_value
      - .address_space:  global
        .offset:         56
        .size:           8
        .value_kind:     global_buffer
      - .offset:         64
        .size:           4
        .value_kind:     by_value
      - .offset:         68
        .size:           1
        .value_kind:     by_value
    .group_segment_fixed_size: 0
    .kernarg_segment_align: 8
    .kernarg_segment_size: 72
    .language:       OpenCL C
    .language_version:
      - 2
      - 0
    .max_flat_workgroup_size: 128
    .name:           _ZN9rocsparseL19gebsrmvn_2xn_kernelILj128ELj15ELj16EdEEvi20rocsparse_direction_NS_24const_host_device_scalarIT2_EEPKiS6_PKS3_S8_S4_PS3_21rocsparse_index_base_b
    .private_segment_fixed_size: 0
    .sgpr_count:     24
    .sgpr_spill_count: 0
    .symbol:         _ZN9rocsparseL19gebsrmvn_2xn_kernelILj128ELj15ELj16EdEEvi20rocsparse_direction_NS_24const_host_device_scalarIT2_EEPKiS6_PKS3_S8_S4_PS3_21rocsparse_index_base_b.kd
    .uniform_work_group_size: 1
    .uses_dynamic_stack: false
    .vgpr_count:     70
    .vgpr_spill_count: 0
    .wavefront_size: 64
  - .agpr_count:     0
    .args:
      - .offset:         0
        .size:           4
        .value_kind:     by_value
      - .offset:         4
        .size:           4
        .value_kind:     by_value
      - .offset:         8
        .size:           8
        .value_kind:     by_value
      - .actual_access:  read_only
        .address_space:  global
        .offset:         16
        .size:           8
        .value_kind:     global_buffer
      - .actual_access:  read_only
        .address_space:  global
        .offset:         24
        .size:           8
        .value_kind:     global_buffer
      - .actual_access:  read_only
        .address_space:  global
        .offset:         32
        .size:           8
        .value_kind:     global_buffer
      - .actual_access:  read_only
        .address_space:  global
        .offset:         40
        .size:           8
        .value_kind:     global_buffer
      - .offset:         48
        .size:           8
        .value_kind:     by_value
      - .address_space:  global
        .offset:         56
        .size:           8
        .value_kind:     global_buffer
      - .offset:         64
        .size:           4
        .value_kind:     by_value
      - .offset:         68
        .size:           1
        .value_kind:     by_value
    .group_segment_fixed_size: 0
    .kernarg_segment_align: 8
    .kernarg_segment_size: 72
    .language:       OpenCL C
    .language_version:
      - 2
      - 0
    .max_flat_workgroup_size: 128
    .name:           _ZN9rocsparseL19gebsrmvn_2xn_kernelILj128ELj15ELj32EdEEvi20rocsparse_direction_NS_24const_host_device_scalarIT2_EEPKiS6_PKS3_S8_S4_PS3_21rocsparse_index_base_b
    .private_segment_fixed_size: 0
    .sgpr_count:     24
    .sgpr_spill_count: 0
    .symbol:         _ZN9rocsparseL19gebsrmvn_2xn_kernelILj128ELj15ELj32EdEEvi20rocsparse_direction_NS_24const_host_device_scalarIT2_EEPKiS6_PKS3_S8_S4_PS3_21rocsparse_index_base_b.kd
    .uniform_work_group_size: 1
    .uses_dynamic_stack: false
    .vgpr_count:     70
    .vgpr_spill_count: 0
    .wavefront_size: 64
  - .agpr_count:     0
    .args:
      - .offset:         0
        .size:           4
        .value_kind:     by_value
      - .offset:         4
        .size:           4
        .value_kind:     by_value
      - .offset:         8
        .size:           8
        .value_kind:     by_value
      - .actual_access:  read_only
        .address_space:  global
        .offset:         16
        .size:           8
        .value_kind:     global_buffer
      - .actual_access:  read_only
        .address_space:  global
        .offset:         24
        .size:           8
        .value_kind:     global_buffer
      - .actual_access:  read_only
        .address_space:  global
        .offset:         32
        .size:           8
        .value_kind:     global_buffer
      - .actual_access:  read_only
        .address_space:  global
        .offset:         40
        .size:           8
        .value_kind:     global_buffer
      - .offset:         48
        .size:           8
        .value_kind:     by_value
      - .address_space:  global
        .offset:         56
        .size:           8
        .value_kind:     global_buffer
      - .offset:         64
        .size:           4
        .value_kind:     by_value
      - .offset:         68
        .size:           1
        .value_kind:     by_value
    .group_segment_fixed_size: 0
    .kernarg_segment_align: 8
    .kernarg_segment_size: 72
    .language:       OpenCL C
    .language_version:
      - 2
      - 0
    .max_flat_workgroup_size: 128
    .name:           _ZN9rocsparseL19gebsrmvn_2xn_kernelILj128ELj15ELj64EdEEvi20rocsparse_direction_NS_24const_host_device_scalarIT2_EEPKiS6_PKS3_S8_S4_PS3_21rocsparse_index_base_b
    .private_segment_fixed_size: 0
    .sgpr_count:     24
    .sgpr_spill_count: 0
    .symbol:         _ZN9rocsparseL19gebsrmvn_2xn_kernelILj128ELj15ELj64EdEEvi20rocsparse_direction_NS_24const_host_device_scalarIT2_EEPKiS6_PKS3_S8_S4_PS3_21rocsparse_index_base_b.kd
    .uniform_work_group_size: 1
    .uses_dynamic_stack: false
    .vgpr_count:     70
    .vgpr_spill_count: 0
    .wavefront_size: 64
  - .agpr_count:     0
    .args:
      - .offset:         0
        .size:           4
        .value_kind:     by_value
      - .offset:         4
        .size:           4
        .value_kind:     by_value
      - .offset:         8
        .size:           8
        .value_kind:     by_value
      - .actual_access:  read_only
        .address_space:  global
        .offset:         16
        .size:           8
        .value_kind:     global_buffer
      - .actual_access:  read_only
        .address_space:  global
        .offset:         24
        .size:           8
        .value_kind:     global_buffer
      - .actual_access:  read_only
        .address_space:  global
        .offset:         32
        .size:           8
        .value_kind:     global_buffer
      - .actual_access:  read_only
        .address_space:  global
        .offset:         40
        .size:           8
        .value_kind:     global_buffer
      - .offset:         48
        .size:           8
        .value_kind:     by_value
      - .address_space:  global
        .offset:         56
        .size:           8
        .value_kind:     global_buffer
      - .offset:         64
        .size:           4
        .value_kind:     by_value
      - .offset:         68
        .size:           1
        .value_kind:     by_value
    .group_segment_fixed_size: 0
    .kernarg_segment_align: 8
    .kernarg_segment_size: 72
    .language:       OpenCL C
    .language_version:
      - 2
      - 0
    .max_flat_workgroup_size: 128
    .name:           _ZN9rocsparseL19gebsrmvn_2xn_kernelILj128ELj16ELj4EdEEvi20rocsparse_direction_NS_24const_host_device_scalarIT2_EEPKiS6_PKS3_S8_S4_PS3_21rocsparse_index_base_b
    .private_segment_fixed_size: 0
    .sgpr_count:     24
    .sgpr_spill_count: 0
    .symbol:         _ZN9rocsparseL19gebsrmvn_2xn_kernelILj128ELj16ELj4EdEEvi20rocsparse_direction_NS_24const_host_device_scalarIT2_EEPKiS6_PKS3_S8_S4_PS3_21rocsparse_index_base_b.kd
    .uniform_work_group_size: 1
    .uses_dynamic_stack: false
    .vgpr_count:     86
    .vgpr_spill_count: 0
    .wavefront_size: 64
  - .agpr_count:     0
    .args:
      - .offset:         0
        .size:           4
        .value_kind:     by_value
      - .offset:         4
        .size:           4
        .value_kind:     by_value
      - .offset:         8
        .size:           8
        .value_kind:     by_value
      - .actual_access:  read_only
        .address_space:  global
        .offset:         16
        .size:           8
        .value_kind:     global_buffer
      - .actual_access:  read_only
        .address_space:  global
        .offset:         24
        .size:           8
        .value_kind:     global_buffer
      - .actual_access:  read_only
        .address_space:  global
        .offset:         32
        .size:           8
        .value_kind:     global_buffer
      - .actual_access:  read_only
        .address_space:  global
        .offset:         40
        .size:           8
        .value_kind:     global_buffer
      - .offset:         48
        .size:           8
        .value_kind:     by_value
      - .address_space:  global
        .offset:         56
        .size:           8
        .value_kind:     global_buffer
      - .offset:         64
        .size:           4
        .value_kind:     by_value
      - .offset:         68
        .size:           1
        .value_kind:     by_value
    .group_segment_fixed_size: 0
    .kernarg_segment_align: 8
    .kernarg_segment_size: 72
    .language:       OpenCL C
    .language_version:
      - 2
      - 0
    .max_flat_workgroup_size: 128
    .name:           _ZN9rocsparseL19gebsrmvn_2xn_kernelILj128ELj16ELj8EdEEvi20rocsparse_direction_NS_24const_host_device_scalarIT2_EEPKiS6_PKS3_S8_S4_PS3_21rocsparse_index_base_b
    .private_segment_fixed_size: 0
    .sgpr_count:     24
    .sgpr_spill_count: 0
    .symbol:         _ZN9rocsparseL19gebsrmvn_2xn_kernelILj128ELj16ELj8EdEEvi20rocsparse_direction_NS_24const_host_device_scalarIT2_EEPKiS6_PKS3_S8_S4_PS3_21rocsparse_index_base_b.kd
    .uniform_work_group_size: 1
    .uses_dynamic_stack: false
    .vgpr_count:     86
    .vgpr_spill_count: 0
    .wavefront_size: 64
  - .agpr_count:     0
    .args:
      - .offset:         0
        .size:           4
        .value_kind:     by_value
      - .offset:         4
        .size:           4
        .value_kind:     by_value
      - .offset:         8
        .size:           8
        .value_kind:     by_value
      - .actual_access:  read_only
        .address_space:  global
        .offset:         16
        .size:           8
        .value_kind:     global_buffer
      - .actual_access:  read_only
        .address_space:  global
        .offset:         24
        .size:           8
        .value_kind:     global_buffer
      - .actual_access:  read_only
        .address_space:  global
        .offset:         32
        .size:           8
        .value_kind:     global_buffer
      - .actual_access:  read_only
        .address_space:  global
        .offset:         40
        .size:           8
        .value_kind:     global_buffer
      - .offset:         48
        .size:           8
        .value_kind:     by_value
      - .address_space:  global
        .offset:         56
        .size:           8
        .value_kind:     global_buffer
      - .offset:         64
        .size:           4
        .value_kind:     by_value
      - .offset:         68
        .size:           1
        .value_kind:     by_value
    .group_segment_fixed_size: 0
    .kernarg_segment_align: 8
    .kernarg_segment_size: 72
    .language:       OpenCL C
    .language_version:
      - 2
      - 0
    .max_flat_workgroup_size: 128
    .name:           _ZN9rocsparseL19gebsrmvn_2xn_kernelILj128ELj16ELj16EdEEvi20rocsparse_direction_NS_24const_host_device_scalarIT2_EEPKiS6_PKS3_S8_S4_PS3_21rocsparse_index_base_b
    .private_segment_fixed_size: 0
    .sgpr_count:     24
    .sgpr_spill_count: 0
    .symbol:         _ZN9rocsparseL19gebsrmvn_2xn_kernelILj128ELj16ELj16EdEEvi20rocsparse_direction_NS_24const_host_device_scalarIT2_EEPKiS6_PKS3_S8_S4_PS3_21rocsparse_index_base_b.kd
    .uniform_work_group_size: 1
    .uses_dynamic_stack: false
    .vgpr_count:     86
    .vgpr_spill_count: 0
    .wavefront_size: 64
  - .agpr_count:     0
    .args:
      - .offset:         0
        .size:           4
        .value_kind:     by_value
      - .offset:         4
        .size:           4
        .value_kind:     by_value
      - .offset:         8
        .size:           8
        .value_kind:     by_value
      - .actual_access:  read_only
        .address_space:  global
        .offset:         16
        .size:           8
        .value_kind:     global_buffer
      - .actual_access:  read_only
        .address_space:  global
        .offset:         24
        .size:           8
        .value_kind:     global_buffer
      - .actual_access:  read_only
        .address_space:  global
        .offset:         32
        .size:           8
        .value_kind:     global_buffer
      - .actual_access:  read_only
        .address_space:  global
        .offset:         40
        .size:           8
        .value_kind:     global_buffer
      - .offset:         48
        .size:           8
        .value_kind:     by_value
      - .address_space:  global
        .offset:         56
        .size:           8
        .value_kind:     global_buffer
      - .offset:         64
        .size:           4
        .value_kind:     by_value
      - .offset:         68
        .size:           1
        .value_kind:     by_value
    .group_segment_fixed_size: 0
    .kernarg_segment_align: 8
    .kernarg_segment_size: 72
    .language:       OpenCL C
    .language_version:
      - 2
      - 0
    .max_flat_workgroup_size: 128
    .name:           _ZN9rocsparseL19gebsrmvn_2xn_kernelILj128ELj16ELj32EdEEvi20rocsparse_direction_NS_24const_host_device_scalarIT2_EEPKiS6_PKS3_S8_S4_PS3_21rocsparse_index_base_b
    .private_segment_fixed_size: 0
    .sgpr_count:     24
    .sgpr_spill_count: 0
    .symbol:         _ZN9rocsparseL19gebsrmvn_2xn_kernelILj128ELj16ELj32EdEEvi20rocsparse_direction_NS_24const_host_device_scalarIT2_EEPKiS6_PKS3_S8_S4_PS3_21rocsparse_index_base_b.kd
    .uniform_work_group_size: 1
    .uses_dynamic_stack: false
    .vgpr_count:     86
    .vgpr_spill_count: 0
    .wavefront_size: 64
  - .agpr_count:     0
    .args:
      - .offset:         0
        .size:           4
        .value_kind:     by_value
      - .offset:         4
        .size:           4
        .value_kind:     by_value
      - .offset:         8
        .size:           8
        .value_kind:     by_value
      - .actual_access:  read_only
        .address_space:  global
        .offset:         16
        .size:           8
        .value_kind:     global_buffer
      - .actual_access:  read_only
        .address_space:  global
        .offset:         24
        .size:           8
        .value_kind:     global_buffer
      - .actual_access:  read_only
        .address_space:  global
        .offset:         32
        .size:           8
        .value_kind:     global_buffer
      - .actual_access:  read_only
        .address_space:  global
        .offset:         40
        .size:           8
        .value_kind:     global_buffer
      - .offset:         48
        .size:           8
        .value_kind:     by_value
      - .address_space:  global
        .offset:         56
        .size:           8
        .value_kind:     global_buffer
      - .offset:         64
        .size:           4
        .value_kind:     by_value
      - .offset:         68
        .size:           1
        .value_kind:     by_value
    .group_segment_fixed_size: 0
    .kernarg_segment_align: 8
    .kernarg_segment_size: 72
    .language:       OpenCL C
    .language_version:
      - 2
      - 0
    .max_flat_workgroup_size: 128
    .name:           _ZN9rocsparseL19gebsrmvn_2xn_kernelILj128ELj16ELj64EdEEvi20rocsparse_direction_NS_24const_host_device_scalarIT2_EEPKiS6_PKS3_S8_S4_PS3_21rocsparse_index_base_b
    .private_segment_fixed_size: 0
    .sgpr_count:     24
    .sgpr_spill_count: 0
    .symbol:         _ZN9rocsparseL19gebsrmvn_2xn_kernelILj128ELj16ELj64EdEEvi20rocsparse_direction_NS_24const_host_device_scalarIT2_EEPKiS6_PKS3_S8_S4_PS3_21rocsparse_index_base_b.kd
    .uniform_work_group_size: 1
    .uses_dynamic_stack: false
    .vgpr_count:     86
    .vgpr_spill_count: 0
    .wavefront_size: 64
  - .agpr_count:     0
    .args:
      - .offset:         0
        .size:           4
        .value_kind:     by_value
      - .offset:         4
        .size:           4
        .value_kind:     by_value
      - .offset:         8
        .size:           8
        .value_kind:     by_value
      - .actual_access:  read_only
        .address_space:  global
        .offset:         16
        .size:           8
        .value_kind:     global_buffer
      - .actual_access:  read_only
        .address_space:  global
        .offset:         24
        .size:           8
        .value_kind:     global_buffer
      - .actual_access:  read_only
        .address_space:  global
        .offset:         32
        .size:           8
        .value_kind:     global_buffer
      - .offset:         40
        .size:           4
        .value_kind:     by_value
      - .offset:         44
        .size:           4
        .value_kind:     by_value
      - .actual_access:  read_only
        .address_space:  global
        .offset:         48
        .size:           8
        .value_kind:     global_buffer
      - .offset:         56
        .size:           8
        .value_kind:     by_value
      - .address_space:  global
        .offset:         64
        .size:           8
        .value_kind:     global_buffer
      - .offset:         72
        .size:           4
        .value_kind:     by_value
      - .offset:         76
        .size:           1
        .value_kind:     by_value
    .group_segment_fixed_size: 0
    .kernarg_segment_align: 8
    .kernarg_segment_size: 80
    .language:       OpenCL C
    .language_version:
      - 2
      - 0
    .max_flat_workgroup_size: 32
    .name:           _ZN9rocsparseL23gebsrmvn_general_kernelILj32ELj32EdEEvi20rocsparse_direction_NS_24const_host_device_scalarIT1_EEPKiS6_PKS3_iiS8_S4_PS3_21rocsparse_index_base_b
    .private_segment_fixed_size: 0
    .sgpr_count:     43
    .sgpr_spill_count: 0
    .symbol:         _ZN9rocsparseL23gebsrmvn_general_kernelILj32ELj32EdEEvi20rocsparse_direction_NS_24const_host_device_scalarIT1_EEPKiS6_PKS3_iiS8_S4_PS3_21rocsparse_index_base_b.kd
    .uniform_work_group_size: 1
    .uses_dynamic_stack: false
    .vgpr_count:     16
    .vgpr_spill_count: 0
    .wavefront_size: 64
  - .agpr_count:     0
    .args:
      - .offset:         0
        .size:           4
        .value_kind:     by_value
      - .offset:         4
        .size:           4
        .value_kind:     by_value
      - .offset:         8
        .size:           8
        .value_kind:     by_value
      - .actual_access:  read_only
        .address_space:  global
        .offset:         16
        .size:           8
        .value_kind:     global_buffer
      - .actual_access:  read_only
        .address_space:  global
        .offset:         24
        .size:           8
        .value_kind:     global_buffer
      - .actual_access:  read_only
        .address_space:  global
        .offset:         32
        .size:           8
        .value_kind:     global_buffer
      - .actual_access:  read_only
        .address_space:  global
        .offset:         40
        .size:           8
        .value_kind:     global_buffer
      - .offset:         48
        .size:           8
        .value_kind:     by_value
      - .address_space:  global
        .offset:         56
        .size:           8
        .value_kind:     global_buffer
      - .offset:         64
        .size:           4
        .value_kind:     by_value
      - .offset:         68
        .size:           1
        .value_kind:     by_value
    .group_segment_fixed_size: 0
    .kernarg_segment_align: 8
    .kernarg_segment_size: 72
    .language:       OpenCL C
    .language_version:
      - 2
      - 0
    .max_flat_workgroup_size: 128
    .name:           _ZN9rocsparseL19gebsrmvn_2xn_kernelILj128ELj1ELj4E21rocsparse_complex_numIfEEEvi20rocsparse_direction_NS_24const_host_device_scalarIT2_EEPKiS8_PKS5_SA_S6_PS5_21rocsparse_index_base_b
    .private_segment_fixed_size: 0
    .sgpr_count:     22
    .sgpr_spill_count: 0
    .symbol:         _ZN9rocsparseL19gebsrmvn_2xn_kernelILj128ELj1ELj4E21rocsparse_complex_numIfEEEvi20rocsparse_direction_NS_24const_host_device_scalarIT2_EEPKiS8_PKS5_SA_S6_PS5_21rocsparse_index_base_b.kd
    .uniform_work_group_size: 1
    .uses_dynamic_stack: false
    .vgpr_count:     26
    .vgpr_spill_count: 0
    .wavefront_size: 64
  - .agpr_count:     0
    .args:
      - .offset:         0
        .size:           4
        .value_kind:     by_value
      - .offset:         4
        .size:           4
        .value_kind:     by_value
      - .offset:         8
        .size:           8
        .value_kind:     by_value
      - .actual_access:  read_only
        .address_space:  global
        .offset:         16
        .size:           8
        .value_kind:     global_buffer
      - .actual_access:  read_only
        .address_space:  global
        .offset:         24
        .size:           8
        .value_kind:     global_buffer
      - .actual_access:  read_only
        .address_space:  global
        .offset:         32
        .size:           8
        .value_kind:     global_buffer
      - .actual_access:  read_only
        .address_space:  global
        .offset:         40
        .size:           8
        .value_kind:     global_buffer
      - .offset:         48
        .size:           8
        .value_kind:     by_value
      - .address_space:  global
        .offset:         56
        .size:           8
        .value_kind:     global_buffer
      - .offset:         64
        .size:           4
        .value_kind:     by_value
      - .offset:         68
        .size:           1
        .value_kind:     by_value
    .group_segment_fixed_size: 0
    .kernarg_segment_align: 8
    .kernarg_segment_size: 72
    .language:       OpenCL C
    .language_version:
      - 2
      - 0
    .max_flat_workgroup_size: 128
    .name:           _ZN9rocsparseL19gebsrmvn_2xn_kernelILj128ELj1ELj8E21rocsparse_complex_numIfEEEvi20rocsparse_direction_NS_24const_host_device_scalarIT2_EEPKiS8_PKS5_SA_S6_PS5_21rocsparse_index_base_b
    .private_segment_fixed_size: 0
    .sgpr_count:     22
    .sgpr_spill_count: 0
    .symbol:         _ZN9rocsparseL19gebsrmvn_2xn_kernelILj128ELj1ELj8E21rocsparse_complex_numIfEEEvi20rocsparse_direction_NS_24const_host_device_scalarIT2_EEPKiS8_PKS5_SA_S6_PS5_21rocsparse_index_base_b.kd
    .uniform_work_group_size: 1
    .uses_dynamic_stack: false
    .vgpr_count:     26
    .vgpr_spill_count: 0
    .wavefront_size: 64
  - .agpr_count:     0
    .args:
      - .offset:         0
        .size:           4
        .value_kind:     by_value
      - .offset:         4
        .size:           4
        .value_kind:     by_value
      - .offset:         8
        .size:           8
        .value_kind:     by_value
      - .actual_access:  read_only
        .address_space:  global
        .offset:         16
        .size:           8
        .value_kind:     global_buffer
      - .actual_access:  read_only
        .address_space:  global
        .offset:         24
        .size:           8
        .value_kind:     global_buffer
      - .actual_access:  read_only
        .address_space:  global
        .offset:         32
        .size:           8
        .value_kind:     global_buffer
      - .actual_access:  read_only
        .address_space:  global
        .offset:         40
        .size:           8
        .value_kind:     global_buffer
      - .offset:         48
        .size:           8
        .value_kind:     by_value
      - .address_space:  global
        .offset:         56
        .size:           8
        .value_kind:     global_buffer
      - .offset:         64
        .size:           4
        .value_kind:     by_value
      - .offset:         68
        .size:           1
        .value_kind:     by_value
    .group_segment_fixed_size: 0
    .kernarg_segment_align: 8
    .kernarg_segment_size: 72
    .language:       OpenCL C
    .language_version:
      - 2
      - 0
    .max_flat_workgroup_size: 128
    .name:           _ZN9rocsparseL19gebsrmvn_2xn_kernelILj128ELj1ELj16E21rocsparse_complex_numIfEEEvi20rocsparse_direction_NS_24const_host_device_scalarIT2_EEPKiS8_PKS5_SA_S6_PS5_21rocsparse_index_base_b
    .private_segment_fixed_size: 0
    .sgpr_count:     22
    .sgpr_spill_count: 0
    .symbol:         _ZN9rocsparseL19gebsrmvn_2xn_kernelILj128ELj1ELj16E21rocsparse_complex_numIfEEEvi20rocsparse_direction_NS_24const_host_device_scalarIT2_EEPKiS8_PKS5_SA_S6_PS5_21rocsparse_index_base_b.kd
    .uniform_work_group_size: 1
    .uses_dynamic_stack: false
    .vgpr_count:     26
    .vgpr_spill_count: 0
    .wavefront_size: 64
  - .agpr_count:     0
    .args:
      - .offset:         0
        .size:           4
        .value_kind:     by_value
      - .offset:         4
        .size:           4
        .value_kind:     by_value
      - .offset:         8
        .size:           8
        .value_kind:     by_value
      - .actual_access:  read_only
        .address_space:  global
        .offset:         16
        .size:           8
        .value_kind:     global_buffer
      - .actual_access:  read_only
        .address_space:  global
        .offset:         24
        .size:           8
        .value_kind:     global_buffer
      - .actual_access:  read_only
        .address_space:  global
        .offset:         32
        .size:           8
        .value_kind:     global_buffer
      - .actual_access:  read_only
        .address_space:  global
        .offset:         40
        .size:           8
        .value_kind:     global_buffer
      - .offset:         48
        .size:           8
        .value_kind:     by_value
      - .address_space:  global
        .offset:         56
        .size:           8
        .value_kind:     global_buffer
      - .offset:         64
        .size:           4
        .value_kind:     by_value
      - .offset:         68
        .size:           1
        .value_kind:     by_value
    .group_segment_fixed_size: 0
    .kernarg_segment_align: 8
    .kernarg_segment_size: 72
    .language:       OpenCL C
    .language_version:
      - 2
      - 0
    .max_flat_workgroup_size: 128
    .name:           _ZN9rocsparseL19gebsrmvn_2xn_kernelILj128ELj1ELj32E21rocsparse_complex_numIfEEEvi20rocsparse_direction_NS_24const_host_device_scalarIT2_EEPKiS8_PKS5_SA_S6_PS5_21rocsparse_index_base_b
    .private_segment_fixed_size: 0
    .sgpr_count:     22
    .sgpr_spill_count: 0
    .symbol:         _ZN9rocsparseL19gebsrmvn_2xn_kernelILj128ELj1ELj32E21rocsparse_complex_numIfEEEvi20rocsparse_direction_NS_24const_host_device_scalarIT2_EEPKiS8_PKS5_SA_S6_PS5_21rocsparse_index_base_b.kd
    .uniform_work_group_size: 1
    .uses_dynamic_stack: false
    .vgpr_count:     26
    .vgpr_spill_count: 0
    .wavefront_size: 64
  - .agpr_count:     0
    .args:
      - .offset:         0
        .size:           4
        .value_kind:     by_value
      - .offset:         4
        .size:           4
        .value_kind:     by_value
      - .offset:         8
        .size:           8
        .value_kind:     by_value
      - .actual_access:  read_only
        .address_space:  global
        .offset:         16
        .size:           8
        .value_kind:     global_buffer
      - .actual_access:  read_only
        .address_space:  global
        .offset:         24
        .size:           8
        .value_kind:     global_buffer
      - .actual_access:  read_only
        .address_space:  global
        .offset:         32
        .size:           8
        .value_kind:     global_buffer
      - .actual_access:  read_only
        .address_space:  global
        .offset:         40
        .size:           8
        .value_kind:     global_buffer
      - .offset:         48
        .size:           8
        .value_kind:     by_value
      - .address_space:  global
        .offset:         56
        .size:           8
        .value_kind:     global_buffer
      - .offset:         64
        .size:           4
        .value_kind:     by_value
      - .offset:         68
        .size:           1
        .value_kind:     by_value
    .group_segment_fixed_size: 0
    .kernarg_segment_align: 8
    .kernarg_segment_size: 72
    .language:       OpenCL C
    .language_version:
      - 2
      - 0
    .max_flat_workgroup_size: 128
    .name:           _ZN9rocsparseL19gebsrmvn_2xn_kernelILj128ELj1ELj64E21rocsparse_complex_numIfEEEvi20rocsparse_direction_NS_24const_host_device_scalarIT2_EEPKiS8_PKS5_SA_S6_PS5_21rocsparse_index_base_b
    .private_segment_fixed_size: 0
    .sgpr_count:     22
    .sgpr_spill_count: 0
    .symbol:         _ZN9rocsparseL19gebsrmvn_2xn_kernelILj128ELj1ELj64E21rocsparse_complex_numIfEEEvi20rocsparse_direction_NS_24const_host_device_scalarIT2_EEPKiS8_PKS5_SA_S6_PS5_21rocsparse_index_base_b.kd
    .uniform_work_group_size: 1
    .uses_dynamic_stack: false
    .vgpr_count:     26
    .vgpr_spill_count: 0
    .wavefront_size: 64
  - .agpr_count:     0
    .args:
      - .offset:         0
        .size:           4
        .value_kind:     by_value
      - .offset:         4
        .size:           4
        .value_kind:     by_value
      - .offset:         8
        .size:           8
        .value_kind:     by_value
      - .actual_access:  read_only
        .address_space:  global
        .offset:         16
        .size:           8
        .value_kind:     global_buffer
      - .actual_access:  read_only
        .address_space:  global
        .offset:         24
        .size:           8
        .value_kind:     global_buffer
      - .actual_access:  read_only
        .address_space:  global
        .offset:         32
        .size:           8
        .value_kind:     global_buffer
      - .actual_access:  read_only
        .address_space:  global
        .offset:         40
        .size:           8
        .value_kind:     global_buffer
      - .offset:         48
        .size:           8
        .value_kind:     by_value
      - .address_space:  global
        .offset:         56
        .size:           8
        .value_kind:     global_buffer
      - .offset:         64
        .size:           4
        .value_kind:     by_value
      - .offset:         68
        .size:           1
        .value_kind:     by_value
    .group_segment_fixed_size: 0
    .kernarg_segment_align: 8
    .kernarg_segment_size: 72
    .language:       OpenCL C
    .language_version:
      - 2
      - 0
    .max_flat_workgroup_size: 128
    .name:           _ZN9rocsparseL19gebsrmvn_2xn_kernelILj128ELj3ELj4E21rocsparse_complex_numIfEEEvi20rocsparse_direction_NS_24const_host_device_scalarIT2_EEPKiS8_PKS5_SA_S6_PS5_21rocsparse_index_base_b
    .private_segment_fixed_size: 0
    .sgpr_count:     22
    .sgpr_spill_count: 0
    .symbol:         _ZN9rocsparseL19gebsrmvn_2xn_kernelILj128ELj3ELj4E21rocsparse_complex_numIfEEEvi20rocsparse_direction_NS_24const_host_device_scalarIT2_EEPKiS8_PKS5_SA_S6_PS5_21rocsparse_index_base_b.kd
    .uniform_work_group_size: 1
    .uses_dynamic_stack: false
    .vgpr_count:     42
    .vgpr_spill_count: 0
    .wavefront_size: 64
  - .agpr_count:     0
    .args:
      - .offset:         0
        .size:           4
        .value_kind:     by_value
      - .offset:         4
        .size:           4
        .value_kind:     by_value
      - .offset:         8
        .size:           8
        .value_kind:     by_value
      - .actual_access:  read_only
        .address_space:  global
        .offset:         16
        .size:           8
        .value_kind:     global_buffer
      - .actual_access:  read_only
        .address_space:  global
        .offset:         24
        .size:           8
        .value_kind:     global_buffer
      - .actual_access:  read_only
        .address_space:  global
        .offset:         32
        .size:           8
        .value_kind:     global_buffer
      - .actual_access:  read_only
        .address_space:  global
        .offset:         40
        .size:           8
        .value_kind:     global_buffer
      - .offset:         48
        .size:           8
        .value_kind:     by_value
      - .address_space:  global
        .offset:         56
        .size:           8
        .value_kind:     global_buffer
      - .offset:         64
        .size:           4
        .value_kind:     by_value
      - .offset:         68
        .size:           1
        .value_kind:     by_value
    .group_segment_fixed_size: 0
    .kernarg_segment_align: 8
    .kernarg_segment_size: 72
    .language:       OpenCL C
    .language_version:
      - 2
      - 0
    .max_flat_workgroup_size: 128
    .name:           _ZN9rocsparseL19gebsrmvn_2xn_kernelILj128ELj3ELj8E21rocsparse_complex_numIfEEEvi20rocsparse_direction_NS_24const_host_device_scalarIT2_EEPKiS8_PKS5_SA_S6_PS5_21rocsparse_index_base_b
    .private_segment_fixed_size: 0
    .sgpr_count:     22
    .sgpr_spill_count: 0
    .symbol:         _ZN9rocsparseL19gebsrmvn_2xn_kernelILj128ELj3ELj8E21rocsparse_complex_numIfEEEvi20rocsparse_direction_NS_24const_host_device_scalarIT2_EEPKiS8_PKS5_SA_S6_PS5_21rocsparse_index_base_b.kd
    .uniform_work_group_size: 1
    .uses_dynamic_stack: false
    .vgpr_count:     42
    .vgpr_spill_count: 0
    .wavefront_size: 64
  - .agpr_count:     0
    .args:
      - .offset:         0
        .size:           4
        .value_kind:     by_value
      - .offset:         4
        .size:           4
        .value_kind:     by_value
      - .offset:         8
        .size:           8
        .value_kind:     by_value
      - .actual_access:  read_only
        .address_space:  global
        .offset:         16
        .size:           8
        .value_kind:     global_buffer
      - .actual_access:  read_only
        .address_space:  global
        .offset:         24
        .size:           8
        .value_kind:     global_buffer
      - .actual_access:  read_only
        .address_space:  global
        .offset:         32
        .size:           8
        .value_kind:     global_buffer
      - .actual_access:  read_only
        .address_space:  global
        .offset:         40
        .size:           8
        .value_kind:     global_buffer
      - .offset:         48
        .size:           8
        .value_kind:     by_value
      - .address_space:  global
        .offset:         56
        .size:           8
        .value_kind:     global_buffer
      - .offset:         64
        .size:           4
        .value_kind:     by_value
      - .offset:         68
        .size:           1
        .value_kind:     by_value
    .group_segment_fixed_size: 0
    .kernarg_segment_align: 8
    .kernarg_segment_size: 72
    .language:       OpenCL C
    .language_version:
      - 2
      - 0
    .max_flat_workgroup_size: 128
    .name:           _ZN9rocsparseL19gebsrmvn_2xn_kernelILj128ELj3ELj16E21rocsparse_complex_numIfEEEvi20rocsparse_direction_NS_24const_host_device_scalarIT2_EEPKiS8_PKS5_SA_S6_PS5_21rocsparse_index_base_b
    .private_segment_fixed_size: 0
    .sgpr_count:     22
    .sgpr_spill_count: 0
    .symbol:         _ZN9rocsparseL19gebsrmvn_2xn_kernelILj128ELj3ELj16E21rocsparse_complex_numIfEEEvi20rocsparse_direction_NS_24const_host_device_scalarIT2_EEPKiS8_PKS5_SA_S6_PS5_21rocsparse_index_base_b.kd
    .uniform_work_group_size: 1
    .uses_dynamic_stack: false
    .vgpr_count:     42
    .vgpr_spill_count: 0
    .wavefront_size: 64
  - .agpr_count:     0
    .args:
      - .offset:         0
        .size:           4
        .value_kind:     by_value
      - .offset:         4
        .size:           4
        .value_kind:     by_value
      - .offset:         8
        .size:           8
        .value_kind:     by_value
      - .actual_access:  read_only
        .address_space:  global
        .offset:         16
        .size:           8
        .value_kind:     global_buffer
      - .actual_access:  read_only
        .address_space:  global
        .offset:         24
        .size:           8
        .value_kind:     global_buffer
      - .actual_access:  read_only
        .address_space:  global
        .offset:         32
        .size:           8
        .value_kind:     global_buffer
      - .actual_access:  read_only
        .address_space:  global
        .offset:         40
        .size:           8
        .value_kind:     global_buffer
      - .offset:         48
        .size:           8
        .value_kind:     by_value
      - .address_space:  global
        .offset:         56
        .size:           8
        .value_kind:     global_buffer
      - .offset:         64
        .size:           4
        .value_kind:     by_value
      - .offset:         68
        .size:           1
        .value_kind:     by_value
    .group_segment_fixed_size: 0
    .kernarg_segment_align: 8
    .kernarg_segment_size: 72
    .language:       OpenCL C
    .language_version:
      - 2
      - 0
    .max_flat_workgroup_size: 128
    .name:           _ZN9rocsparseL19gebsrmvn_2xn_kernelILj128ELj3ELj32E21rocsparse_complex_numIfEEEvi20rocsparse_direction_NS_24const_host_device_scalarIT2_EEPKiS8_PKS5_SA_S6_PS5_21rocsparse_index_base_b
    .private_segment_fixed_size: 0
    .sgpr_count:     22
    .sgpr_spill_count: 0
    .symbol:         _ZN9rocsparseL19gebsrmvn_2xn_kernelILj128ELj3ELj32E21rocsparse_complex_numIfEEEvi20rocsparse_direction_NS_24const_host_device_scalarIT2_EEPKiS8_PKS5_SA_S6_PS5_21rocsparse_index_base_b.kd
    .uniform_work_group_size: 1
    .uses_dynamic_stack: false
    .vgpr_count:     42
    .vgpr_spill_count: 0
    .wavefront_size: 64
  - .agpr_count:     0
    .args:
      - .offset:         0
        .size:           4
        .value_kind:     by_value
      - .offset:         4
        .size:           4
        .value_kind:     by_value
      - .offset:         8
        .size:           8
        .value_kind:     by_value
      - .actual_access:  read_only
        .address_space:  global
        .offset:         16
        .size:           8
        .value_kind:     global_buffer
      - .actual_access:  read_only
        .address_space:  global
        .offset:         24
        .size:           8
        .value_kind:     global_buffer
      - .actual_access:  read_only
        .address_space:  global
        .offset:         32
        .size:           8
        .value_kind:     global_buffer
      - .actual_access:  read_only
        .address_space:  global
        .offset:         40
        .size:           8
        .value_kind:     global_buffer
      - .offset:         48
        .size:           8
        .value_kind:     by_value
      - .address_space:  global
        .offset:         56
        .size:           8
        .value_kind:     global_buffer
      - .offset:         64
        .size:           4
        .value_kind:     by_value
      - .offset:         68
        .size:           1
        .value_kind:     by_value
    .group_segment_fixed_size: 0
    .kernarg_segment_align: 8
    .kernarg_segment_size: 72
    .language:       OpenCL C
    .language_version:
      - 2
      - 0
    .max_flat_workgroup_size: 128
    .name:           _ZN9rocsparseL19gebsrmvn_2xn_kernelILj128ELj3ELj64E21rocsparse_complex_numIfEEEvi20rocsparse_direction_NS_24const_host_device_scalarIT2_EEPKiS8_PKS5_SA_S6_PS5_21rocsparse_index_base_b
    .private_segment_fixed_size: 0
    .sgpr_count:     22
    .sgpr_spill_count: 0
    .symbol:         _ZN9rocsparseL19gebsrmvn_2xn_kernelILj128ELj3ELj64E21rocsparse_complex_numIfEEEvi20rocsparse_direction_NS_24const_host_device_scalarIT2_EEPKiS8_PKS5_SA_S6_PS5_21rocsparse_index_base_b.kd
    .uniform_work_group_size: 1
    .uses_dynamic_stack: false
    .vgpr_count:     42
    .vgpr_spill_count: 0
    .wavefront_size: 64
  - .agpr_count:     0
    .args:
      - .offset:         0
        .size:           4
        .value_kind:     by_value
      - .offset:         4
        .size:           4
        .value_kind:     by_value
      - .offset:         8
        .size:           8
        .value_kind:     by_value
      - .actual_access:  read_only
        .address_space:  global
        .offset:         16
        .size:           8
        .value_kind:     global_buffer
      - .actual_access:  read_only
        .address_space:  global
        .offset:         24
        .size:           8
        .value_kind:     global_buffer
      - .actual_access:  read_only
        .address_space:  global
        .offset:         32
        .size:           8
        .value_kind:     global_buffer
      - .actual_access:  read_only
        .address_space:  global
        .offset:         40
        .size:           8
        .value_kind:     global_buffer
      - .offset:         48
        .size:           8
        .value_kind:     by_value
      - .address_space:  global
        .offset:         56
        .size:           8
        .value_kind:     global_buffer
      - .offset:         64
        .size:           4
        .value_kind:     by_value
      - .offset:         68
        .size:           1
        .value_kind:     by_value
    .group_segment_fixed_size: 0
    .kernarg_segment_align: 8
    .kernarg_segment_size: 72
    .language:       OpenCL C
    .language_version:
      - 2
      - 0
    .max_flat_workgroup_size: 128
    .name:           _ZN9rocsparseL19gebsrmvn_2xn_kernelILj128ELj4ELj4E21rocsparse_complex_numIfEEEvi20rocsparse_direction_NS_24const_host_device_scalarIT2_EEPKiS8_PKS5_SA_S6_PS5_21rocsparse_index_base_b
    .private_segment_fixed_size: 0
    .sgpr_count:     22
    .sgpr_spill_count: 0
    .symbol:         _ZN9rocsparseL19gebsrmvn_2xn_kernelILj128ELj4ELj4E21rocsparse_complex_numIfEEEvi20rocsparse_direction_NS_24const_host_device_scalarIT2_EEPKiS8_PKS5_SA_S6_PS5_21rocsparse_index_base_b.kd
    .uniform_work_group_size: 1
    .uses_dynamic_stack: false
    .vgpr_count:     54
    .vgpr_spill_count: 0
    .wavefront_size: 64
  - .agpr_count:     0
    .args:
      - .offset:         0
        .size:           4
        .value_kind:     by_value
      - .offset:         4
        .size:           4
        .value_kind:     by_value
      - .offset:         8
        .size:           8
        .value_kind:     by_value
      - .actual_access:  read_only
        .address_space:  global
        .offset:         16
        .size:           8
        .value_kind:     global_buffer
      - .actual_access:  read_only
        .address_space:  global
        .offset:         24
        .size:           8
        .value_kind:     global_buffer
      - .actual_access:  read_only
        .address_space:  global
        .offset:         32
        .size:           8
        .value_kind:     global_buffer
      - .actual_access:  read_only
        .address_space:  global
        .offset:         40
        .size:           8
        .value_kind:     global_buffer
      - .offset:         48
        .size:           8
        .value_kind:     by_value
      - .address_space:  global
        .offset:         56
        .size:           8
        .value_kind:     global_buffer
      - .offset:         64
        .size:           4
        .value_kind:     by_value
      - .offset:         68
        .size:           1
        .value_kind:     by_value
    .group_segment_fixed_size: 0
    .kernarg_segment_align: 8
    .kernarg_segment_size: 72
    .language:       OpenCL C
    .language_version:
      - 2
      - 0
    .max_flat_workgroup_size: 128
    .name:           _ZN9rocsparseL19gebsrmvn_2xn_kernelILj128ELj4ELj8E21rocsparse_complex_numIfEEEvi20rocsparse_direction_NS_24const_host_device_scalarIT2_EEPKiS8_PKS5_SA_S6_PS5_21rocsparse_index_base_b
    .private_segment_fixed_size: 0
    .sgpr_count:     22
    .sgpr_spill_count: 0
    .symbol:         _ZN9rocsparseL19gebsrmvn_2xn_kernelILj128ELj4ELj8E21rocsparse_complex_numIfEEEvi20rocsparse_direction_NS_24const_host_device_scalarIT2_EEPKiS8_PKS5_SA_S6_PS5_21rocsparse_index_base_b.kd
    .uniform_work_group_size: 1
    .uses_dynamic_stack: false
    .vgpr_count:     54
    .vgpr_spill_count: 0
    .wavefront_size: 64
  - .agpr_count:     0
    .args:
      - .offset:         0
        .size:           4
        .value_kind:     by_value
      - .offset:         4
        .size:           4
        .value_kind:     by_value
      - .offset:         8
        .size:           8
        .value_kind:     by_value
      - .actual_access:  read_only
        .address_space:  global
        .offset:         16
        .size:           8
        .value_kind:     global_buffer
      - .actual_access:  read_only
        .address_space:  global
        .offset:         24
        .size:           8
        .value_kind:     global_buffer
      - .actual_access:  read_only
        .address_space:  global
        .offset:         32
        .size:           8
        .value_kind:     global_buffer
      - .actual_access:  read_only
        .address_space:  global
        .offset:         40
        .size:           8
        .value_kind:     global_buffer
      - .offset:         48
        .size:           8
        .value_kind:     by_value
      - .address_space:  global
        .offset:         56
        .size:           8
        .value_kind:     global_buffer
      - .offset:         64
        .size:           4
        .value_kind:     by_value
      - .offset:         68
        .size:           1
        .value_kind:     by_value
    .group_segment_fixed_size: 0
    .kernarg_segment_align: 8
    .kernarg_segment_size: 72
    .language:       OpenCL C
    .language_version:
      - 2
      - 0
    .max_flat_workgroup_size: 128
    .name:           _ZN9rocsparseL19gebsrmvn_2xn_kernelILj128ELj4ELj16E21rocsparse_complex_numIfEEEvi20rocsparse_direction_NS_24const_host_device_scalarIT2_EEPKiS8_PKS5_SA_S6_PS5_21rocsparse_index_base_b
    .private_segment_fixed_size: 0
    .sgpr_count:     22
    .sgpr_spill_count: 0
    .symbol:         _ZN9rocsparseL19gebsrmvn_2xn_kernelILj128ELj4ELj16E21rocsparse_complex_numIfEEEvi20rocsparse_direction_NS_24const_host_device_scalarIT2_EEPKiS8_PKS5_SA_S6_PS5_21rocsparse_index_base_b.kd
    .uniform_work_group_size: 1
    .uses_dynamic_stack: false
    .vgpr_count:     54
    .vgpr_spill_count: 0
    .wavefront_size: 64
  - .agpr_count:     0
    .args:
      - .offset:         0
        .size:           4
        .value_kind:     by_value
      - .offset:         4
        .size:           4
        .value_kind:     by_value
      - .offset:         8
        .size:           8
        .value_kind:     by_value
      - .actual_access:  read_only
        .address_space:  global
        .offset:         16
        .size:           8
        .value_kind:     global_buffer
      - .actual_access:  read_only
        .address_space:  global
        .offset:         24
        .size:           8
        .value_kind:     global_buffer
      - .actual_access:  read_only
        .address_space:  global
        .offset:         32
        .size:           8
        .value_kind:     global_buffer
      - .actual_access:  read_only
        .address_space:  global
        .offset:         40
        .size:           8
        .value_kind:     global_buffer
      - .offset:         48
        .size:           8
        .value_kind:     by_value
      - .address_space:  global
        .offset:         56
        .size:           8
        .value_kind:     global_buffer
      - .offset:         64
        .size:           4
        .value_kind:     by_value
      - .offset:         68
        .size:           1
        .value_kind:     by_value
    .group_segment_fixed_size: 0
    .kernarg_segment_align: 8
    .kernarg_segment_size: 72
    .language:       OpenCL C
    .language_version:
      - 2
      - 0
    .max_flat_workgroup_size: 128
    .name:           _ZN9rocsparseL19gebsrmvn_2xn_kernelILj128ELj4ELj32E21rocsparse_complex_numIfEEEvi20rocsparse_direction_NS_24const_host_device_scalarIT2_EEPKiS8_PKS5_SA_S6_PS5_21rocsparse_index_base_b
    .private_segment_fixed_size: 0
    .sgpr_count:     22
    .sgpr_spill_count: 0
    .symbol:         _ZN9rocsparseL19gebsrmvn_2xn_kernelILj128ELj4ELj32E21rocsparse_complex_numIfEEEvi20rocsparse_direction_NS_24const_host_device_scalarIT2_EEPKiS8_PKS5_SA_S6_PS5_21rocsparse_index_base_b.kd
    .uniform_work_group_size: 1
    .uses_dynamic_stack: false
    .vgpr_count:     54
    .vgpr_spill_count: 0
    .wavefront_size: 64
  - .agpr_count:     0
    .args:
      - .offset:         0
        .size:           4
        .value_kind:     by_value
      - .offset:         4
        .size:           4
        .value_kind:     by_value
      - .offset:         8
        .size:           8
        .value_kind:     by_value
      - .actual_access:  read_only
        .address_space:  global
        .offset:         16
        .size:           8
        .value_kind:     global_buffer
      - .actual_access:  read_only
        .address_space:  global
        .offset:         24
        .size:           8
        .value_kind:     global_buffer
      - .actual_access:  read_only
        .address_space:  global
        .offset:         32
        .size:           8
        .value_kind:     global_buffer
      - .actual_access:  read_only
        .address_space:  global
        .offset:         40
        .size:           8
        .value_kind:     global_buffer
      - .offset:         48
        .size:           8
        .value_kind:     by_value
      - .address_space:  global
        .offset:         56
        .size:           8
        .value_kind:     global_buffer
      - .offset:         64
        .size:           4
        .value_kind:     by_value
      - .offset:         68
        .size:           1
        .value_kind:     by_value
    .group_segment_fixed_size: 0
    .kernarg_segment_align: 8
    .kernarg_segment_size: 72
    .language:       OpenCL C
    .language_version:
      - 2
      - 0
    .max_flat_workgroup_size: 128
    .name:           _ZN9rocsparseL19gebsrmvn_2xn_kernelILj128ELj4ELj64E21rocsparse_complex_numIfEEEvi20rocsparse_direction_NS_24const_host_device_scalarIT2_EEPKiS8_PKS5_SA_S6_PS5_21rocsparse_index_base_b
    .private_segment_fixed_size: 0
    .sgpr_count:     22
    .sgpr_spill_count: 0
    .symbol:         _ZN9rocsparseL19gebsrmvn_2xn_kernelILj128ELj4ELj64E21rocsparse_complex_numIfEEEvi20rocsparse_direction_NS_24const_host_device_scalarIT2_EEPKiS8_PKS5_SA_S6_PS5_21rocsparse_index_base_b.kd
    .uniform_work_group_size: 1
    .uses_dynamic_stack: false
    .vgpr_count:     54
    .vgpr_spill_count: 0
    .wavefront_size: 64
  - .agpr_count:     0
    .args:
      - .offset:         0
        .size:           4
        .value_kind:     by_value
      - .offset:         4
        .size:           4
        .value_kind:     by_value
      - .offset:         8
        .size:           8
        .value_kind:     by_value
      - .actual_access:  read_only
        .address_space:  global
        .offset:         16
        .size:           8
        .value_kind:     global_buffer
      - .actual_access:  read_only
        .address_space:  global
        .offset:         24
        .size:           8
        .value_kind:     global_buffer
      - .actual_access:  read_only
        .address_space:  global
        .offset:         32
        .size:           8
        .value_kind:     global_buffer
      - .actual_access:  read_only
        .address_space:  global
        .offset:         40
        .size:           8
        .value_kind:     global_buffer
      - .offset:         48
        .size:           8
        .value_kind:     by_value
      - .address_space:  global
        .offset:         56
        .size:           8
        .value_kind:     global_buffer
      - .offset:         64
        .size:           4
        .value_kind:     by_value
      - .offset:         68
        .size:           1
        .value_kind:     by_value
    .group_segment_fixed_size: 0
    .kernarg_segment_align: 8
    .kernarg_segment_size: 72
    .language:       OpenCL C
    .language_version:
      - 2
      - 0
    .max_flat_workgroup_size: 128
    .name:           _ZN9rocsparseL19gebsrmvn_2xn_kernelILj128ELj5ELj4E21rocsparse_complex_numIfEEEvi20rocsparse_direction_NS_24const_host_device_scalarIT2_EEPKiS8_PKS5_SA_S6_PS5_21rocsparse_index_base_b
    .private_segment_fixed_size: 0
    .sgpr_count:     22
    .sgpr_spill_count: 0
    .symbol:         _ZN9rocsparseL19gebsrmvn_2xn_kernelILj128ELj5ELj4E21rocsparse_complex_numIfEEEvi20rocsparse_direction_NS_24const_host_device_scalarIT2_EEPKiS8_PKS5_SA_S6_PS5_21rocsparse_index_base_b.kd
    .uniform_work_group_size: 1
    .uses_dynamic_stack: false
    .vgpr_count:     56
    .vgpr_spill_count: 0
    .wavefront_size: 64
  - .agpr_count:     0
    .args:
      - .offset:         0
        .size:           4
        .value_kind:     by_value
      - .offset:         4
        .size:           4
        .value_kind:     by_value
      - .offset:         8
        .size:           8
        .value_kind:     by_value
      - .actual_access:  read_only
        .address_space:  global
        .offset:         16
        .size:           8
        .value_kind:     global_buffer
      - .actual_access:  read_only
        .address_space:  global
        .offset:         24
        .size:           8
        .value_kind:     global_buffer
      - .actual_access:  read_only
        .address_space:  global
        .offset:         32
        .size:           8
        .value_kind:     global_buffer
      - .actual_access:  read_only
        .address_space:  global
        .offset:         40
        .size:           8
        .value_kind:     global_buffer
      - .offset:         48
        .size:           8
        .value_kind:     by_value
      - .address_space:  global
        .offset:         56
        .size:           8
        .value_kind:     global_buffer
      - .offset:         64
        .size:           4
        .value_kind:     by_value
      - .offset:         68
        .size:           1
        .value_kind:     by_value
    .group_segment_fixed_size: 0
    .kernarg_segment_align: 8
    .kernarg_segment_size: 72
    .language:       OpenCL C
    .language_version:
      - 2
      - 0
    .max_flat_workgroup_size: 128
    .name:           _ZN9rocsparseL19gebsrmvn_2xn_kernelILj128ELj5ELj8E21rocsparse_complex_numIfEEEvi20rocsparse_direction_NS_24const_host_device_scalarIT2_EEPKiS8_PKS5_SA_S6_PS5_21rocsparse_index_base_b
    .private_segment_fixed_size: 0
    .sgpr_count:     22
    .sgpr_spill_count: 0
    .symbol:         _ZN9rocsparseL19gebsrmvn_2xn_kernelILj128ELj5ELj8E21rocsparse_complex_numIfEEEvi20rocsparse_direction_NS_24const_host_device_scalarIT2_EEPKiS8_PKS5_SA_S6_PS5_21rocsparse_index_base_b.kd
    .uniform_work_group_size: 1
    .uses_dynamic_stack: false
    .vgpr_count:     56
    .vgpr_spill_count: 0
    .wavefront_size: 64
  - .agpr_count:     0
    .args:
      - .offset:         0
        .size:           4
        .value_kind:     by_value
      - .offset:         4
        .size:           4
        .value_kind:     by_value
      - .offset:         8
        .size:           8
        .value_kind:     by_value
      - .actual_access:  read_only
        .address_space:  global
        .offset:         16
        .size:           8
        .value_kind:     global_buffer
      - .actual_access:  read_only
        .address_space:  global
        .offset:         24
        .size:           8
        .value_kind:     global_buffer
      - .actual_access:  read_only
        .address_space:  global
        .offset:         32
        .size:           8
        .value_kind:     global_buffer
      - .actual_access:  read_only
        .address_space:  global
        .offset:         40
        .size:           8
        .value_kind:     global_buffer
      - .offset:         48
        .size:           8
        .value_kind:     by_value
      - .address_space:  global
        .offset:         56
        .size:           8
        .value_kind:     global_buffer
      - .offset:         64
        .size:           4
        .value_kind:     by_value
      - .offset:         68
        .size:           1
        .value_kind:     by_value
    .group_segment_fixed_size: 0
    .kernarg_segment_align: 8
    .kernarg_segment_size: 72
    .language:       OpenCL C
    .language_version:
      - 2
      - 0
    .max_flat_workgroup_size: 128
    .name:           _ZN9rocsparseL19gebsrmvn_2xn_kernelILj128ELj5ELj16E21rocsparse_complex_numIfEEEvi20rocsparse_direction_NS_24const_host_device_scalarIT2_EEPKiS8_PKS5_SA_S6_PS5_21rocsparse_index_base_b
    .private_segment_fixed_size: 0
    .sgpr_count:     22
    .sgpr_spill_count: 0
    .symbol:         _ZN9rocsparseL19gebsrmvn_2xn_kernelILj128ELj5ELj16E21rocsparse_complex_numIfEEEvi20rocsparse_direction_NS_24const_host_device_scalarIT2_EEPKiS8_PKS5_SA_S6_PS5_21rocsparse_index_base_b.kd
    .uniform_work_group_size: 1
    .uses_dynamic_stack: false
    .vgpr_count:     56
    .vgpr_spill_count: 0
    .wavefront_size: 64
  - .agpr_count:     0
    .args:
      - .offset:         0
        .size:           4
        .value_kind:     by_value
      - .offset:         4
        .size:           4
        .value_kind:     by_value
      - .offset:         8
        .size:           8
        .value_kind:     by_value
      - .actual_access:  read_only
        .address_space:  global
        .offset:         16
        .size:           8
        .value_kind:     global_buffer
      - .actual_access:  read_only
        .address_space:  global
        .offset:         24
        .size:           8
        .value_kind:     global_buffer
      - .actual_access:  read_only
        .address_space:  global
        .offset:         32
        .size:           8
        .value_kind:     global_buffer
      - .actual_access:  read_only
        .address_space:  global
        .offset:         40
        .size:           8
        .value_kind:     global_buffer
      - .offset:         48
        .size:           8
        .value_kind:     by_value
      - .address_space:  global
        .offset:         56
        .size:           8
        .value_kind:     global_buffer
      - .offset:         64
        .size:           4
        .value_kind:     by_value
      - .offset:         68
        .size:           1
        .value_kind:     by_value
    .group_segment_fixed_size: 0
    .kernarg_segment_align: 8
    .kernarg_segment_size: 72
    .language:       OpenCL C
    .language_version:
      - 2
      - 0
    .max_flat_workgroup_size: 128
    .name:           _ZN9rocsparseL19gebsrmvn_2xn_kernelILj128ELj5ELj32E21rocsparse_complex_numIfEEEvi20rocsparse_direction_NS_24const_host_device_scalarIT2_EEPKiS8_PKS5_SA_S6_PS5_21rocsparse_index_base_b
    .private_segment_fixed_size: 0
    .sgpr_count:     22
    .sgpr_spill_count: 0
    .symbol:         _ZN9rocsparseL19gebsrmvn_2xn_kernelILj128ELj5ELj32E21rocsparse_complex_numIfEEEvi20rocsparse_direction_NS_24const_host_device_scalarIT2_EEPKiS8_PKS5_SA_S6_PS5_21rocsparse_index_base_b.kd
    .uniform_work_group_size: 1
    .uses_dynamic_stack: false
    .vgpr_count:     56
    .vgpr_spill_count: 0
    .wavefront_size: 64
  - .agpr_count:     0
    .args:
      - .offset:         0
        .size:           4
        .value_kind:     by_value
      - .offset:         4
        .size:           4
        .value_kind:     by_value
      - .offset:         8
        .size:           8
        .value_kind:     by_value
      - .actual_access:  read_only
        .address_space:  global
        .offset:         16
        .size:           8
        .value_kind:     global_buffer
      - .actual_access:  read_only
        .address_space:  global
        .offset:         24
        .size:           8
        .value_kind:     global_buffer
      - .actual_access:  read_only
        .address_space:  global
        .offset:         32
        .size:           8
        .value_kind:     global_buffer
      - .actual_access:  read_only
        .address_space:  global
        .offset:         40
        .size:           8
        .value_kind:     global_buffer
      - .offset:         48
        .size:           8
        .value_kind:     by_value
      - .address_space:  global
        .offset:         56
        .size:           8
        .value_kind:     global_buffer
      - .offset:         64
        .size:           4
        .value_kind:     by_value
      - .offset:         68
        .size:           1
        .value_kind:     by_value
    .group_segment_fixed_size: 0
    .kernarg_segment_align: 8
    .kernarg_segment_size: 72
    .language:       OpenCL C
    .language_version:
      - 2
      - 0
    .max_flat_workgroup_size: 128
    .name:           _ZN9rocsparseL19gebsrmvn_2xn_kernelILj128ELj5ELj64E21rocsparse_complex_numIfEEEvi20rocsparse_direction_NS_24const_host_device_scalarIT2_EEPKiS8_PKS5_SA_S6_PS5_21rocsparse_index_base_b
    .private_segment_fixed_size: 0
    .sgpr_count:     22
    .sgpr_spill_count: 0
    .symbol:         _ZN9rocsparseL19gebsrmvn_2xn_kernelILj128ELj5ELj64E21rocsparse_complex_numIfEEEvi20rocsparse_direction_NS_24const_host_device_scalarIT2_EEPKiS8_PKS5_SA_S6_PS5_21rocsparse_index_base_b.kd
    .uniform_work_group_size: 1
    .uses_dynamic_stack: false
    .vgpr_count:     56
    .vgpr_spill_count: 0
    .wavefront_size: 64
  - .agpr_count:     0
    .args:
      - .offset:         0
        .size:           4
        .value_kind:     by_value
      - .offset:         4
        .size:           4
        .value_kind:     by_value
      - .offset:         8
        .size:           8
        .value_kind:     by_value
      - .actual_access:  read_only
        .address_space:  global
        .offset:         16
        .size:           8
        .value_kind:     global_buffer
      - .actual_access:  read_only
        .address_space:  global
        .offset:         24
        .size:           8
        .value_kind:     global_buffer
      - .actual_access:  read_only
        .address_space:  global
        .offset:         32
        .size:           8
        .value_kind:     global_buffer
      - .actual_access:  read_only
        .address_space:  global
        .offset:         40
        .size:           8
        .value_kind:     global_buffer
      - .offset:         48
        .size:           8
        .value_kind:     by_value
      - .address_space:  global
        .offset:         56
        .size:           8
        .value_kind:     global_buffer
      - .offset:         64
        .size:           4
        .value_kind:     by_value
      - .offset:         68
        .size:           1
        .value_kind:     by_value
    .group_segment_fixed_size: 0
    .kernarg_segment_align: 8
    .kernarg_segment_size: 72
    .language:       OpenCL C
    .language_version:
      - 2
      - 0
    .max_flat_workgroup_size: 128
    .name:           _ZN9rocsparseL19gebsrmvn_2xn_kernelILj128ELj6ELj4E21rocsparse_complex_numIfEEEvi20rocsparse_direction_NS_24const_host_device_scalarIT2_EEPKiS8_PKS5_SA_S6_PS5_21rocsparse_index_base_b
    .private_segment_fixed_size: 0
    .sgpr_count:     22
    .sgpr_spill_count: 0
    .symbol:         _ZN9rocsparseL19gebsrmvn_2xn_kernelILj128ELj6ELj4E21rocsparse_complex_numIfEEEvi20rocsparse_direction_NS_24const_host_device_scalarIT2_EEPKiS8_PKS5_SA_S6_PS5_21rocsparse_index_base_b.kd
    .uniform_work_group_size: 1
    .uses_dynamic_stack: false
    .vgpr_count:     64
    .vgpr_spill_count: 0
    .wavefront_size: 64
  - .agpr_count:     0
    .args:
      - .offset:         0
        .size:           4
        .value_kind:     by_value
      - .offset:         4
        .size:           4
        .value_kind:     by_value
      - .offset:         8
        .size:           8
        .value_kind:     by_value
      - .actual_access:  read_only
        .address_space:  global
        .offset:         16
        .size:           8
        .value_kind:     global_buffer
      - .actual_access:  read_only
        .address_space:  global
        .offset:         24
        .size:           8
        .value_kind:     global_buffer
      - .actual_access:  read_only
        .address_space:  global
        .offset:         32
        .size:           8
        .value_kind:     global_buffer
      - .actual_access:  read_only
        .address_space:  global
        .offset:         40
        .size:           8
        .value_kind:     global_buffer
      - .offset:         48
        .size:           8
        .value_kind:     by_value
      - .address_space:  global
        .offset:         56
        .size:           8
        .value_kind:     global_buffer
      - .offset:         64
        .size:           4
        .value_kind:     by_value
      - .offset:         68
        .size:           1
        .value_kind:     by_value
    .group_segment_fixed_size: 0
    .kernarg_segment_align: 8
    .kernarg_segment_size: 72
    .language:       OpenCL C
    .language_version:
      - 2
      - 0
    .max_flat_workgroup_size: 128
    .name:           _ZN9rocsparseL19gebsrmvn_2xn_kernelILj128ELj6ELj8E21rocsparse_complex_numIfEEEvi20rocsparse_direction_NS_24const_host_device_scalarIT2_EEPKiS8_PKS5_SA_S6_PS5_21rocsparse_index_base_b
    .private_segment_fixed_size: 0
    .sgpr_count:     22
    .sgpr_spill_count: 0
    .symbol:         _ZN9rocsparseL19gebsrmvn_2xn_kernelILj128ELj6ELj8E21rocsparse_complex_numIfEEEvi20rocsparse_direction_NS_24const_host_device_scalarIT2_EEPKiS8_PKS5_SA_S6_PS5_21rocsparse_index_base_b.kd
    .uniform_work_group_size: 1
    .uses_dynamic_stack: false
    .vgpr_count:     64
    .vgpr_spill_count: 0
    .wavefront_size: 64
  - .agpr_count:     0
    .args:
      - .offset:         0
        .size:           4
        .value_kind:     by_value
      - .offset:         4
        .size:           4
        .value_kind:     by_value
      - .offset:         8
        .size:           8
        .value_kind:     by_value
      - .actual_access:  read_only
        .address_space:  global
        .offset:         16
        .size:           8
        .value_kind:     global_buffer
      - .actual_access:  read_only
        .address_space:  global
        .offset:         24
        .size:           8
        .value_kind:     global_buffer
      - .actual_access:  read_only
        .address_space:  global
        .offset:         32
        .size:           8
        .value_kind:     global_buffer
      - .actual_access:  read_only
        .address_space:  global
        .offset:         40
        .size:           8
        .value_kind:     global_buffer
      - .offset:         48
        .size:           8
        .value_kind:     by_value
      - .address_space:  global
        .offset:         56
        .size:           8
        .value_kind:     global_buffer
      - .offset:         64
        .size:           4
        .value_kind:     by_value
      - .offset:         68
        .size:           1
        .value_kind:     by_value
    .group_segment_fixed_size: 0
    .kernarg_segment_align: 8
    .kernarg_segment_size: 72
    .language:       OpenCL C
    .language_version:
      - 2
      - 0
    .max_flat_workgroup_size: 128
    .name:           _ZN9rocsparseL19gebsrmvn_2xn_kernelILj128ELj6ELj16E21rocsparse_complex_numIfEEEvi20rocsparse_direction_NS_24const_host_device_scalarIT2_EEPKiS8_PKS5_SA_S6_PS5_21rocsparse_index_base_b
    .private_segment_fixed_size: 0
    .sgpr_count:     22
    .sgpr_spill_count: 0
    .symbol:         _ZN9rocsparseL19gebsrmvn_2xn_kernelILj128ELj6ELj16E21rocsparse_complex_numIfEEEvi20rocsparse_direction_NS_24const_host_device_scalarIT2_EEPKiS8_PKS5_SA_S6_PS5_21rocsparse_index_base_b.kd
    .uniform_work_group_size: 1
    .uses_dynamic_stack: false
    .vgpr_count:     64
    .vgpr_spill_count: 0
    .wavefront_size: 64
  - .agpr_count:     0
    .args:
      - .offset:         0
        .size:           4
        .value_kind:     by_value
      - .offset:         4
        .size:           4
        .value_kind:     by_value
      - .offset:         8
        .size:           8
        .value_kind:     by_value
      - .actual_access:  read_only
        .address_space:  global
        .offset:         16
        .size:           8
        .value_kind:     global_buffer
      - .actual_access:  read_only
        .address_space:  global
        .offset:         24
        .size:           8
        .value_kind:     global_buffer
      - .actual_access:  read_only
        .address_space:  global
        .offset:         32
        .size:           8
        .value_kind:     global_buffer
      - .actual_access:  read_only
        .address_space:  global
        .offset:         40
        .size:           8
        .value_kind:     global_buffer
      - .offset:         48
        .size:           8
        .value_kind:     by_value
      - .address_space:  global
        .offset:         56
        .size:           8
        .value_kind:     global_buffer
      - .offset:         64
        .size:           4
        .value_kind:     by_value
      - .offset:         68
        .size:           1
        .value_kind:     by_value
    .group_segment_fixed_size: 0
    .kernarg_segment_align: 8
    .kernarg_segment_size: 72
    .language:       OpenCL C
    .language_version:
      - 2
      - 0
    .max_flat_workgroup_size: 128
    .name:           _ZN9rocsparseL19gebsrmvn_2xn_kernelILj128ELj6ELj32E21rocsparse_complex_numIfEEEvi20rocsparse_direction_NS_24const_host_device_scalarIT2_EEPKiS8_PKS5_SA_S6_PS5_21rocsparse_index_base_b
    .private_segment_fixed_size: 0
    .sgpr_count:     22
    .sgpr_spill_count: 0
    .symbol:         _ZN9rocsparseL19gebsrmvn_2xn_kernelILj128ELj6ELj32E21rocsparse_complex_numIfEEEvi20rocsparse_direction_NS_24const_host_device_scalarIT2_EEPKiS8_PKS5_SA_S6_PS5_21rocsparse_index_base_b.kd
    .uniform_work_group_size: 1
    .uses_dynamic_stack: false
    .vgpr_count:     64
    .vgpr_spill_count: 0
    .wavefront_size: 64
  - .agpr_count:     0
    .args:
      - .offset:         0
        .size:           4
        .value_kind:     by_value
      - .offset:         4
        .size:           4
        .value_kind:     by_value
      - .offset:         8
        .size:           8
        .value_kind:     by_value
      - .actual_access:  read_only
        .address_space:  global
        .offset:         16
        .size:           8
        .value_kind:     global_buffer
      - .actual_access:  read_only
        .address_space:  global
        .offset:         24
        .size:           8
        .value_kind:     global_buffer
      - .actual_access:  read_only
        .address_space:  global
        .offset:         32
        .size:           8
        .value_kind:     global_buffer
      - .actual_access:  read_only
        .address_space:  global
        .offset:         40
        .size:           8
        .value_kind:     global_buffer
      - .offset:         48
        .size:           8
        .value_kind:     by_value
      - .address_space:  global
        .offset:         56
        .size:           8
        .value_kind:     global_buffer
      - .offset:         64
        .size:           4
        .value_kind:     by_value
      - .offset:         68
        .size:           1
        .value_kind:     by_value
    .group_segment_fixed_size: 0
    .kernarg_segment_align: 8
    .kernarg_segment_size: 72
    .language:       OpenCL C
    .language_version:
      - 2
      - 0
    .max_flat_workgroup_size: 128
    .name:           _ZN9rocsparseL19gebsrmvn_2xn_kernelILj128ELj6ELj64E21rocsparse_complex_numIfEEEvi20rocsparse_direction_NS_24const_host_device_scalarIT2_EEPKiS8_PKS5_SA_S6_PS5_21rocsparse_index_base_b
    .private_segment_fixed_size: 0
    .sgpr_count:     22
    .sgpr_spill_count: 0
    .symbol:         _ZN9rocsparseL19gebsrmvn_2xn_kernelILj128ELj6ELj64E21rocsparse_complex_numIfEEEvi20rocsparse_direction_NS_24const_host_device_scalarIT2_EEPKiS8_PKS5_SA_S6_PS5_21rocsparse_index_base_b.kd
    .uniform_work_group_size: 1
    .uses_dynamic_stack: false
    .vgpr_count:     64
    .vgpr_spill_count: 0
    .wavefront_size: 64
  - .agpr_count:     0
    .args:
      - .offset:         0
        .size:           4
        .value_kind:     by_value
      - .offset:         4
        .size:           4
        .value_kind:     by_value
      - .offset:         8
        .size:           8
        .value_kind:     by_value
      - .actual_access:  read_only
        .address_space:  global
        .offset:         16
        .size:           8
        .value_kind:     global_buffer
      - .actual_access:  read_only
        .address_space:  global
        .offset:         24
        .size:           8
        .value_kind:     global_buffer
      - .actual_access:  read_only
        .address_space:  global
        .offset:         32
        .size:           8
        .value_kind:     global_buffer
      - .actual_access:  read_only
        .address_space:  global
        .offset:         40
        .size:           8
        .value_kind:     global_buffer
      - .offset:         48
        .size:           8
        .value_kind:     by_value
      - .address_space:  global
        .offset:         56
        .size:           8
        .value_kind:     global_buffer
      - .offset:         64
        .size:           4
        .value_kind:     by_value
      - .offset:         68
        .size:           1
        .value_kind:     by_value
    .group_segment_fixed_size: 0
    .kernarg_segment_align: 8
    .kernarg_segment_size: 72
    .language:       OpenCL C
    .language_version:
      - 2
      - 0
    .max_flat_workgroup_size: 128
    .name:           _ZN9rocsparseL19gebsrmvn_2xn_kernelILj128ELj7ELj4E21rocsparse_complex_numIfEEEvi20rocsparse_direction_NS_24const_host_device_scalarIT2_EEPKiS8_PKS5_SA_S6_PS5_21rocsparse_index_base_b
    .private_segment_fixed_size: 0
    .sgpr_count:     22
    .sgpr_spill_count: 0
    .symbol:         _ZN9rocsparseL19gebsrmvn_2xn_kernelILj128ELj7ELj4E21rocsparse_complex_numIfEEEvi20rocsparse_direction_NS_24const_host_device_scalarIT2_EEPKiS8_PKS5_SA_S6_PS5_21rocsparse_index_base_b.kd
    .uniform_work_group_size: 1
    .uses_dynamic_stack: false
    .vgpr_count:     68
    .vgpr_spill_count: 0
    .wavefront_size: 64
  - .agpr_count:     0
    .args:
      - .offset:         0
        .size:           4
        .value_kind:     by_value
      - .offset:         4
        .size:           4
        .value_kind:     by_value
      - .offset:         8
        .size:           8
        .value_kind:     by_value
      - .actual_access:  read_only
        .address_space:  global
        .offset:         16
        .size:           8
        .value_kind:     global_buffer
      - .actual_access:  read_only
        .address_space:  global
        .offset:         24
        .size:           8
        .value_kind:     global_buffer
      - .actual_access:  read_only
        .address_space:  global
        .offset:         32
        .size:           8
        .value_kind:     global_buffer
      - .actual_access:  read_only
        .address_space:  global
        .offset:         40
        .size:           8
        .value_kind:     global_buffer
      - .offset:         48
        .size:           8
        .value_kind:     by_value
      - .address_space:  global
        .offset:         56
        .size:           8
        .value_kind:     global_buffer
      - .offset:         64
        .size:           4
        .value_kind:     by_value
      - .offset:         68
        .size:           1
        .value_kind:     by_value
    .group_segment_fixed_size: 0
    .kernarg_segment_align: 8
    .kernarg_segment_size: 72
    .language:       OpenCL C
    .language_version:
      - 2
      - 0
    .max_flat_workgroup_size: 128
    .name:           _ZN9rocsparseL19gebsrmvn_2xn_kernelILj128ELj7ELj8E21rocsparse_complex_numIfEEEvi20rocsparse_direction_NS_24const_host_device_scalarIT2_EEPKiS8_PKS5_SA_S6_PS5_21rocsparse_index_base_b
    .private_segment_fixed_size: 0
    .sgpr_count:     22
    .sgpr_spill_count: 0
    .symbol:         _ZN9rocsparseL19gebsrmvn_2xn_kernelILj128ELj7ELj8E21rocsparse_complex_numIfEEEvi20rocsparse_direction_NS_24const_host_device_scalarIT2_EEPKiS8_PKS5_SA_S6_PS5_21rocsparse_index_base_b.kd
    .uniform_work_group_size: 1
    .uses_dynamic_stack: false
    .vgpr_count:     68
    .vgpr_spill_count: 0
    .wavefront_size: 64
  - .agpr_count:     0
    .args:
      - .offset:         0
        .size:           4
        .value_kind:     by_value
      - .offset:         4
        .size:           4
        .value_kind:     by_value
      - .offset:         8
        .size:           8
        .value_kind:     by_value
      - .actual_access:  read_only
        .address_space:  global
        .offset:         16
        .size:           8
        .value_kind:     global_buffer
      - .actual_access:  read_only
        .address_space:  global
        .offset:         24
        .size:           8
        .value_kind:     global_buffer
      - .actual_access:  read_only
        .address_space:  global
        .offset:         32
        .size:           8
        .value_kind:     global_buffer
      - .actual_access:  read_only
        .address_space:  global
        .offset:         40
        .size:           8
        .value_kind:     global_buffer
      - .offset:         48
        .size:           8
        .value_kind:     by_value
      - .address_space:  global
        .offset:         56
        .size:           8
        .value_kind:     global_buffer
      - .offset:         64
        .size:           4
        .value_kind:     by_value
      - .offset:         68
        .size:           1
        .value_kind:     by_value
    .group_segment_fixed_size: 0
    .kernarg_segment_align: 8
    .kernarg_segment_size: 72
    .language:       OpenCL C
    .language_version:
      - 2
      - 0
    .max_flat_workgroup_size: 128
    .name:           _ZN9rocsparseL19gebsrmvn_2xn_kernelILj128ELj7ELj16E21rocsparse_complex_numIfEEEvi20rocsparse_direction_NS_24const_host_device_scalarIT2_EEPKiS8_PKS5_SA_S6_PS5_21rocsparse_index_base_b
    .private_segment_fixed_size: 0
    .sgpr_count:     22
    .sgpr_spill_count: 0
    .symbol:         _ZN9rocsparseL19gebsrmvn_2xn_kernelILj128ELj7ELj16E21rocsparse_complex_numIfEEEvi20rocsparse_direction_NS_24const_host_device_scalarIT2_EEPKiS8_PKS5_SA_S6_PS5_21rocsparse_index_base_b.kd
    .uniform_work_group_size: 1
    .uses_dynamic_stack: false
    .vgpr_count:     68
    .vgpr_spill_count: 0
    .wavefront_size: 64
  - .agpr_count:     0
    .args:
      - .offset:         0
        .size:           4
        .value_kind:     by_value
      - .offset:         4
        .size:           4
        .value_kind:     by_value
      - .offset:         8
        .size:           8
        .value_kind:     by_value
      - .actual_access:  read_only
        .address_space:  global
        .offset:         16
        .size:           8
        .value_kind:     global_buffer
      - .actual_access:  read_only
        .address_space:  global
        .offset:         24
        .size:           8
        .value_kind:     global_buffer
      - .actual_access:  read_only
        .address_space:  global
        .offset:         32
        .size:           8
        .value_kind:     global_buffer
      - .actual_access:  read_only
        .address_space:  global
        .offset:         40
        .size:           8
        .value_kind:     global_buffer
      - .offset:         48
        .size:           8
        .value_kind:     by_value
      - .address_space:  global
        .offset:         56
        .size:           8
        .value_kind:     global_buffer
      - .offset:         64
        .size:           4
        .value_kind:     by_value
      - .offset:         68
        .size:           1
        .value_kind:     by_value
    .group_segment_fixed_size: 0
    .kernarg_segment_align: 8
    .kernarg_segment_size: 72
    .language:       OpenCL C
    .language_version:
      - 2
      - 0
    .max_flat_workgroup_size: 128
    .name:           _ZN9rocsparseL19gebsrmvn_2xn_kernelILj128ELj7ELj32E21rocsparse_complex_numIfEEEvi20rocsparse_direction_NS_24const_host_device_scalarIT2_EEPKiS8_PKS5_SA_S6_PS5_21rocsparse_index_base_b
    .private_segment_fixed_size: 0
    .sgpr_count:     22
    .sgpr_spill_count: 0
    .symbol:         _ZN9rocsparseL19gebsrmvn_2xn_kernelILj128ELj7ELj32E21rocsparse_complex_numIfEEEvi20rocsparse_direction_NS_24const_host_device_scalarIT2_EEPKiS8_PKS5_SA_S6_PS5_21rocsparse_index_base_b.kd
    .uniform_work_group_size: 1
    .uses_dynamic_stack: false
    .vgpr_count:     68
    .vgpr_spill_count: 0
    .wavefront_size: 64
  - .agpr_count:     0
    .args:
      - .offset:         0
        .size:           4
        .value_kind:     by_value
      - .offset:         4
        .size:           4
        .value_kind:     by_value
      - .offset:         8
        .size:           8
        .value_kind:     by_value
      - .actual_access:  read_only
        .address_space:  global
        .offset:         16
        .size:           8
        .value_kind:     global_buffer
      - .actual_access:  read_only
        .address_space:  global
        .offset:         24
        .size:           8
        .value_kind:     global_buffer
      - .actual_access:  read_only
        .address_space:  global
        .offset:         32
        .size:           8
        .value_kind:     global_buffer
      - .actual_access:  read_only
        .address_space:  global
        .offset:         40
        .size:           8
        .value_kind:     global_buffer
      - .offset:         48
        .size:           8
        .value_kind:     by_value
      - .address_space:  global
        .offset:         56
        .size:           8
        .value_kind:     global_buffer
      - .offset:         64
        .size:           4
        .value_kind:     by_value
      - .offset:         68
        .size:           1
        .value_kind:     by_value
    .group_segment_fixed_size: 0
    .kernarg_segment_align: 8
    .kernarg_segment_size: 72
    .language:       OpenCL C
    .language_version:
      - 2
      - 0
    .max_flat_workgroup_size: 128
    .name:           _ZN9rocsparseL19gebsrmvn_2xn_kernelILj128ELj7ELj64E21rocsparse_complex_numIfEEEvi20rocsparse_direction_NS_24const_host_device_scalarIT2_EEPKiS8_PKS5_SA_S6_PS5_21rocsparse_index_base_b
    .private_segment_fixed_size: 0
    .sgpr_count:     22
    .sgpr_spill_count: 0
    .symbol:         _ZN9rocsparseL19gebsrmvn_2xn_kernelILj128ELj7ELj64E21rocsparse_complex_numIfEEEvi20rocsparse_direction_NS_24const_host_device_scalarIT2_EEPKiS8_PKS5_SA_S6_PS5_21rocsparse_index_base_b.kd
    .uniform_work_group_size: 1
    .uses_dynamic_stack: false
    .vgpr_count:     68
    .vgpr_spill_count: 0
    .wavefront_size: 64
  - .agpr_count:     0
    .args:
      - .offset:         0
        .size:           4
        .value_kind:     by_value
      - .offset:         4
        .size:           4
        .value_kind:     by_value
      - .offset:         8
        .size:           8
        .value_kind:     by_value
      - .actual_access:  read_only
        .address_space:  global
        .offset:         16
        .size:           8
        .value_kind:     global_buffer
      - .actual_access:  read_only
        .address_space:  global
        .offset:         24
        .size:           8
        .value_kind:     global_buffer
      - .actual_access:  read_only
        .address_space:  global
        .offset:         32
        .size:           8
        .value_kind:     global_buffer
      - .actual_access:  read_only
        .address_space:  global
        .offset:         40
        .size:           8
        .value_kind:     global_buffer
      - .offset:         48
        .size:           8
        .value_kind:     by_value
      - .address_space:  global
        .offset:         56
        .size:           8
        .value_kind:     global_buffer
      - .offset:         64
        .size:           4
        .value_kind:     by_value
      - .offset:         68
        .size:           1
        .value_kind:     by_value
    .group_segment_fixed_size: 0
    .kernarg_segment_align: 8
    .kernarg_segment_size: 72
    .language:       OpenCL C
    .language_version:
      - 2
      - 0
    .max_flat_workgroup_size: 128
    .name:           _ZN9rocsparseL19gebsrmvn_2xn_kernelILj128ELj8ELj4E21rocsparse_complex_numIfEEEvi20rocsparse_direction_NS_24const_host_device_scalarIT2_EEPKiS8_PKS5_SA_S6_PS5_21rocsparse_index_base_b
    .private_segment_fixed_size: 0
    .sgpr_count:     22
    .sgpr_spill_count: 0
    .symbol:         _ZN9rocsparseL19gebsrmvn_2xn_kernelILj128ELj8ELj4E21rocsparse_complex_numIfEEEvi20rocsparse_direction_NS_24const_host_device_scalarIT2_EEPKiS8_PKS5_SA_S6_PS5_21rocsparse_index_base_b.kd
    .uniform_work_group_size: 1
    .uses_dynamic_stack: false
    .vgpr_count:     84
    .vgpr_spill_count: 0
    .wavefront_size: 64
  - .agpr_count:     0
    .args:
      - .offset:         0
        .size:           4
        .value_kind:     by_value
      - .offset:         4
        .size:           4
        .value_kind:     by_value
      - .offset:         8
        .size:           8
        .value_kind:     by_value
      - .actual_access:  read_only
        .address_space:  global
        .offset:         16
        .size:           8
        .value_kind:     global_buffer
      - .actual_access:  read_only
        .address_space:  global
        .offset:         24
        .size:           8
        .value_kind:     global_buffer
      - .actual_access:  read_only
        .address_space:  global
        .offset:         32
        .size:           8
        .value_kind:     global_buffer
      - .actual_access:  read_only
        .address_space:  global
        .offset:         40
        .size:           8
        .value_kind:     global_buffer
      - .offset:         48
        .size:           8
        .value_kind:     by_value
      - .address_space:  global
        .offset:         56
        .size:           8
        .value_kind:     global_buffer
      - .offset:         64
        .size:           4
        .value_kind:     by_value
      - .offset:         68
        .size:           1
        .value_kind:     by_value
    .group_segment_fixed_size: 0
    .kernarg_segment_align: 8
    .kernarg_segment_size: 72
    .language:       OpenCL C
    .language_version:
      - 2
      - 0
    .max_flat_workgroup_size: 128
    .name:           _ZN9rocsparseL19gebsrmvn_2xn_kernelILj128ELj8ELj8E21rocsparse_complex_numIfEEEvi20rocsparse_direction_NS_24const_host_device_scalarIT2_EEPKiS8_PKS5_SA_S6_PS5_21rocsparse_index_base_b
    .private_segment_fixed_size: 0
    .sgpr_count:     22
    .sgpr_spill_count: 0
    .symbol:         _ZN9rocsparseL19gebsrmvn_2xn_kernelILj128ELj8ELj8E21rocsparse_complex_numIfEEEvi20rocsparse_direction_NS_24const_host_device_scalarIT2_EEPKiS8_PKS5_SA_S6_PS5_21rocsparse_index_base_b.kd
    .uniform_work_group_size: 1
    .uses_dynamic_stack: false
    .vgpr_count:     84
    .vgpr_spill_count: 0
    .wavefront_size: 64
  - .agpr_count:     0
    .args:
      - .offset:         0
        .size:           4
        .value_kind:     by_value
      - .offset:         4
        .size:           4
        .value_kind:     by_value
      - .offset:         8
        .size:           8
        .value_kind:     by_value
      - .actual_access:  read_only
        .address_space:  global
        .offset:         16
        .size:           8
        .value_kind:     global_buffer
      - .actual_access:  read_only
        .address_space:  global
        .offset:         24
        .size:           8
        .value_kind:     global_buffer
      - .actual_access:  read_only
        .address_space:  global
        .offset:         32
        .size:           8
        .value_kind:     global_buffer
      - .actual_access:  read_only
        .address_space:  global
        .offset:         40
        .size:           8
        .value_kind:     global_buffer
      - .offset:         48
        .size:           8
        .value_kind:     by_value
      - .address_space:  global
        .offset:         56
        .size:           8
        .value_kind:     global_buffer
      - .offset:         64
        .size:           4
        .value_kind:     by_value
      - .offset:         68
        .size:           1
        .value_kind:     by_value
    .group_segment_fixed_size: 0
    .kernarg_segment_align: 8
    .kernarg_segment_size: 72
    .language:       OpenCL C
    .language_version:
      - 2
      - 0
    .max_flat_workgroup_size: 128
    .name:           _ZN9rocsparseL19gebsrmvn_2xn_kernelILj128ELj8ELj16E21rocsparse_complex_numIfEEEvi20rocsparse_direction_NS_24const_host_device_scalarIT2_EEPKiS8_PKS5_SA_S6_PS5_21rocsparse_index_base_b
    .private_segment_fixed_size: 0
    .sgpr_count:     22
    .sgpr_spill_count: 0
    .symbol:         _ZN9rocsparseL19gebsrmvn_2xn_kernelILj128ELj8ELj16E21rocsparse_complex_numIfEEEvi20rocsparse_direction_NS_24const_host_device_scalarIT2_EEPKiS8_PKS5_SA_S6_PS5_21rocsparse_index_base_b.kd
    .uniform_work_group_size: 1
    .uses_dynamic_stack: false
    .vgpr_count:     84
    .vgpr_spill_count: 0
    .wavefront_size: 64
  - .agpr_count:     0
    .args:
      - .offset:         0
        .size:           4
        .value_kind:     by_value
      - .offset:         4
        .size:           4
        .value_kind:     by_value
      - .offset:         8
        .size:           8
        .value_kind:     by_value
      - .actual_access:  read_only
        .address_space:  global
        .offset:         16
        .size:           8
        .value_kind:     global_buffer
      - .actual_access:  read_only
        .address_space:  global
        .offset:         24
        .size:           8
        .value_kind:     global_buffer
      - .actual_access:  read_only
        .address_space:  global
        .offset:         32
        .size:           8
        .value_kind:     global_buffer
      - .actual_access:  read_only
        .address_space:  global
        .offset:         40
        .size:           8
        .value_kind:     global_buffer
      - .offset:         48
        .size:           8
        .value_kind:     by_value
      - .address_space:  global
        .offset:         56
        .size:           8
        .value_kind:     global_buffer
      - .offset:         64
        .size:           4
        .value_kind:     by_value
      - .offset:         68
        .size:           1
        .value_kind:     by_value
    .group_segment_fixed_size: 0
    .kernarg_segment_align: 8
    .kernarg_segment_size: 72
    .language:       OpenCL C
    .language_version:
      - 2
      - 0
    .max_flat_workgroup_size: 128
    .name:           _ZN9rocsparseL19gebsrmvn_2xn_kernelILj128ELj8ELj32E21rocsparse_complex_numIfEEEvi20rocsparse_direction_NS_24const_host_device_scalarIT2_EEPKiS8_PKS5_SA_S6_PS5_21rocsparse_index_base_b
    .private_segment_fixed_size: 0
    .sgpr_count:     22
    .sgpr_spill_count: 0
    .symbol:         _ZN9rocsparseL19gebsrmvn_2xn_kernelILj128ELj8ELj32E21rocsparse_complex_numIfEEEvi20rocsparse_direction_NS_24const_host_device_scalarIT2_EEPKiS8_PKS5_SA_S6_PS5_21rocsparse_index_base_b.kd
    .uniform_work_group_size: 1
    .uses_dynamic_stack: false
    .vgpr_count:     84
    .vgpr_spill_count: 0
    .wavefront_size: 64
  - .agpr_count:     0
    .args:
      - .offset:         0
        .size:           4
        .value_kind:     by_value
      - .offset:         4
        .size:           4
        .value_kind:     by_value
      - .offset:         8
        .size:           8
        .value_kind:     by_value
      - .actual_access:  read_only
        .address_space:  global
        .offset:         16
        .size:           8
        .value_kind:     global_buffer
      - .actual_access:  read_only
        .address_space:  global
        .offset:         24
        .size:           8
        .value_kind:     global_buffer
      - .actual_access:  read_only
        .address_space:  global
        .offset:         32
        .size:           8
        .value_kind:     global_buffer
      - .actual_access:  read_only
        .address_space:  global
        .offset:         40
        .size:           8
        .value_kind:     global_buffer
      - .offset:         48
        .size:           8
        .value_kind:     by_value
      - .address_space:  global
        .offset:         56
        .size:           8
        .value_kind:     global_buffer
      - .offset:         64
        .size:           4
        .value_kind:     by_value
      - .offset:         68
        .size:           1
        .value_kind:     by_value
    .group_segment_fixed_size: 0
    .kernarg_segment_align: 8
    .kernarg_segment_size: 72
    .language:       OpenCL C
    .language_version:
      - 2
      - 0
    .max_flat_workgroup_size: 128
    .name:           _ZN9rocsparseL19gebsrmvn_2xn_kernelILj128ELj8ELj64E21rocsparse_complex_numIfEEEvi20rocsparse_direction_NS_24const_host_device_scalarIT2_EEPKiS8_PKS5_SA_S6_PS5_21rocsparse_index_base_b
    .private_segment_fixed_size: 0
    .sgpr_count:     22
    .sgpr_spill_count: 0
    .symbol:         _ZN9rocsparseL19gebsrmvn_2xn_kernelILj128ELj8ELj64E21rocsparse_complex_numIfEEEvi20rocsparse_direction_NS_24const_host_device_scalarIT2_EEPKiS8_PKS5_SA_S6_PS5_21rocsparse_index_base_b.kd
    .uniform_work_group_size: 1
    .uses_dynamic_stack: false
    .vgpr_count:     84
    .vgpr_spill_count: 0
    .wavefront_size: 64
  - .agpr_count:     0
    .args:
      - .offset:         0
        .size:           4
        .value_kind:     by_value
      - .offset:         4
        .size:           4
        .value_kind:     by_value
      - .offset:         8
        .size:           8
        .value_kind:     by_value
      - .actual_access:  read_only
        .address_space:  global
        .offset:         16
        .size:           8
        .value_kind:     global_buffer
      - .actual_access:  read_only
        .address_space:  global
        .offset:         24
        .size:           8
        .value_kind:     global_buffer
      - .actual_access:  read_only
        .address_space:  global
        .offset:         32
        .size:           8
        .value_kind:     global_buffer
      - .actual_access:  read_only
        .address_space:  global
        .offset:         40
        .size:           8
        .value_kind:     global_buffer
      - .offset:         48
        .size:           8
        .value_kind:     by_value
      - .address_space:  global
        .offset:         56
        .size:           8
        .value_kind:     global_buffer
      - .offset:         64
        .size:           4
        .value_kind:     by_value
      - .offset:         68
        .size:           1
        .value_kind:     by_value
    .group_segment_fixed_size: 0
    .kernarg_segment_align: 8
    .kernarg_segment_size: 72
    .language:       OpenCL C
    .language_version:
      - 2
      - 0
    .max_flat_workgroup_size: 128
    .name:           _ZN9rocsparseL19gebsrmvn_2xn_kernelILj128ELj9ELj4E21rocsparse_complex_numIfEEEvi20rocsparse_direction_NS_24const_host_device_scalarIT2_EEPKiS8_PKS5_SA_S6_PS5_21rocsparse_index_base_b
    .private_segment_fixed_size: 0
    .sgpr_count:     22
    .sgpr_spill_count: 0
    .symbol:         _ZN9rocsparseL19gebsrmvn_2xn_kernelILj128ELj9ELj4E21rocsparse_complex_numIfEEEvi20rocsparse_direction_NS_24const_host_device_scalarIT2_EEPKiS8_PKS5_SA_S6_PS5_21rocsparse_index_base_b.kd
    .uniform_work_group_size: 1
    .uses_dynamic_stack: false
    .vgpr_count:     72
    .vgpr_spill_count: 0
    .wavefront_size: 64
  - .agpr_count:     0
    .args:
      - .offset:         0
        .size:           4
        .value_kind:     by_value
      - .offset:         4
        .size:           4
        .value_kind:     by_value
      - .offset:         8
        .size:           8
        .value_kind:     by_value
      - .actual_access:  read_only
        .address_space:  global
        .offset:         16
        .size:           8
        .value_kind:     global_buffer
      - .actual_access:  read_only
        .address_space:  global
        .offset:         24
        .size:           8
        .value_kind:     global_buffer
      - .actual_access:  read_only
        .address_space:  global
        .offset:         32
        .size:           8
        .value_kind:     global_buffer
      - .actual_access:  read_only
        .address_space:  global
        .offset:         40
        .size:           8
        .value_kind:     global_buffer
      - .offset:         48
        .size:           8
        .value_kind:     by_value
      - .address_space:  global
        .offset:         56
        .size:           8
        .value_kind:     global_buffer
      - .offset:         64
        .size:           4
        .value_kind:     by_value
      - .offset:         68
        .size:           1
        .value_kind:     by_value
    .group_segment_fixed_size: 0
    .kernarg_segment_align: 8
    .kernarg_segment_size: 72
    .language:       OpenCL C
    .language_version:
      - 2
      - 0
    .max_flat_workgroup_size: 128
    .name:           _ZN9rocsparseL19gebsrmvn_2xn_kernelILj128ELj9ELj8E21rocsparse_complex_numIfEEEvi20rocsparse_direction_NS_24const_host_device_scalarIT2_EEPKiS8_PKS5_SA_S6_PS5_21rocsparse_index_base_b
    .private_segment_fixed_size: 0
    .sgpr_count:     22
    .sgpr_spill_count: 0
    .symbol:         _ZN9rocsparseL19gebsrmvn_2xn_kernelILj128ELj9ELj8E21rocsparse_complex_numIfEEEvi20rocsparse_direction_NS_24const_host_device_scalarIT2_EEPKiS8_PKS5_SA_S6_PS5_21rocsparse_index_base_b.kd
    .uniform_work_group_size: 1
    .uses_dynamic_stack: false
    .vgpr_count:     72
    .vgpr_spill_count: 0
    .wavefront_size: 64
  - .agpr_count:     0
    .args:
      - .offset:         0
        .size:           4
        .value_kind:     by_value
      - .offset:         4
        .size:           4
        .value_kind:     by_value
      - .offset:         8
        .size:           8
        .value_kind:     by_value
      - .actual_access:  read_only
        .address_space:  global
        .offset:         16
        .size:           8
        .value_kind:     global_buffer
      - .actual_access:  read_only
        .address_space:  global
        .offset:         24
        .size:           8
        .value_kind:     global_buffer
      - .actual_access:  read_only
        .address_space:  global
        .offset:         32
        .size:           8
        .value_kind:     global_buffer
      - .actual_access:  read_only
        .address_space:  global
        .offset:         40
        .size:           8
        .value_kind:     global_buffer
      - .offset:         48
        .size:           8
        .value_kind:     by_value
      - .address_space:  global
        .offset:         56
        .size:           8
        .value_kind:     global_buffer
      - .offset:         64
        .size:           4
        .value_kind:     by_value
      - .offset:         68
        .size:           1
        .value_kind:     by_value
    .group_segment_fixed_size: 0
    .kernarg_segment_align: 8
    .kernarg_segment_size: 72
    .language:       OpenCL C
    .language_version:
      - 2
      - 0
    .max_flat_workgroup_size: 128
    .name:           _ZN9rocsparseL19gebsrmvn_2xn_kernelILj128ELj9ELj16E21rocsparse_complex_numIfEEEvi20rocsparse_direction_NS_24const_host_device_scalarIT2_EEPKiS8_PKS5_SA_S6_PS5_21rocsparse_index_base_b
    .private_segment_fixed_size: 0
    .sgpr_count:     22
    .sgpr_spill_count: 0
    .symbol:         _ZN9rocsparseL19gebsrmvn_2xn_kernelILj128ELj9ELj16E21rocsparse_complex_numIfEEEvi20rocsparse_direction_NS_24const_host_device_scalarIT2_EEPKiS8_PKS5_SA_S6_PS5_21rocsparse_index_base_b.kd
    .uniform_work_group_size: 1
    .uses_dynamic_stack: false
    .vgpr_count:     72
    .vgpr_spill_count: 0
    .wavefront_size: 64
  - .agpr_count:     0
    .args:
      - .offset:         0
        .size:           4
        .value_kind:     by_value
      - .offset:         4
        .size:           4
        .value_kind:     by_value
      - .offset:         8
        .size:           8
        .value_kind:     by_value
      - .actual_access:  read_only
        .address_space:  global
        .offset:         16
        .size:           8
        .value_kind:     global_buffer
      - .actual_access:  read_only
        .address_space:  global
        .offset:         24
        .size:           8
        .value_kind:     global_buffer
      - .actual_access:  read_only
        .address_space:  global
        .offset:         32
        .size:           8
        .value_kind:     global_buffer
      - .actual_access:  read_only
        .address_space:  global
        .offset:         40
        .size:           8
        .value_kind:     global_buffer
      - .offset:         48
        .size:           8
        .value_kind:     by_value
      - .address_space:  global
        .offset:         56
        .size:           8
        .value_kind:     global_buffer
      - .offset:         64
        .size:           4
        .value_kind:     by_value
      - .offset:         68
        .size:           1
        .value_kind:     by_value
    .group_segment_fixed_size: 0
    .kernarg_segment_align: 8
    .kernarg_segment_size: 72
    .language:       OpenCL C
    .language_version:
      - 2
      - 0
    .max_flat_workgroup_size: 128
    .name:           _ZN9rocsparseL19gebsrmvn_2xn_kernelILj128ELj9ELj32E21rocsparse_complex_numIfEEEvi20rocsparse_direction_NS_24const_host_device_scalarIT2_EEPKiS8_PKS5_SA_S6_PS5_21rocsparse_index_base_b
    .private_segment_fixed_size: 0
    .sgpr_count:     22
    .sgpr_spill_count: 0
    .symbol:         _ZN9rocsparseL19gebsrmvn_2xn_kernelILj128ELj9ELj32E21rocsparse_complex_numIfEEEvi20rocsparse_direction_NS_24const_host_device_scalarIT2_EEPKiS8_PKS5_SA_S6_PS5_21rocsparse_index_base_b.kd
    .uniform_work_group_size: 1
    .uses_dynamic_stack: false
    .vgpr_count:     72
    .vgpr_spill_count: 0
    .wavefront_size: 64
  - .agpr_count:     0
    .args:
      - .offset:         0
        .size:           4
        .value_kind:     by_value
      - .offset:         4
        .size:           4
        .value_kind:     by_value
      - .offset:         8
        .size:           8
        .value_kind:     by_value
      - .actual_access:  read_only
        .address_space:  global
        .offset:         16
        .size:           8
        .value_kind:     global_buffer
      - .actual_access:  read_only
        .address_space:  global
        .offset:         24
        .size:           8
        .value_kind:     global_buffer
      - .actual_access:  read_only
        .address_space:  global
        .offset:         32
        .size:           8
        .value_kind:     global_buffer
      - .actual_access:  read_only
        .address_space:  global
        .offset:         40
        .size:           8
        .value_kind:     global_buffer
      - .offset:         48
        .size:           8
        .value_kind:     by_value
      - .address_space:  global
        .offset:         56
        .size:           8
        .value_kind:     global_buffer
      - .offset:         64
        .size:           4
        .value_kind:     by_value
      - .offset:         68
        .size:           1
        .value_kind:     by_value
    .group_segment_fixed_size: 0
    .kernarg_segment_align: 8
    .kernarg_segment_size: 72
    .language:       OpenCL C
    .language_version:
      - 2
      - 0
    .max_flat_workgroup_size: 128
    .name:           _ZN9rocsparseL19gebsrmvn_2xn_kernelILj128ELj9ELj64E21rocsparse_complex_numIfEEEvi20rocsparse_direction_NS_24const_host_device_scalarIT2_EEPKiS8_PKS5_SA_S6_PS5_21rocsparse_index_base_b
    .private_segment_fixed_size: 0
    .sgpr_count:     22
    .sgpr_spill_count: 0
    .symbol:         _ZN9rocsparseL19gebsrmvn_2xn_kernelILj128ELj9ELj64E21rocsparse_complex_numIfEEEvi20rocsparse_direction_NS_24const_host_device_scalarIT2_EEPKiS8_PKS5_SA_S6_PS5_21rocsparse_index_base_b.kd
    .uniform_work_group_size: 1
    .uses_dynamic_stack: false
    .vgpr_count:     72
    .vgpr_spill_count: 0
    .wavefront_size: 64
  - .agpr_count:     0
    .args:
      - .offset:         0
        .size:           4
        .value_kind:     by_value
      - .offset:         4
        .size:           4
        .value_kind:     by_value
      - .offset:         8
        .size:           8
        .value_kind:     by_value
      - .actual_access:  read_only
        .address_space:  global
        .offset:         16
        .size:           8
        .value_kind:     global_buffer
      - .actual_access:  read_only
        .address_space:  global
        .offset:         24
        .size:           8
        .value_kind:     global_buffer
      - .actual_access:  read_only
        .address_space:  global
        .offset:         32
        .size:           8
        .value_kind:     global_buffer
      - .actual_access:  read_only
        .address_space:  global
        .offset:         40
        .size:           8
        .value_kind:     global_buffer
      - .offset:         48
        .size:           8
        .value_kind:     by_value
      - .address_space:  global
        .offset:         56
        .size:           8
        .value_kind:     global_buffer
      - .offset:         64
        .size:           4
        .value_kind:     by_value
      - .offset:         68
        .size:           1
        .value_kind:     by_value
    .group_segment_fixed_size: 0
    .kernarg_segment_align: 8
    .kernarg_segment_size: 72
    .language:       OpenCL C
    .language_version:
      - 2
      - 0
    .max_flat_workgroup_size: 128
    .name:           _ZN9rocsparseL19gebsrmvn_2xn_kernelILj128ELj10ELj4E21rocsparse_complex_numIfEEEvi20rocsparse_direction_NS_24const_host_device_scalarIT2_EEPKiS8_PKS5_SA_S6_PS5_21rocsparse_index_base_b
    .private_segment_fixed_size: 0
    .sgpr_count:     22
    .sgpr_spill_count: 0
    .symbol:         _ZN9rocsparseL19gebsrmvn_2xn_kernelILj128ELj10ELj4E21rocsparse_complex_numIfEEEvi20rocsparse_direction_NS_24const_host_device_scalarIT2_EEPKiS8_PKS5_SA_S6_PS5_21rocsparse_index_base_b.kd
    .uniform_work_group_size: 1
    .uses_dynamic_stack: false
    .vgpr_count:     86
    .vgpr_spill_count: 0
    .wavefront_size: 64
  - .agpr_count:     0
    .args:
      - .offset:         0
        .size:           4
        .value_kind:     by_value
      - .offset:         4
        .size:           4
        .value_kind:     by_value
      - .offset:         8
        .size:           8
        .value_kind:     by_value
      - .actual_access:  read_only
        .address_space:  global
        .offset:         16
        .size:           8
        .value_kind:     global_buffer
      - .actual_access:  read_only
        .address_space:  global
        .offset:         24
        .size:           8
        .value_kind:     global_buffer
      - .actual_access:  read_only
        .address_space:  global
        .offset:         32
        .size:           8
        .value_kind:     global_buffer
      - .actual_access:  read_only
        .address_space:  global
        .offset:         40
        .size:           8
        .value_kind:     global_buffer
      - .offset:         48
        .size:           8
        .value_kind:     by_value
      - .address_space:  global
        .offset:         56
        .size:           8
        .value_kind:     global_buffer
      - .offset:         64
        .size:           4
        .value_kind:     by_value
      - .offset:         68
        .size:           1
        .value_kind:     by_value
    .group_segment_fixed_size: 0
    .kernarg_segment_align: 8
    .kernarg_segment_size: 72
    .language:       OpenCL C
    .language_version:
      - 2
      - 0
    .max_flat_workgroup_size: 128
    .name:           _ZN9rocsparseL19gebsrmvn_2xn_kernelILj128ELj10ELj8E21rocsparse_complex_numIfEEEvi20rocsparse_direction_NS_24const_host_device_scalarIT2_EEPKiS8_PKS5_SA_S6_PS5_21rocsparse_index_base_b
    .private_segment_fixed_size: 0
    .sgpr_count:     22
    .sgpr_spill_count: 0
    .symbol:         _ZN9rocsparseL19gebsrmvn_2xn_kernelILj128ELj10ELj8E21rocsparse_complex_numIfEEEvi20rocsparse_direction_NS_24const_host_device_scalarIT2_EEPKiS8_PKS5_SA_S6_PS5_21rocsparse_index_base_b.kd
    .uniform_work_group_size: 1
    .uses_dynamic_stack: false
    .vgpr_count:     86
    .vgpr_spill_count: 0
    .wavefront_size: 64
  - .agpr_count:     0
    .args:
      - .offset:         0
        .size:           4
        .value_kind:     by_value
      - .offset:         4
        .size:           4
        .value_kind:     by_value
      - .offset:         8
        .size:           8
        .value_kind:     by_value
      - .actual_access:  read_only
        .address_space:  global
        .offset:         16
        .size:           8
        .value_kind:     global_buffer
      - .actual_access:  read_only
        .address_space:  global
        .offset:         24
        .size:           8
        .value_kind:     global_buffer
      - .actual_access:  read_only
        .address_space:  global
        .offset:         32
        .size:           8
        .value_kind:     global_buffer
      - .actual_access:  read_only
        .address_space:  global
        .offset:         40
        .size:           8
        .value_kind:     global_buffer
      - .offset:         48
        .size:           8
        .value_kind:     by_value
      - .address_space:  global
        .offset:         56
        .size:           8
        .value_kind:     global_buffer
      - .offset:         64
        .size:           4
        .value_kind:     by_value
      - .offset:         68
        .size:           1
        .value_kind:     by_value
    .group_segment_fixed_size: 0
    .kernarg_segment_align: 8
    .kernarg_segment_size: 72
    .language:       OpenCL C
    .language_version:
      - 2
      - 0
    .max_flat_workgroup_size: 128
    .name:           _ZN9rocsparseL19gebsrmvn_2xn_kernelILj128ELj10ELj16E21rocsparse_complex_numIfEEEvi20rocsparse_direction_NS_24const_host_device_scalarIT2_EEPKiS8_PKS5_SA_S6_PS5_21rocsparse_index_base_b
    .private_segment_fixed_size: 0
    .sgpr_count:     22
    .sgpr_spill_count: 0
    .symbol:         _ZN9rocsparseL19gebsrmvn_2xn_kernelILj128ELj10ELj16E21rocsparse_complex_numIfEEEvi20rocsparse_direction_NS_24const_host_device_scalarIT2_EEPKiS8_PKS5_SA_S6_PS5_21rocsparse_index_base_b.kd
    .uniform_work_group_size: 1
    .uses_dynamic_stack: false
    .vgpr_count:     86
    .vgpr_spill_count: 0
    .wavefront_size: 64
  - .agpr_count:     0
    .args:
      - .offset:         0
        .size:           4
        .value_kind:     by_value
      - .offset:         4
        .size:           4
        .value_kind:     by_value
      - .offset:         8
        .size:           8
        .value_kind:     by_value
      - .actual_access:  read_only
        .address_space:  global
        .offset:         16
        .size:           8
        .value_kind:     global_buffer
      - .actual_access:  read_only
        .address_space:  global
        .offset:         24
        .size:           8
        .value_kind:     global_buffer
      - .actual_access:  read_only
        .address_space:  global
        .offset:         32
        .size:           8
        .value_kind:     global_buffer
      - .actual_access:  read_only
        .address_space:  global
        .offset:         40
        .size:           8
        .value_kind:     global_buffer
      - .offset:         48
        .size:           8
        .value_kind:     by_value
      - .address_space:  global
        .offset:         56
        .size:           8
        .value_kind:     global_buffer
      - .offset:         64
        .size:           4
        .value_kind:     by_value
      - .offset:         68
        .size:           1
        .value_kind:     by_value
    .group_segment_fixed_size: 0
    .kernarg_segment_align: 8
    .kernarg_segment_size: 72
    .language:       OpenCL C
    .language_version:
      - 2
      - 0
    .max_flat_workgroup_size: 128
    .name:           _ZN9rocsparseL19gebsrmvn_2xn_kernelILj128ELj10ELj32E21rocsparse_complex_numIfEEEvi20rocsparse_direction_NS_24const_host_device_scalarIT2_EEPKiS8_PKS5_SA_S6_PS5_21rocsparse_index_base_b
    .private_segment_fixed_size: 0
    .sgpr_count:     22
    .sgpr_spill_count: 0
    .symbol:         _ZN9rocsparseL19gebsrmvn_2xn_kernelILj128ELj10ELj32E21rocsparse_complex_numIfEEEvi20rocsparse_direction_NS_24const_host_device_scalarIT2_EEPKiS8_PKS5_SA_S6_PS5_21rocsparse_index_base_b.kd
    .uniform_work_group_size: 1
    .uses_dynamic_stack: false
    .vgpr_count:     86
    .vgpr_spill_count: 0
    .wavefront_size: 64
  - .agpr_count:     0
    .args:
      - .offset:         0
        .size:           4
        .value_kind:     by_value
      - .offset:         4
        .size:           4
        .value_kind:     by_value
      - .offset:         8
        .size:           8
        .value_kind:     by_value
      - .actual_access:  read_only
        .address_space:  global
        .offset:         16
        .size:           8
        .value_kind:     global_buffer
      - .actual_access:  read_only
        .address_space:  global
        .offset:         24
        .size:           8
        .value_kind:     global_buffer
      - .actual_access:  read_only
        .address_space:  global
        .offset:         32
        .size:           8
        .value_kind:     global_buffer
      - .actual_access:  read_only
        .address_space:  global
        .offset:         40
        .size:           8
        .value_kind:     global_buffer
      - .offset:         48
        .size:           8
        .value_kind:     by_value
      - .address_space:  global
        .offset:         56
        .size:           8
        .value_kind:     global_buffer
      - .offset:         64
        .size:           4
        .value_kind:     by_value
      - .offset:         68
        .size:           1
        .value_kind:     by_value
    .group_segment_fixed_size: 0
    .kernarg_segment_align: 8
    .kernarg_segment_size: 72
    .language:       OpenCL C
    .language_version:
      - 2
      - 0
    .max_flat_workgroup_size: 128
    .name:           _ZN9rocsparseL19gebsrmvn_2xn_kernelILj128ELj10ELj64E21rocsparse_complex_numIfEEEvi20rocsparse_direction_NS_24const_host_device_scalarIT2_EEPKiS8_PKS5_SA_S6_PS5_21rocsparse_index_base_b
    .private_segment_fixed_size: 0
    .sgpr_count:     22
    .sgpr_spill_count: 0
    .symbol:         _ZN9rocsparseL19gebsrmvn_2xn_kernelILj128ELj10ELj64E21rocsparse_complex_numIfEEEvi20rocsparse_direction_NS_24const_host_device_scalarIT2_EEPKiS8_PKS5_SA_S6_PS5_21rocsparse_index_base_b.kd
    .uniform_work_group_size: 1
    .uses_dynamic_stack: false
    .vgpr_count:     86
    .vgpr_spill_count: 0
    .wavefront_size: 64
  - .agpr_count:     0
    .args:
      - .offset:         0
        .size:           4
        .value_kind:     by_value
      - .offset:         4
        .size:           4
        .value_kind:     by_value
      - .offset:         8
        .size:           8
        .value_kind:     by_value
      - .actual_access:  read_only
        .address_space:  global
        .offset:         16
        .size:           8
        .value_kind:     global_buffer
      - .actual_access:  read_only
        .address_space:  global
        .offset:         24
        .size:           8
        .value_kind:     global_buffer
      - .actual_access:  read_only
        .address_space:  global
        .offset:         32
        .size:           8
        .value_kind:     global_buffer
      - .actual_access:  read_only
        .address_space:  global
        .offset:         40
        .size:           8
        .value_kind:     global_buffer
      - .offset:         48
        .size:           8
        .value_kind:     by_value
      - .address_space:  global
        .offset:         56
        .size:           8
        .value_kind:     global_buffer
      - .offset:         64
        .size:           4
        .value_kind:     by_value
      - .offset:         68
        .size:           1
        .value_kind:     by_value
    .group_segment_fixed_size: 0
    .kernarg_segment_align: 8
    .kernarg_segment_size: 72
    .language:       OpenCL C
    .language_version:
      - 2
      - 0
    .max_flat_workgroup_size: 128
    .name:           _ZN9rocsparseL19gebsrmvn_2xn_kernelILj128ELj11ELj4E21rocsparse_complex_numIfEEEvi20rocsparse_direction_NS_24const_host_device_scalarIT2_EEPKiS8_PKS5_SA_S6_PS5_21rocsparse_index_base_b
    .private_segment_fixed_size: 0
    .sgpr_count:     22
    .sgpr_spill_count: 0
    .symbol:         _ZN9rocsparseL19gebsrmvn_2xn_kernelILj128ELj11ELj4E21rocsparse_complex_numIfEEEvi20rocsparse_direction_NS_24const_host_device_scalarIT2_EEPKiS8_PKS5_SA_S6_PS5_21rocsparse_index_base_b.kd
    .uniform_work_group_size: 1
    .uses_dynamic_stack: false
    .vgpr_count:     74
    .vgpr_spill_count: 0
    .wavefront_size: 64
  - .agpr_count:     0
    .args:
      - .offset:         0
        .size:           4
        .value_kind:     by_value
      - .offset:         4
        .size:           4
        .value_kind:     by_value
      - .offset:         8
        .size:           8
        .value_kind:     by_value
      - .actual_access:  read_only
        .address_space:  global
        .offset:         16
        .size:           8
        .value_kind:     global_buffer
      - .actual_access:  read_only
        .address_space:  global
        .offset:         24
        .size:           8
        .value_kind:     global_buffer
      - .actual_access:  read_only
        .address_space:  global
        .offset:         32
        .size:           8
        .value_kind:     global_buffer
      - .actual_access:  read_only
        .address_space:  global
        .offset:         40
        .size:           8
        .value_kind:     global_buffer
      - .offset:         48
        .size:           8
        .value_kind:     by_value
      - .address_space:  global
        .offset:         56
        .size:           8
        .value_kind:     global_buffer
      - .offset:         64
        .size:           4
        .value_kind:     by_value
      - .offset:         68
        .size:           1
        .value_kind:     by_value
    .group_segment_fixed_size: 0
    .kernarg_segment_align: 8
    .kernarg_segment_size: 72
    .language:       OpenCL C
    .language_version:
      - 2
      - 0
    .max_flat_workgroup_size: 128
    .name:           _ZN9rocsparseL19gebsrmvn_2xn_kernelILj128ELj11ELj8E21rocsparse_complex_numIfEEEvi20rocsparse_direction_NS_24const_host_device_scalarIT2_EEPKiS8_PKS5_SA_S6_PS5_21rocsparse_index_base_b
    .private_segment_fixed_size: 0
    .sgpr_count:     22
    .sgpr_spill_count: 0
    .symbol:         _ZN9rocsparseL19gebsrmvn_2xn_kernelILj128ELj11ELj8E21rocsparse_complex_numIfEEEvi20rocsparse_direction_NS_24const_host_device_scalarIT2_EEPKiS8_PKS5_SA_S6_PS5_21rocsparse_index_base_b.kd
    .uniform_work_group_size: 1
    .uses_dynamic_stack: false
    .vgpr_count:     74
    .vgpr_spill_count: 0
    .wavefront_size: 64
  - .agpr_count:     0
    .args:
      - .offset:         0
        .size:           4
        .value_kind:     by_value
      - .offset:         4
        .size:           4
        .value_kind:     by_value
      - .offset:         8
        .size:           8
        .value_kind:     by_value
      - .actual_access:  read_only
        .address_space:  global
        .offset:         16
        .size:           8
        .value_kind:     global_buffer
      - .actual_access:  read_only
        .address_space:  global
        .offset:         24
        .size:           8
        .value_kind:     global_buffer
      - .actual_access:  read_only
        .address_space:  global
        .offset:         32
        .size:           8
        .value_kind:     global_buffer
      - .actual_access:  read_only
        .address_space:  global
        .offset:         40
        .size:           8
        .value_kind:     global_buffer
      - .offset:         48
        .size:           8
        .value_kind:     by_value
      - .address_space:  global
        .offset:         56
        .size:           8
        .value_kind:     global_buffer
      - .offset:         64
        .size:           4
        .value_kind:     by_value
      - .offset:         68
        .size:           1
        .value_kind:     by_value
    .group_segment_fixed_size: 0
    .kernarg_segment_align: 8
    .kernarg_segment_size: 72
    .language:       OpenCL C
    .language_version:
      - 2
      - 0
    .max_flat_workgroup_size: 128
    .name:           _ZN9rocsparseL19gebsrmvn_2xn_kernelILj128ELj11ELj16E21rocsparse_complex_numIfEEEvi20rocsparse_direction_NS_24const_host_device_scalarIT2_EEPKiS8_PKS5_SA_S6_PS5_21rocsparse_index_base_b
    .private_segment_fixed_size: 0
    .sgpr_count:     22
    .sgpr_spill_count: 0
    .symbol:         _ZN9rocsparseL19gebsrmvn_2xn_kernelILj128ELj11ELj16E21rocsparse_complex_numIfEEEvi20rocsparse_direction_NS_24const_host_device_scalarIT2_EEPKiS8_PKS5_SA_S6_PS5_21rocsparse_index_base_b.kd
    .uniform_work_group_size: 1
    .uses_dynamic_stack: false
    .vgpr_count:     74
    .vgpr_spill_count: 0
    .wavefront_size: 64
  - .agpr_count:     0
    .args:
      - .offset:         0
        .size:           4
        .value_kind:     by_value
      - .offset:         4
        .size:           4
        .value_kind:     by_value
      - .offset:         8
        .size:           8
        .value_kind:     by_value
      - .actual_access:  read_only
        .address_space:  global
        .offset:         16
        .size:           8
        .value_kind:     global_buffer
      - .actual_access:  read_only
        .address_space:  global
        .offset:         24
        .size:           8
        .value_kind:     global_buffer
      - .actual_access:  read_only
        .address_space:  global
        .offset:         32
        .size:           8
        .value_kind:     global_buffer
      - .actual_access:  read_only
        .address_space:  global
        .offset:         40
        .size:           8
        .value_kind:     global_buffer
      - .offset:         48
        .size:           8
        .value_kind:     by_value
      - .address_space:  global
        .offset:         56
        .size:           8
        .value_kind:     global_buffer
      - .offset:         64
        .size:           4
        .value_kind:     by_value
      - .offset:         68
        .size:           1
        .value_kind:     by_value
    .group_segment_fixed_size: 0
    .kernarg_segment_align: 8
    .kernarg_segment_size: 72
    .language:       OpenCL C
    .language_version:
      - 2
      - 0
    .max_flat_workgroup_size: 128
    .name:           _ZN9rocsparseL19gebsrmvn_2xn_kernelILj128ELj11ELj32E21rocsparse_complex_numIfEEEvi20rocsparse_direction_NS_24const_host_device_scalarIT2_EEPKiS8_PKS5_SA_S6_PS5_21rocsparse_index_base_b
    .private_segment_fixed_size: 0
    .sgpr_count:     22
    .sgpr_spill_count: 0
    .symbol:         _ZN9rocsparseL19gebsrmvn_2xn_kernelILj128ELj11ELj32E21rocsparse_complex_numIfEEEvi20rocsparse_direction_NS_24const_host_device_scalarIT2_EEPKiS8_PKS5_SA_S6_PS5_21rocsparse_index_base_b.kd
    .uniform_work_group_size: 1
    .uses_dynamic_stack: false
    .vgpr_count:     74
    .vgpr_spill_count: 0
    .wavefront_size: 64
  - .agpr_count:     0
    .args:
      - .offset:         0
        .size:           4
        .value_kind:     by_value
      - .offset:         4
        .size:           4
        .value_kind:     by_value
      - .offset:         8
        .size:           8
        .value_kind:     by_value
      - .actual_access:  read_only
        .address_space:  global
        .offset:         16
        .size:           8
        .value_kind:     global_buffer
      - .actual_access:  read_only
        .address_space:  global
        .offset:         24
        .size:           8
        .value_kind:     global_buffer
      - .actual_access:  read_only
        .address_space:  global
        .offset:         32
        .size:           8
        .value_kind:     global_buffer
      - .actual_access:  read_only
        .address_space:  global
        .offset:         40
        .size:           8
        .value_kind:     global_buffer
      - .offset:         48
        .size:           8
        .value_kind:     by_value
      - .address_space:  global
        .offset:         56
        .size:           8
        .value_kind:     global_buffer
      - .offset:         64
        .size:           4
        .value_kind:     by_value
      - .offset:         68
        .size:           1
        .value_kind:     by_value
    .group_segment_fixed_size: 0
    .kernarg_segment_align: 8
    .kernarg_segment_size: 72
    .language:       OpenCL C
    .language_version:
      - 2
      - 0
    .max_flat_workgroup_size: 128
    .name:           _ZN9rocsparseL19gebsrmvn_2xn_kernelILj128ELj11ELj64E21rocsparse_complex_numIfEEEvi20rocsparse_direction_NS_24const_host_device_scalarIT2_EEPKiS8_PKS5_SA_S6_PS5_21rocsparse_index_base_b
    .private_segment_fixed_size: 0
    .sgpr_count:     22
    .sgpr_spill_count: 0
    .symbol:         _ZN9rocsparseL19gebsrmvn_2xn_kernelILj128ELj11ELj64E21rocsparse_complex_numIfEEEvi20rocsparse_direction_NS_24const_host_device_scalarIT2_EEPKiS8_PKS5_SA_S6_PS5_21rocsparse_index_base_b.kd
    .uniform_work_group_size: 1
    .uses_dynamic_stack: false
    .vgpr_count:     74
    .vgpr_spill_count: 0
    .wavefront_size: 64
  - .agpr_count:     0
    .args:
      - .offset:         0
        .size:           4
        .value_kind:     by_value
      - .offset:         4
        .size:           4
        .value_kind:     by_value
      - .offset:         8
        .size:           8
        .value_kind:     by_value
      - .actual_access:  read_only
        .address_space:  global
        .offset:         16
        .size:           8
        .value_kind:     global_buffer
      - .actual_access:  read_only
        .address_space:  global
        .offset:         24
        .size:           8
        .value_kind:     global_buffer
      - .actual_access:  read_only
        .address_space:  global
        .offset:         32
        .size:           8
        .value_kind:     global_buffer
      - .actual_access:  read_only
        .address_space:  global
        .offset:         40
        .size:           8
        .value_kind:     global_buffer
      - .offset:         48
        .size:           8
        .value_kind:     by_value
      - .address_space:  global
        .offset:         56
        .size:           8
        .value_kind:     global_buffer
      - .offset:         64
        .size:           4
        .value_kind:     by_value
      - .offset:         68
        .size:           1
        .value_kind:     by_value
    .group_segment_fixed_size: 0
    .kernarg_segment_align: 8
    .kernarg_segment_size: 72
    .language:       OpenCL C
    .language_version:
      - 2
      - 0
    .max_flat_workgroup_size: 128
    .name:           _ZN9rocsparseL19gebsrmvn_2xn_kernelILj128ELj12ELj4E21rocsparse_complex_numIfEEEvi20rocsparse_direction_NS_24const_host_device_scalarIT2_EEPKiS8_PKS5_SA_S6_PS5_21rocsparse_index_base_b
    .private_segment_fixed_size: 0
    .sgpr_count:     22
    .sgpr_spill_count: 0
    .symbol:         _ZN9rocsparseL19gebsrmvn_2xn_kernelILj128ELj12ELj4E21rocsparse_complex_numIfEEEvi20rocsparse_direction_NS_24const_host_device_scalarIT2_EEPKiS8_PKS5_SA_S6_PS5_21rocsparse_index_base_b.kd
    .uniform_work_group_size: 1
    .uses_dynamic_stack: false
    .vgpr_count:     86
    .vgpr_spill_count: 0
    .wavefront_size: 64
  - .agpr_count:     0
    .args:
      - .offset:         0
        .size:           4
        .value_kind:     by_value
      - .offset:         4
        .size:           4
        .value_kind:     by_value
      - .offset:         8
        .size:           8
        .value_kind:     by_value
      - .actual_access:  read_only
        .address_space:  global
        .offset:         16
        .size:           8
        .value_kind:     global_buffer
      - .actual_access:  read_only
        .address_space:  global
        .offset:         24
        .size:           8
        .value_kind:     global_buffer
      - .actual_access:  read_only
        .address_space:  global
        .offset:         32
        .size:           8
        .value_kind:     global_buffer
      - .actual_access:  read_only
        .address_space:  global
        .offset:         40
        .size:           8
        .value_kind:     global_buffer
      - .offset:         48
        .size:           8
        .value_kind:     by_value
      - .address_space:  global
        .offset:         56
        .size:           8
        .value_kind:     global_buffer
      - .offset:         64
        .size:           4
        .value_kind:     by_value
      - .offset:         68
        .size:           1
        .value_kind:     by_value
    .group_segment_fixed_size: 0
    .kernarg_segment_align: 8
    .kernarg_segment_size: 72
    .language:       OpenCL C
    .language_version:
      - 2
      - 0
    .max_flat_workgroup_size: 128
    .name:           _ZN9rocsparseL19gebsrmvn_2xn_kernelILj128ELj12ELj8E21rocsparse_complex_numIfEEEvi20rocsparse_direction_NS_24const_host_device_scalarIT2_EEPKiS8_PKS5_SA_S6_PS5_21rocsparse_index_base_b
    .private_segment_fixed_size: 0
    .sgpr_count:     22
    .sgpr_spill_count: 0
    .symbol:         _ZN9rocsparseL19gebsrmvn_2xn_kernelILj128ELj12ELj8E21rocsparse_complex_numIfEEEvi20rocsparse_direction_NS_24const_host_device_scalarIT2_EEPKiS8_PKS5_SA_S6_PS5_21rocsparse_index_base_b.kd
    .uniform_work_group_size: 1
    .uses_dynamic_stack: false
    .vgpr_count:     86
    .vgpr_spill_count: 0
    .wavefront_size: 64
  - .agpr_count:     0
    .args:
      - .offset:         0
        .size:           4
        .value_kind:     by_value
      - .offset:         4
        .size:           4
        .value_kind:     by_value
      - .offset:         8
        .size:           8
        .value_kind:     by_value
      - .actual_access:  read_only
        .address_space:  global
        .offset:         16
        .size:           8
        .value_kind:     global_buffer
      - .actual_access:  read_only
        .address_space:  global
        .offset:         24
        .size:           8
        .value_kind:     global_buffer
      - .actual_access:  read_only
        .address_space:  global
        .offset:         32
        .size:           8
        .value_kind:     global_buffer
      - .actual_access:  read_only
        .address_space:  global
        .offset:         40
        .size:           8
        .value_kind:     global_buffer
      - .offset:         48
        .size:           8
        .value_kind:     by_value
      - .address_space:  global
        .offset:         56
        .size:           8
        .value_kind:     global_buffer
      - .offset:         64
        .size:           4
        .value_kind:     by_value
      - .offset:         68
        .size:           1
        .value_kind:     by_value
    .group_segment_fixed_size: 0
    .kernarg_segment_align: 8
    .kernarg_segment_size: 72
    .language:       OpenCL C
    .language_version:
      - 2
      - 0
    .max_flat_workgroup_size: 128
    .name:           _ZN9rocsparseL19gebsrmvn_2xn_kernelILj128ELj12ELj16E21rocsparse_complex_numIfEEEvi20rocsparse_direction_NS_24const_host_device_scalarIT2_EEPKiS8_PKS5_SA_S6_PS5_21rocsparse_index_base_b
    .private_segment_fixed_size: 0
    .sgpr_count:     22
    .sgpr_spill_count: 0
    .symbol:         _ZN9rocsparseL19gebsrmvn_2xn_kernelILj128ELj12ELj16E21rocsparse_complex_numIfEEEvi20rocsparse_direction_NS_24const_host_device_scalarIT2_EEPKiS8_PKS5_SA_S6_PS5_21rocsparse_index_base_b.kd
    .uniform_work_group_size: 1
    .uses_dynamic_stack: false
    .vgpr_count:     86
    .vgpr_spill_count: 0
    .wavefront_size: 64
  - .agpr_count:     0
    .args:
      - .offset:         0
        .size:           4
        .value_kind:     by_value
      - .offset:         4
        .size:           4
        .value_kind:     by_value
      - .offset:         8
        .size:           8
        .value_kind:     by_value
      - .actual_access:  read_only
        .address_space:  global
        .offset:         16
        .size:           8
        .value_kind:     global_buffer
      - .actual_access:  read_only
        .address_space:  global
        .offset:         24
        .size:           8
        .value_kind:     global_buffer
      - .actual_access:  read_only
        .address_space:  global
        .offset:         32
        .size:           8
        .value_kind:     global_buffer
      - .actual_access:  read_only
        .address_space:  global
        .offset:         40
        .size:           8
        .value_kind:     global_buffer
      - .offset:         48
        .size:           8
        .value_kind:     by_value
      - .address_space:  global
        .offset:         56
        .size:           8
        .value_kind:     global_buffer
      - .offset:         64
        .size:           4
        .value_kind:     by_value
      - .offset:         68
        .size:           1
        .value_kind:     by_value
    .group_segment_fixed_size: 0
    .kernarg_segment_align: 8
    .kernarg_segment_size: 72
    .language:       OpenCL C
    .language_version:
      - 2
      - 0
    .max_flat_workgroup_size: 128
    .name:           _ZN9rocsparseL19gebsrmvn_2xn_kernelILj128ELj12ELj32E21rocsparse_complex_numIfEEEvi20rocsparse_direction_NS_24const_host_device_scalarIT2_EEPKiS8_PKS5_SA_S6_PS5_21rocsparse_index_base_b
    .private_segment_fixed_size: 0
    .sgpr_count:     22
    .sgpr_spill_count: 0
    .symbol:         _ZN9rocsparseL19gebsrmvn_2xn_kernelILj128ELj12ELj32E21rocsparse_complex_numIfEEEvi20rocsparse_direction_NS_24const_host_device_scalarIT2_EEPKiS8_PKS5_SA_S6_PS5_21rocsparse_index_base_b.kd
    .uniform_work_group_size: 1
    .uses_dynamic_stack: false
    .vgpr_count:     86
    .vgpr_spill_count: 0
    .wavefront_size: 64
  - .agpr_count:     0
    .args:
      - .offset:         0
        .size:           4
        .value_kind:     by_value
      - .offset:         4
        .size:           4
        .value_kind:     by_value
      - .offset:         8
        .size:           8
        .value_kind:     by_value
      - .actual_access:  read_only
        .address_space:  global
        .offset:         16
        .size:           8
        .value_kind:     global_buffer
      - .actual_access:  read_only
        .address_space:  global
        .offset:         24
        .size:           8
        .value_kind:     global_buffer
      - .actual_access:  read_only
        .address_space:  global
        .offset:         32
        .size:           8
        .value_kind:     global_buffer
      - .actual_access:  read_only
        .address_space:  global
        .offset:         40
        .size:           8
        .value_kind:     global_buffer
      - .offset:         48
        .size:           8
        .value_kind:     by_value
      - .address_space:  global
        .offset:         56
        .size:           8
        .value_kind:     global_buffer
      - .offset:         64
        .size:           4
        .value_kind:     by_value
      - .offset:         68
        .size:           1
        .value_kind:     by_value
    .group_segment_fixed_size: 0
    .kernarg_segment_align: 8
    .kernarg_segment_size: 72
    .language:       OpenCL C
    .language_version:
      - 2
      - 0
    .max_flat_workgroup_size: 128
    .name:           _ZN9rocsparseL19gebsrmvn_2xn_kernelILj128ELj12ELj64E21rocsparse_complex_numIfEEEvi20rocsparse_direction_NS_24const_host_device_scalarIT2_EEPKiS8_PKS5_SA_S6_PS5_21rocsparse_index_base_b
    .private_segment_fixed_size: 0
    .sgpr_count:     22
    .sgpr_spill_count: 0
    .symbol:         _ZN9rocsparseL19gebsrmvn_2xn_kernelILj128ELj12ELj64E21rocsparse_complex_numIfEEEvi20rocsparse_direction_NS_24const_host_device_scalarIT2_EEPKiS8_PKS5_SA_S6_PS5_21rocsparse_index_base_b.kd
    .uniform_work_group_size: 1
    .uses_dynamic_stack: false
    .vgpr_count:     86
    .vgpr_spill_count: 0
    .wavefront_size: 64
  - .agpr_count:     0
    .args:
      - .offset:         0
        .size:           4
        .value_kind:     by_value
      - .offset:         4
        .size:           4
        .value_kind:     by_value
      - .offset:         8
        .size:           8
        .value_kind:     by_value
      - .actual_access:  read_only
        .address_space:  global
        .offset:         16
        .size:           8
        .value_kind:     global_buffer
      - .actual_access:  read_only
        .address_space:  global
        .offset:         24
        .size:           8
        .value_kind:     global_buffer
      - .actual_access:  read_only
        .address_space:  global
        .offset:         32
        .size:           8
        .value_kind:     global_buffer
      - .actual_access:  read_only
        .address_space:  global
        .offset:         40
        .size:           8
        .value_kind:     global_buffer
      - .offset:         48
        .size:           8
        .value_kind:     by_value
      - .address_space:  global
        .offset:         56
        .size:           8
        .value_kind:     global_buffer
      - .offset:         64
        .size:           4
        .value_kind:     by_value
      - .offset:         68
        .size:           1
        .value_kind:     by_value
    .group_segment_fixed_size: 0
    .kernarg_segment_align: 8
    .kernarg_segment_size: 72
    .language:       OpenCL C
    .language_version:
      - 2
      - 0
    .max_flat_workgroup_size: 128
    .name:           _ZN9rocsparseL19gebsrmvn_2xn_kernelILj128ELj13ELj4E21rocsparse_complex_numIfEEEvi20rocsparse_direction_NS_24const_host_device_scalarIT2_EEPKiS8_PKS5_SA_S6_PS5_21rocsparse_index_base_b
    .private_segment_fixed_size: 0
    .sgpr_count:     22
    .sgpr_spill_count: 0
    .symbol:         _ZN9rocsparseL19gebsrmvn_2xn_kernelILj128ELj13ELj4E21rocsparse_complex_numIfEEEvi20rocsparse_direction_NS_24const_host_device_scalarIT2_EEPKiS8_PKS5_SA_S6_PS5_21rocsparse_index_base_b.kd
    .uniform_work_group_size: 1
    .uses_dynamic_stack: false
    .vgpr_count:     74
    .vgpr_spill_count: 0
    .wavefront_size: 64
  - .agpr_count:     0
    .args:
      - .offset:         0
        .size:           4
        .value_kind:     by_value
      - .offset:         4
        .size:           4
        .value_kind:     by_value
      - .offset:         8
        .size:           8
        .value_kind:     by_value
      - .actual_access:  read_only
        .address_space:  global
        .offset:         16
        .size:           8
        .value_kind:     global_buffer
      - .actual_access:  read_only
        .address_space:  global
        .offset:         24
        .size:           8
        .value_kind:     global_buffer
      - .actual_access:  read_only
        .address_space:  global
        .offset:         32
        .size:           8
        .value_kind:     global_buffer
      - .actual_access:  read_only
        .address_space:  global
        .offset:         40
        .size:           8
        .value_kind:     global_buffer
      - .offset:         48
        .size:           8
        .value_kind:     by_value
      - .address_space:  global
        .offset:         56
        .size:           8
        .value_kind:     global_buffer
      - .offset:         64
        .size:           4
        .value_kind:     by_value
      - .offset:         68
        .size:           1
        .value_kind:     by_value
    .group_segment_fixed_size: 0
    .kernarg_segment_align: 8
    .kernarg_segment_size: 72
    .language:       OpenCL C
    .language_version:
      - 2
      - 0
    .max_flat_workgroup_size: 128
    .name:           _ZN9rocsparseL19gebsrmvn_2xn_kernelILj128ELj13ELj8E21rocsparse_complex_numIfEEEvi20rocsparse_direction_NS_24const_host_device_scalarIT2_EEPKiS8_PKS5_SA_S6_PS5_21rocsparse_index_base_b
    .private_segment_fixed_size: 0
    .sgpr_count:     22
    .sgpr_spill_count: 0
    .symbol:         _ZN9rocsparseL19gebsrmvn_2xn_kernelILj128ELj13ELj8E21rocsparse_complex_numIfEEEvi20rocsparse_direction_NS_24const_host_device_scalarIT2_EEPKiS8_PKS5_SA_S6_PS5_21rocsparse_index_base_b.kd
    .uniform_work_group_size: 1
    .uses_dynamic_stack: false
    .vgpr_count:     74
    .vgpr_spill_count: 0
    .wavefront_size: 64
  - .agpr_count:     0
    .args:
      - .offset:         0
        .size:           4
        .value_kind:     by_value
      - .offset:         4
        .size:           4
        .value_kind:     by_value
      - .offset:         8
        .size:           8
        .value_kind:     by_value
      - .actual_access:  read_only
        .address_space:  global
        .offset:         16
        .size:           8
        .value_kind:     global_buffer
      - .actual_access:  read_only
        .address_space:  global
        .offset:         24
        .size:           8
        .value_kind:     global_buffer
      - .actual_access:  read_only
        .address_space:  global
        .offset:         32
        .size:           8
        .value_kind:     global_buffer
      - .actual_access:  read_only
        .address_space:  global
        .offset:         40
        .size:           8
        .value_kind:     global_buffer
      - .offset:         48
        .size:           8
        .value_kind:     by_value
      - .address_space:  global
        .offset:         56
        .size:           8
        .value_kind:     global_buffer
      - .offset:         64
        .size:           4
        .value_kind:     by_value
      - .offset:         68
        .size:           1
        .value_kind:     by_value
    .group_segment_fixed_size: 0
    .kernarg_segment_align: 8
    .kernarg_segment_size: 72
    .language:       OpenCL C
    .language_version:
      - 2
      - 0
    .max_flat_workgroup_size: 128
    .name:           _ZN9rocsparseL19gebsrmvn_2xn_kernelILj128ELj13ELj16E21rocsparse_complex_numIfEEEvi20rocsparse_direction_NS_24const_host_device_scalarIT2_EEPKiS8_PKS5_SA_S6_PS5_21rocsparse_index_base_b
    .private_segment_fixed_size: 0
    .sgpr_count:     22
    .sgpr_spill_count: 0
    .symbol:         _ZN9rocsparseL19gebsrmvn_2xn_kernelILj128ELj13ELj16E21rocsparse_complex_numIfEEEvi20rocsparse_direction_NS_24const_host_device_scalarIT2_EEPKiS8_PKS5_SA_S6_PS5_21rocsparse_index_base_b.kd
    .uniform_work_group_size: 1
    .uses_dynamic_stack: false
    .vgpr_count:     74
    .vgpr_spill_count: 0
    .wavefront_size: 64
  - .agpr_count:     0
    .args:
      - .offset:         0
        .size:           4
        .value_kind:     by_value
      - .offset:         4
        .size:           4
        .value_kind:     by_value
      - .offset:         8
        .size:           8
        .value_kind:     by_value
      - .actual_access:  read_only
        .address_space:  global
        .offset:         16
        .size:           8
        .value_kind:     global_buffer
      - .actual_access:  read_only
        .address_space:  global
        .offset:         24
        .size:           8
        .value_kind:     global_buffer
      - .actual_access:  read_only
        .address_space:  global
        .offset:         32
        .size:           8
        .value_kind:     global_buffer
      - .actual_access:  read_only
        .address_space:  global
        .offset:         40
        .size:           8
        .value_kind:     global_buffer
      - .offset:         48
        .size:           8
        .value_kind:     by_value
      - .address_space:  global
        .offset:         56
        .size:           8
        .value_kind:     global_buffer
      - .offset:         64
        .size:           4
        .value_kind:     by_value
      - .offset:         68
        .size:           1
        .value_kind:     by_value
    .group_segment_fixed_size: 0
    .kernarg_segment_align: 8
    .kernarg_segment_size: 72
    .language:       OpenCL C
    .language_version:
      - 2
      - 0
    .max_flat_workgroup_size: 128
    .name:           _ZN9rocsparseL19gebsrmvn_2xn_kernelILj128ELj13ELj32E21rocsparse_complex_numIfEEEvi20rocsparse_direction_NS_24const_host_device_scalarIT2_EEPKiS8_PKS5_SA_S6_PS5_21rocsparse_index_base_b
    .private_segment_fixed_size: 0
    .sgpr_count:     22
    .sgpr_spill_count: 0
    .symbol:         _ZN9rocsparseL19gebsrmvn_2xn_kernelILj128ELj13ELj32E21rocsparse_complex_numIfEEEvi20rocsparse_direction_NS_24const_host_device_scalarIT2_EEPKiS8_PKS5_SA_S6_PS5_21rocsparse_index_base_b.kd
    .uniform_work_group_size: 1
    .uses_dynamic_stack: false
    .vgpr_count:     74
    .vgpr_spill_count: 0
    .wavefront_size: 64
  - .agpr_count:     0
    .args:
      - .offset:         0
        .size:           4
        .value_kind:     by_value
      - .offset:         4
        .size:           4
        .value_kind:     by_value
      - .offset:         8
        .size:           8
        .value_kind:     by_value
      - .actual_access:  read_only
        .address_space:  global
        .offset:         16
        .size:           8
        .value_kind:     global_buffer
      - .actual_access:  read_only
        .address_space:  global
        .offset:         24
        .size:           8
        .value_kind:     global_buffer
      - .actual_access:  read_only
        .address_space:  global
        .offset:         32
        .size:           8
        .value_kind:     global_buffer
      - .actual_access:  read_only
        .address_space:  global
        .offset:         40
        .size:           8
        .value_kind:     global_buffer
      - .offset:         48
        .size:           8
        .value_kind:     by_value
      - .address_space:  global
        .offset:         56
        .size:           8
        .value_kind:     global_buffer
      - .offset:         64
        .size:           4
        .value_kind:     by_value
      - .offset:         68
        .size:           1
        .value_kind:     by_value
    .group_segment_fixed_size: 0
    .kernarg_segment_align: 8
    .kernarg_segment_size: 72
    .language:       OpenCL C
    .language_version:
      - 2
      - 0
    .max_flat_workgroup_size: 128
    .name:           _ZN9rocsparseL19gebsrmvn_2xn_kernelILj128ELj13ELj64E21rocsparse_complex_numIfEEEvi20rocsparse_direction_NS_24const_host_device_scalarIT2_EEPKiS8_PKS5_SA_S6_PS5_21rocsparse_index_base_b
    .private_segment_fixed_size: 0
    .sgpr_count:     22
    .sgpr_spill_count: 0
    .symbol:         _ZN9rocsparseL19gebsrmvn_2xn_kernelILj128ELj13ELj64E21rocsparse_complex_numIfEEEvi20rocsparse_direction_NS_24const_host_device_scalarIT2_EEPKiS8_PKS5_SA_S6_PS5_21rocsparse_index_base_b.kd
    .uniform_work_group_size: 1
    .uses_dynamic_stack: false
    .vgpr_count:     74
    .vgpr_spill_count: 0
    .wavefront_size: 64
  - .agpr_count:     0
    .args:
      - .offset:         0
        .size:           4
        .value_kind:     by_value
      - .offset:         4
        .size:           4
        .value_kind:     by_value
      - .offset:         8
        .size:           8
        .value_kind:     by_value
      - .actual_access:  read_only
        .address_space:  global
        .offset:         16
        .size:           8
        .value_kind:     global_buffer
      - .actual_access:  read_only
        .address_space:  global
        .offset:         24
        .size:           8
        .value_kind:     global_buffer
      - .actual_access:  read_only
        .address_space:  global
        .offset:         32
        .size:           8
        .value_kind:     global_buffer
      - .actual_access:  read_only
        .address_space:  global
        .offset:         40
        .size:           8
        .value_kind:     global_buffer
      - .offset:         48
        .size:           8
        .value_kind:     by_value
      - .address_space:  global
        .offset:         56
        .size:           8
        .value_kind:     global_buffer
      - .offset:         64
        .size:           4
        .value_kind:     by_value
      - .offset:         68
        .size:           1
        .value_kind:     by_value
    .group_segment_fixed_size: 0
    .kernarg_segment_align: 8
    .kernarg_segment_size: 72
    .language:       OpenCL C
    .language_version:
      - 2
      - 0
    .max_flat_workgroup_size: 128
    .name:           _ZN9rocsparseL19gebsrmvn_2xn_kernelILj128ELj14ELj4E21rocsparse_complex_numIfEEEvi20rocsparse_direction_NS_24const_host_device_scalarIT2_EEPKiS8_PKS5_SA_S6_PS5_21rocsparse_index_base_b
    .private_segment_fixed_size: 0
    .sgpr_count:     22
    .sgpr_spill_count: 0
    .symbol:         _ZN9rocsparseL19gebsrmvn_2xn_kernelILj128ELj14ELj4E21rocsparse_complex_numIfEEEvi20rocsparse_direction_NS_24const_host_device_scalarIT2_EEPKiS8_PKS5_SA_S6_PS5_21rocsparse_index_base_b.kd
    .uniform_work_group_size: 1
    .uses_dynamic_stack: false
    .vgpr_count:     92
    .vgpr_spill_count: 0
    .wavefront_size: 64
  - .agpr_count:     0
    .args:
      - .offset:         0
        .size:           4
        .value_kind:     by_value
      - .offset:         4
        .size:           4
        .value_kind:     by_value
      - .offset:         8
        .size:           8
        .value_kind:     by_value
      - .actual_access:  read_only
        .address_space:  global
        .offset:         16
        .size:           8
        .value_kind:     global_buffer
      - .actual_access:  read_only
        .address_space:  global
        .offset:         24
        .size:           8
        .value_kind:     global_buffer
      - .actual_access:  read_only
        .address_space:  global
        .offset:         32
        .size:           8
        .value_kind:     global_buffer
      - .actual_access:  read_only
        .address_space:  global
        .offset:         40
        .size:           8
        .value_kind:     global_buffer
      - .offset:         48
        .size:           8
        .value_kind:     by_value
      - .address_space:  global
        .offset:         56
        .size:           8
        .value_kind:     global_buffer
      - .offset:         64
        .size:           4
        .value_kind:     by_value
      - .offset:         68
        .size:           1
        .value_kind:     by_value
    .group_segment_fixed_size: 0
    .kernarg_segment_align: 8
    .kernarg_segment_size: 72
    .language:       OpenCL C
    .language_version:
      - 2
      - 0
    .max_flat_workgroup_size: 128
    .name:           _ZN9rocsparseL19gebsrmvn_2xn_kernelILj128ELj14ELj8E21rocsparse_complex_numIfEEEvi20rocsparse_direction_NS_24const_host_device_scalarIT2_EEPKiS8_PKS5_SA_S6_PS5_21rocsparse_index_base_b
    .private_segment_fixed_size: 0
    .sgpr_count:     22
    .sgpr_spill_count: 0
    .symbol:         _ZN9rocsparseL19gebsrmvn_2xn_kernelILj128ELj14ELj8E21rocsparse_complex_numIfEEEvi20rocsparse_direction_NS_24const_host_device_scalarIT2_EEPKiS8_PKS5_SA_S6_PS5_21rocsparse_index_base_b.kd
    .uniform_work_group_size: 1
    .uses_dynamic_stack: false
    .vgpr_count:     92
    .vgpr_spill_count: 0
    .wavefront_size: 64
  - .agpr_count:     0
    .args:
      - .offset:         0
        .size:           4
        .value_kind:     by_value
      - .offset:         4
        .size:           4
        .value_kind:     by_value
      - .offset:         8
        .size:           8
        .value_kind:     by_value
      - .actual_access:  read_only
        .address_space:  global
        .offset:         16
        .size:           8
        .value_kind:     global_buffer
      - .actual_access:  read_only
        .address_space:  global
        .offset:         24
        .size:           8
        .value_kind:     global_buffer
      - .actual_access:  read_only
        .address_space:  global
        .offset:         32
        .size:           8
        .value_kind:     global_buffer
      - .actual_access:  read_only
        .address_space:  global
        .offset:         40
        .size:           8
        .value_kind:     global_buffer
      - .offset:         48
        .size:           8
        .value_kind:     by_value
      - .address_space:  global
        .offset:         56
        .size:           8
        .value_kind:     global_buffer
      - .offset:         64
        .size:           4
        .value_kind:     by_value
      - .offset:         68
        .size:           1
        .value_kind:     by_value
    .group_segment_fixed_size: 0
    .kernarg_segment_align: 8
    .kernarg_segment_size: 72
    .language:       OpenCL C
    .language_version:
      - 2
      - 0
    .max_flat_workgroup_size: 128
    .name:           _ZN9rocsparseL19gebsrmvn_2xn_kernelILj128ELj14ELj16E21rocsparse_complex_numIfEEEvi20rocsparse_direction_NS_24const_host_device_scalarIT2_EEPKiS8_PKS5_SA_S6_PS5_21rocsparse_index_base_b
    .private_segment_fixed_size: 0
    .sgpr_count:     22
    .sgpr_spill_count: 0
    .symbol:         _ZN9rocsparseL19gebsrmvn_2xn_kernelILj128ELj14ELj16E21rocsparse_complex_numIfEEEvi20rocsparse_direction_NS_24const_host_device_scalarIT2_EEPKiS8_PKS5_SA_S6_PS5_21rocsparse_index_base_b.kd
    .uniform_work_group_size: 1
    .uses_dynamic_stack: false
    .vgpr_count:     92
    .vgpr_spill_count: 0
    .wavefront_size: 64
  - .agpr_count:     0
    .args:
      - .offset:         0
        .size:           4
        .value_kind:     by_value
      - .offset:         4
        .size:           4
        .value_kind:     by_value
      - .offset:         8
        .size:           8
        .value_kind:     by_value
      - .actual_access:  read_only
        .address_space:  global
        .offset:         16
        .size:           8
        .value_kind:     global_buffer
      - .actual_access:  read_only
        .address_space:  global
        .offset:         24
        .size:           8
        .value_kind:     global_buffer
      - .actual_access:  read_only
        .address_space:  global
        .offset:         32
        .size:           8
        .value_kind:     global_buffer
      - .actual_access:  read_only
        .address_space:  global
        .offset:         40
        .size:           8
        .value_kind:     global_buffer
      - .offset:         48
        .size:           8
        .value_kind:     by_value
      - .address_space:  global
        .offset:         56
        .size:           8
        .value_kind:     global_buffer
      - .offset:         64
        .size:           4
        .value_kind:     by_value
      - .offset:         68
        .size:           1
        .value_kind:     by_value
    .group_segment_fixed_size: 0
    .kernarg_segment_align: 8
    .kernarg_segment_size: 72
    .language:       OpenCL C
    .language_version:
      - 2
      - 0
    .max_flat_workgroup_size: 128
    .name:           _ZN9rocsparseL19gebsrmvn_2xn_kernelILj128ELj14ELj32E21rocsparse_complex_numIfEEEvi20rocsparse_direction_NS_24const_host_device_scalarIT2_EEPKiS8_PKS5_SA_S6_PS5_21rocsparse_index_base_b
    .private_segment_fixed_size: 0
    .sgpr_count:     22
    .sgpr_spill_count: 0
    .symbol:         _ZN9rocsparseL19gebsrmvn_2xn_kernelILj128ELj14ELj32E21rocsparse_complex_numIfEEEvi20rocsparse_direction_NS_24const_host_device_scalarIT2_EEPKiS8_PKS5_SA_S6_PS5_21rocsparse_index_base_b.kd
    .uniform_work_group_size: 1
    .uses_dynamic_stack: false
    .vgpr_count:     92
    .vgpr_spill_count: 0
    .wavefront_size: 64
  - .agpr_count:     0
    .args:
      - .offset:         0
        .size:           4
        .value_kind:     by_value
      - .offset:         4
        .size:           4
        .value_kind:     by_value
      - .offset:         8
        .size:           8
        .value_kind:     by_value
      - .actual_access:  read_only
        .address_space:  global
        .offset:         16
        .size:           8
        .value_kind:     global_buffer
      - .actual_access:  read_only
        .address_space:  global
        .offset:         24
        .size:           8
        .value_kind:     global_buffer
      - .actual_access:  read_only
        .address_space:  global
        .offset:         32
        .size:           8
        .value_kind:     global_buffer
      - .actual_access:  read_only
        .address_space:  global
        .offset:         40
        .size:           8
        .value_kind:     global_buffer
      - .offset:         48
        .size:           8
        .value_kind:     by_value
      - .address_space:  global
        .offset:         56
        .size:           8
        .value_kind:     global_buffer
      - .offset:         64
        .size:           4
        .value_kind:     by_value
      - .offset:         68
        .size:           1
        .value_kind:     by_value
    .group_segment_fixed_size: 0
    .kernarg_segment_align: 8
    .kernarg_segment_size: 72
    .language:       OpenCL C
    .language_version:
      - 2
      - 0
    .max_flat_workgroup_size: 128
    .name:           _ZN9rocsparseL19gebsrmvn_2xn_kernelILj128ELj14ELj64E21rocsparse_complex_numIfEEEvi20rocsparse_direction_NS_24const_host_device_scalarIT2_EEPKiS8_PKS5_SA_S6_PS5_21rocsparse_index_base_b
    .private_segment_fixed_size: 0
    .sgpr_count:     22
    .sgpr_spill_count: 0
    .symbol:         _ZN9rocsparseL19gebsrmvn_2xn_kernelILj128ELj14ELj64E21rocsparse_complex_numIfEEEvi20rocsparse_direction_NS_24const_host_device_scalarIT2_EEPKiS8_PKS5_SA_S6_PS5_21rocsparse_index_base_b.kd
    .uniform_work_group_size: 1
    .uses_dynamic_stack: false
    .vgpr_count:     92
    .vgpr_spill_count: 0
    .wavefront_size: 64
  - .agpr_count:     0
    .args:
      - .offset:         0
        .size:           4
        .value_kind:     by_value
      - .offset:         4
        .size:           4
        .value_kind:     by_value
      - .offset:         8
        .size:           8
        .value_kind:     by_value
      - .actual_access:  read_only
        .address_space:  global
        .offset:         16
        .size:           8
        .value_kind:     global_buffer
      - .actual_access:  read_only
        .address_space:  global
        .offset:         24
        .size:           8
        .value_kind:     global_buffer
      - .actual_access:  read_only
        .address_space:  global
        .offset:         32
        .size:           8
        .value_kind:     global_buffer
      - .actual_access:  read_only
        .address_space:  global
        .offset:         40
        .size:           8
        .value_kind:     global_buffer
      - .offset:         48
        .size:           8
        .value_kind:     by_value
      - .address_space:  global
        .offset:         56
        .size:           8
        .value_kind:     global_buffer
      - .offset:         64
        .size:           4
        .value_kind:     by_value
      - .offset:         68
        .size:           1
        .value_kind:     by_value
    .group_segment_fixed_size: 0
    .kernarg_segment_align: 8
    .kernarg_segment_size: 72
    .language:       OpenCL C
    .language_version:
      - 2
      - 0
    .max_flat_workgroup_size: 128
    .name:           _ZN9rocsparseL19gebsrmvn_2xn_kernelILj128ELj15ELj4E21rocsparse_complex_numIfEEEvi20rocsparse_direction_NS_24const_host_device_scalarIT2_EEPKiS8_PKS5_SA_S6_PS5_21rocsparse_index_base_b
    .private_segment_fixed_size: 0
    .sgpr_count:     24
    .sgpr_spill_count: 0
    .symbol:         _ZN9rocsparseL19gebsrmvn_2xn_kernelILj128ELj15ELj4E21rocsparse_complex_numIfEEEvi20rocsparse_direction_NS_24const_host_device_scalarIT2_EEPKiS8_PKS5_SA_S6_PS5_21rocsparse_index_base_b.kd
    .uniform_work_group_size: 1
    .uses_dynamic_stack: false
    .vgpr_count:     64
    .vgpr_spill_count: 0
    .wavefront_size: 64
  - .agpr_count:     0
    .args:
      - .offset:         0
        .size:           4
        .value_kind:     by_value
      - .offset:         4
        .size:           4
        .value_kind:     by_value
      - .offset:         8
        .size:           8
        .value_kind:     by_value
      - .actual_access:  read_only
        .address_space:  global
        .offset:         16
        .size:           8
        .value_kind:     global_buffer
      - .actual_access:  read_only
        .address_space:  global
        .offset:         24
        .size:           8
        .value_kind:     global_buffer
      - .actual_access:  read_only
        .address_space:  global
        .offset:         32
        .size:           8
        .value_kind:     global_buffer
      - .actual_access:  read_only
        .address_space:  global
        .offset:         40
        .size:           8
        .value_kind:     global_buffer
      - .offset:         48
        .size:           8
        .value_kind:     by_value
      - .address_space:  global
        .offset:         56
        .size:           8
        .value_kind:     global_buffer
      - .offset:         64
        .size:           4
        .value_kind:     by_value
      - .offset:         68
        .size:           1
        .value_kind:     by_value
    .group_segment_fixed_size: 0
    .kernarg_segment_align: 8
    .kernarg_segment_size: 72
    .language:       OpenCL C
    .language_version:
      - 2
      - 0
    .max_flat_workgroup_size: 128
    .name:           _ZN9rocsparseL19gebsrmvn_2xn_kernelILj128ELj15ELj8E21rocsparse_complex_numIfEEEvi20rocsparse_direction_NS_24const_host_device_scalarIT2_EEPKiS8_PKS5_SA_S6_PS5_21rocsparse_index_base_b
    .private_segment_fixed_size: 0
    .sgpr_count:     24
    .sgpr_spill_count: 0
    .symbol:         _ZN9rocsparseL19gebsrmvn_2xn_kernelILj128ELj15ELj8E21rocsparse_complex_numIfEEEvi20rocsparse_direction_NS_24const_host_device_scalarIT2_EEPKiS8_PKS5_SA_S6_PS5_21rocsparse_index_base_b.kd
    .uniform_work_group_size: 1
    .uses_dynamic_stack: false
    .vgpr_count:     64
    .vgpr_spill_count: 0
    .wavefront_size: 64
  - .agpr_count:     0
    .args:
      - .offset:         0
        .size:           4
        .value_kind:     by_value
      - .offset:         4
        .size:           4
        .value_kind:     by_value
      - .offset:         8
        .size:           8
        .value_kind:     by_value
      - .actual_access:  read_only
        .address_space:  global
        .offset:         16
        .size:           8
        .value_kind:     global_buffer
      - .actual_access:  read_only
        .address_space:  global
        .offset:         24
        .size:           8
        .value_kind:     global_buffer
      - .actual_access:  read_only
        .address_space:  global
        .offset:         32
        .size:           8
        .value_kind:     global_buffer
      - .actual_access:  read_only
        .address_space:  global
        .offset:         40
        .size:           8
        .value_kind:     global_buffer
      - .offset:         48
        .size:           8
        .value_kind:     by_value
      - .address_space:  global
        .offset:         56
        .size:           8
        .value_kind:     global_buffer
      - .offset:         64
        .size:           4
        .value_kind:     by_value
      - .offset:         68
        .size:           1
        .value_kind:     by_value
    .group_segment_fixed_size: 0
    .kernarg_segment_align: 8
    .kernarg_segment_size: 72
    .language:       OpenCL C
    .language_version:
      - 2
      - 0
    .max_flat_workgroup_size: 128
    .name:           _ZN9rocsparseL19gebsrmvn_2xn_kernelILj128ELj15ELj16E21rocsparse_complex_numIfEEEvi20rocsparse_direction_NS_24const_host_device_scalarIT2_EEPKiS8_PKS5_SA_S6_PS5_21rocsparse_index_base_b
    .private_segment_fixed_size: 0
    .sgpr_count:     24
    .sgpr_spill_count: 0
    .symbol:         _ZN9rocsparseL19gebsrmvn_2xn_kernelILj128ELj15ELj16E21rocsparse_complex_numIfEEEvi20rocsparse_direction_NS_24const_host_device_scalarIT2_EEPKiS8_PKS5_SA_S6_PS5_21rocsparse_index_base_b.kd
    .uniform_work_group_size: 1
    .uses_dynamic_stack: false
    .vgpr_count:     64
    .vgpr_spill_count: 0
    .wavefront_size: 64
  - .agpr_count:     0
    .args:
      - .offset:         0
        .size:           4
        .value_kind:     by_value
      - .offset:         4
        .size:           4
        .value_kind:     by_value
      - .offset:         8
        .size:           8
        .value_kind:     by_value
      - .actual_access:  read_only
        .address_space:  global
        .offset:         16
        .size:           8
        .value_kind:     global_buffer
      - .actual_access:  read_only
        .address_space:  global
        .offset:         24
        .size:           8
        .value_kind:     global_buffer
      - .actual_access:  read_only
        .address_space:  global
        .offset:         32
        .size:           8
        .value_kind:     global_buffer
      - .actual_access:  read_only
        .address_space:  global
        .offset:         40
        .size:           8
        .value_kind:     global_buffer
      - .offset:         48
        .size:           8
        .value_kind:     by_value
      - .address_space:  global
        .offset:         56
        .size:           8
        .value_kind:     global_buffer
      - .offset:         64
        .size:           4
        .value_kind:     by_value
      - .offset:         68
        .size:           1
        .value_kind:     by_value
    .group_segment_fixed_size: 0
    .kernarg_segment_align: 8
    .kernarg_segment_size: 72
    .language:       OpenCL C
    .language_version:
      - 2
      - 0
    .max_flat_workgroup_size: 128
    .name:           _ZN9rocsparseL19gebsrmvn_2xn_kernelILj128ELj15ELj32E21rocsparse_complex_numIfEEEvi20rocsparse_direction_NS_24const_host_device_scalarIT2_EEPKiS8_PKS5_SA_S6_PS5_21rocsparse_index_base_b
    .private_segment_fixed_size: 0
    .sgpr_count:     24
    .sgpr_spill_count: 0
    .symbol:         _ZN9rocsparseL19gebsrmvn_2xn_kernelILj128ELj15ELj32E21rocsparse_complex_numIfEEEvi20rocsparse_direction_NS_24const_host_device_scalarIT2_EEPKiS8_PKS5_SA_S6_PS5_21rocsparse_index_base_b.kd
    .uniform_work_group_size: 1
    .uses_dynamic_stack: false
    .vgpr_count:     64
    .vgpr_spill_count: 0
    .wavefront_size: 64
  - .agpr_count:     0
    .args:
      - .offset:         0
        .size:           4
        .value_kind:     by_value
      - .offset:         4
        .size:           4
        .value_kind:     by_value
      - .offset:         8
        .size:           8
        .value_kind:     by_value
      - .actual_access:  read_only
        .address_space:  global
        .offset:         16
        .size:           8
        .value_kind:     global_buffer
      - .actual_access:  read_only
        .address_space:  global
        .offset:         24
        .size:           8
        .value_kind:     global_buffer
      - .actual_access:  read_only
        .address_space:  global
        .offset:         32
        .size:           8
        .value_kind:     global_buffer
      - .actual_access:  read_only
        .address_space:  global
        .offset:         40
        .size:           8
        .value_kind:     global_buffer
      - .offset:         48
        .size:           8
        .value_kind:     by_value
      - .address_space:  global
        .offset:         56
        .size:           8
        .value_kind:     global_buffer
      - .offset:         64
        .size:           4
        .value_kind:     by_value
      - .offset:         68
        .size:           1
        .value_kind:     by_value
    .group_segment_fixed_size: 0
    .kernarg_segment_align: 8
    .kernarg_segment_size: 72
    .language:       OpenCL C
    .language_version:
      - 2
      - 0
    .max_flat_workgroup_size: 128
    .name:           _ZN9rocsparseL19gebsrmvn_2xn_kernelILj128ELj15ELj64E21rocsparse_complex_numIfEEEvi20rocsparse_direction_NS_24const_host_device_scalarIT2_EEPKiS8_PKS5_SA_S6_PS5_21rocsparse_index_base_b
    .private_segment_fixed_size: 0
    .sgpr_count:     24
    .sgpr_spill_count: 0
    .symbol:         _ZN9rocsparseL19gebsrmvn_2xn_kernelILj128ELj15ELj64E21rocsparse_complex_numIfEEEvi20rocsparse_direction_NS_24const_host_device_scalarIT2_EEPKiS8_PKS5_SA_S6_PS5_21rocsparse_index_base_b.kd
    .uniform_work_group_size: 1
    .uses_dynamic_stack: false
    .vgpr_count:     64
    .vgpr_spill_count: 0
    .wavefront_size: 64
  - .agpr_count:     0
    .args:
      - .offset:         0
        .size:           4
        .value_kind:     by_value
      - .offset:         4
        .size:           4
        .value_kind:     by_value
      - .offset:         8
        .size:           8
        .value_kind:     by_value
      - .actual_access:  read_only
        .address_space:  global
        .offset:         16
        .size:           8
        .value_kind:     global_buffer
      - .actual_access:  read_only
        .address_space:  global
        .offset:         24
        .size:           8
        .value_kind:     global_buffer
      - .actual_access:  read_only
        .address_space:  global
        .offset:         32
        .size:           8
        .value_kind:     global_buffer
      - .actual_access:  read_only
        .address_space:  global
        .offset:         40
        .size:           8
        .value_kind:     global_buffer
      - .offset:         48
        .size:           8
        .value_kind:     by_value
      - .address_space:  global
        .offset:         56
        .size:           8
        .value_kind:     global_buffer
      - .offset:         64
        .size:           4
        .value_kind:     by_value
      - .offset:         68
        .size:           1
        .value_kind:     by_value
    .group_segment_fixed_size: 0
    .kernarg_segment_align: 8
    .kernarg_segment_size: 72
    .language:       OpenCL C
    .language_version:
      - 2
      - 0
    .max_flat_workgroup_size: 128
    .name:           _ZN9rocsparseL19gebsrmvn_2xn_kernelILj128ELj16ELj4E21rocsparse_complex_numIfEEEvi20rocsparse_direction_NS_24const_host_device_scalarIT2_EEPKiS8_PKS5_SA_S6_PS5_21rocsparse_index_base_b
    .private_segment_fixed_size: 0
    .sgpr_count:     26
    .sgpr_spill_count: 0
    .symbol:         _ZN9rocsparseL19gebsrmvn_2xn_kernelILj128ELj16ELj4E21rocsparse_complex_numIfEEEvi20rocsparse_direction_NS_24const_host_device_scalarIT2_EEPKiS8_PKS5_SA_S6_PS5_21rocsparse_index_base_b.kd
    .uniform_work_group_size: 1
    .uses_dynamic_stack: false
    .vgpr_count:     56
    .vgpr_spill_count: 0
    .wavefront_size: 64
  - .agpr_count:     0
    .args:
      - .offset:         0
        .size:           4
        .value_kind:     by_value
      - .offset:         4
        .size:           4
        .value_kind:     by_value
      - .offset:         8
        .size:           8
        .value_kind:     by_value
      - .actual_access:  read_only
        .address_space:  global
        .offset:         16
        .size:           8
        .value_kind:     global_buffer
      - .actual_access:  read_only
        .address_space:  global
        .offset:         24
        .size:           8
        .value_kind:     global_buffer
      - .actual_access:  read_only
        .address_space:  global
        .offset:         32
        .size:           8
        .value_kind:     global_buffer
      - .actual_access:  read_only
        .address_space:  global
        .offset:         40
        .size:           8
        .value_kind:     global_buffer
      - .offset:         48
        .size:           8
        .value_kind:     by_value
      - .address_space:  global
        .offset:         56
        .size:           8
        .value_kind:     global_buffer
      - .offset:         64
        .size:           4
        .value_kind:     by_value
      - .offset:         68
        .size:           1
        .value_kind:     by_value
    .group_segment_fixed_size: 0
    .kernarg_segment_align: 8
    .kernarg_segment_size: 72
    .language:       OpenCL C
    .language_version:
      - 2
      - 0
    .max_flat_workgroup_size: 128
    .name:           _ZN9rocsparseL19gebsrmvn_2xn_kernelILj128ELj16ELj8E21rocsparse_complex_numIfEEEvi20rocsparse_direction_NS_24const_host_device_scalarIT2_EEPKiS8_PKS5_SA_S6_PS5_21rocsparse_index_base_b
    .private_segment_fixed_size: 0
    .sgpr_count:     26
    .sgpr_spill_count: 0
    .symbol:         _ZN9rocsparseL19gebsrmvn_2xn_kernelILj128ELj16ELj8E21rocsparse_complex_numIfEEEvi20rocsparse_direction_NS_24const_host_device_scalarIT2_EEPKiS8_PKS5_SA_S6_PS5_21rocsparse_index_base_b.kd
    .uniform_work_group_size: 1
    .uses_dynamic_stack: false
    .vgpr_count:     56
    .vgpr_spill_count: 0
    .wavefront_size: 64
  - .agpr_count:     0
    .args:
      - .offset:         0
        .size:           4
        .value_kind:     by_value
      - .offset:         4
        .size:           4
        .value_kind:     by_value
      - .offset:         8
        .size:           8
        .value_kind:     by_value
      - .actual_access:  read_only
        .address_space:  global
        .offset:         16
        .size:           8
        .value_kind:     global_buffer
      - .actual_access:  read_only
        .address_space:  global
        .offset:         24
        .size:           8
        .value_kind:     global_buffer
      - .actual_access:  read_only
        .address_space:  global
        .offset:         32
        .size:           8
        .value_kind:     global_buffer
      - .actual_access:  read_only
        .address_space:  global
        .offset:         40
        .size:           8
        .value_kind:     global_buffer
      - .offset:         48
        .size:           8
        .value_kind:     by_value
      - .address_space:  global
        .offset:         56
        .size:           8
        .value_kind:     global_buffer
      - .offset:         64
        .size:           4
        .value_kind:     by_value
      - .offset:         68
        .size:           1
        .value_kind:     by_value
    .group_segment_fixed_size: 0
    .kernarg_segment_align: 8
    .kernarg_segment_size: 72
    .language:       OpenCL C
    .language_version:
      - 2
      - 0
    .max_flat_workgroup_size: 128
    .name:           _ZN9rocsparseL19gebsrmvn_2xn_kernelILj128ELj16ELj16E21rocsparse_complex_numIfEEEvi20rocsparse_direction_NS_24const_host_device_scalarIT2_EEPKiS8_PKS5_SA_S6_PS5_21rocsparse_index_base_b
    .private_segment_fixed_size: 0
    .sgpr_count:     26
    .sgpr_spill_count: 0
    .symbol:         _ZN9rocsparseL19gebsrmvn_2xn_kernelILj128ELj16ELj16E21rocsparse_complex_numIfEEEvi20rocsparse_direction_NS_24const_host_device_scalarIT2_EEPKiS8_PKS5_SA_S6_PS5_21rocsparse_index_base_b.kd
    .uniform_work_group_size: 1
    .uses_dynamic_stack: false
    .vgpr_count:     56
    .vgpr_spill_count: 0
    .wavefront_size: 64
  - .agpr_count:     0
    .args:
      - .offset:         0
        .size:           4
        .value_kind:     by_value
      - .offset:         4
        .size:           4
        .value_kind:     by_value
      - .offset:         8
        .size:           8
        .value_kind:     by_value
      - .actual_access:  read_only
        .address_space:  global
        .offset:         16
        .size:           8
        .value_kind:     global_buffer
      - .actual_access:  read_only
        .address_space:  global
        .offset:         24
        .size:           8
        .value_kind:     global_buffer
      - .actual_access:  read_only
        .address_space:  global
        .offset:         32
        .size:           8
        .value_kind:     global_buffer
      - .actual_access:  read_only
        .address_space:  global
        .offset:         40
        .size:           8
        .value_kind:     global_buffer
      - .offset:         48
        .size:           8
        .value_kind:     by_value
      - .address_space:  global
        .offset:         56
        .size:           8
        .value_kind:     global_buffer
      - .offset:         64
        .size:           4
        .value_kind:     by_value
      - .offset:         68
        .size:           1
        .value_kind:     by_value
    .group_segment_fixed_size: 0
    .kernarg_segment_align: 8
    .kernarg_segment_size: 72
    .language:       OpenCL C
    .language_version:
      - 2
      - 0
    .max_flat_workgroup_size: 128
    .name:           _ZN9rocsparseL19gebsrmvn_2xn_kernelILj128ELj16ELj32E21rocsparse_complex_numIfEEEvi20rocsparse_direction_NS_24const_host_device_scalarIT2_EEPKiS8_PKS5_SA_S6_PS5_21rocsparse_index_base_b
    .private_segment_fixed_size: 0
    .sgpr_count:     26
    .sgpr_spill_count: 0
    .symbol:         _ZN9rocsparseL19gebsrmvn_2xn_kernelILj128ELj16ELj32E21rocsparse_complex_numIfEEEvi20rocsparse_direction_NS_24const_host_device_scalarIT2_EEPKiS8_PKS5_SA_S6_PS5_21rocsparse_index_base_b.kd
    .uniform_work_group_size: 1
    .uses_dynamic_stack: false
    .vgpr_count:     56
    .vgpr_spill_count: 0
    .wavefront_size: 64
  - .agpr_count:     0
    .args:
      - .offset:         0
        .size:           4
        .value_kind:     by_value
      - .offset:         4
        .size:           4
        .value_kind:     by_value
      - .offset:         8
        .size:           8
        .value_kind:     by_value
      - .actual_access:  read_only
        .address_space:  global
        .offset:         16
        .size:           8
        .value_kind:     global_buffer
      - .actual_access:  read_only
        .address_space:  global
        .offset:         24
        .size:           8
        .value_kind:     global_buffer
      - .actual_access:  read_only
        .address_space:  global
        .offset:         32
        .size:           8
        .value_kind:     global_buffer
      - .actual_access:  read_only
        .address_space:  global
        .offset:         40
        .size:           8
        .value_kind:     global_buffer
      - .offset:         48
        .size:           8
        .value_kind:     by_value
      - .address_space:  global
        .offset:         56
        .size:           8
        .value_kind:     global_buffer
      - .offset:         64
        .size:           4
        .value_kind:     by_value
      - .offset:         68
        .size:           1
        .value_kind:     by_value
    .group_segment_fixed_size: 0
    .kernarg_segment_align: 8
    .kernarg_segment_size: 72
    .language:       OpenCL C
    .language_version:
      - 2
      - 0
    .max_flat_workgroup_size: 128
    .name:           _ZN9rocsparseL19gebsrmvn_2xn_kernelILj128ELj16ELj64E21rocsparse_complex_numIfEEEvi20rocsparse_direction_NS_24const_host_device_scalarIT2_EEPKiS8_PKS5_SA_S6_PS5_21rocsparse_index_base_b
    .private_segment_fixed_size: 0
    .sgpr_count:     26
    .sgpr_spill_count: 0
    .symbol:         _ZN9rocsparseL19gebsrmvn_2xn_kernelILj128ELj16ELj64E21rocsparse_complex_numIfEEEvi20rocsparse_direction_NS_24const_host_device_scalarIT2_EEPKiS8_PKS5_SA_S6_PS5_21rocsparse_index_base_b.kd
    .uniform_work_group_size: 1
    .uses_dynamic_stack: false
    .vgpr_count:     56
    .vgpr_spill_count: 0
    .wavefront_size: 64
  - .agpr_count:     0
    .args:
      - .offset:         0
        .size:           4
        .value_kind:     by_value
      - .offset:         4
        .size:           4
        .value_kind:     by_value
      - .offset:         8
        .size:           8
        .value_kind:     by_value
      - .actual_access:  read_only
        .address_space:  global
        .offset:         16
        .size:           8
        .value_kind:     global_buffer
      - .actual_access:  read_only
        .address_space:  global
        .offset:         24
        .size:           8
        .value_kind:     global_buffer
      - .actual_access:  read_only
        .address_space:  global
        .offset:         32
        .size:           8
        .value_kind:     global_buffer
      - .offset:         40
        .size:           4
        .value_kind:     by_value
      - .offset:         44
        .size:           4
        .value_kind:     by_value
      - .actual_access:  read_only
        .address_space:  global
        .offset:         48
        .size:           8
        .value_kind:     global_buffer
      - .offset:         56
        .size:           8
        .value_kind:     by_value
      - .address_space:  global
        .offset:         64
        .size:           8
        .value_kind:     global_buffer
      - .offset:         72
        .size:           4
        .value_kind:     by_value
      - .offset:         76
        .size:           1
        .value_kind:     by_value
    .group_segment_fixed_size: 0
    .kernarg_segment_align: 8
    .kernarg_segment_size: 80
    .language:       OpenCL C
    .language_version:
      - 2
      - 0
    .max_flat_workgroup_size: 32
    .name:           _ZN9rocsparseL23gebsrmvn_general_kernelILj32ELj32E21rocsparse_complex_numIfEEEvi20rocsparse_direction_NS_24const_host_device_scalarIT1_EEPKiS8_PKS5_iiSA_S6_PS5_21rocsparse_index_base_b
    .private_segment_fixed_size: 0
    .sgpr_count:     44
    .sgpr_spill_count: 0
    .symbol:         _ZN9rocsparseL23gebsrmvn_general_kernelILj32ELj32E21rocsparse_complex_numIfEEEvi20rocsparse_direction_NS_24const_host_device_scalarIT1_EEPKiS8_PKS5_iiSA_S6_PS5_21rocsparse_index_base_b.kd
    .uniform_work_group_size: 1
    .uses_dynamic_stack: false
    .vgpr_count:     24
    .vgpr_spill_count: 0
    .wavefront_size: 64
  - .agpr_count:     0
    .args:
      - .offset:         0
        .size:           4
        .value_kind:     by_value
      - .offset:         4
        .size:           4
        .value_kind:     by_value
      - .offset:         8
        .size:           16
        .value_kind:     by_value
      - .actual_access:  read_only
        .address_space:  global
        .offset:         24
        .size:           8
        .value_kind:     global_buffer
      - .actual_access:  read_only
        .address_space:  global
        .offset:         32
        .size:           8
        .value_kind:     global_buffer
      - .actual_access:  read_only
        .address_space:  global
        .offset:         40
        .size:           8
        .value_kind:     global_buffer
      - .actual_access:  read_only
        .address_space:  global
        .offset:         48
        .size:           8
        .value_kind:     global_buffer
      - .offset:         56
        .size:           16
        .value_kind:     by_value
      - .address_space:  global
        .offset:         72
        .size:           8
        .value_kind:     global_buffer
      - .offset:         80
        .size:           4
        .value_kind:     by_value
      - .offset:         84
        .size:           1
        .value_kind:     by_value
    .group_segment_fixed_size: 2048
    .kernarg_segment_align: 8
    .kernarg_segment_size: 88
    .language:       OpenCL C
    .language_version:
      - 2
      - 0
    .max_flat_workgroup_size: 128
    .name:           _ZN9rocsparseL19gebsrmvn_2xn_kernelILj128ELj1ELj4E21rocsparse_complex_numIdEEEvi20rocsparse_direction_NS_24const_host_device_scalarIT2_EEPKiS8_PKS5_SA_S6_PS5_21rocsparse_index_base_b
    .private_segment_fixed_size: 0
    .sgpr_count:     26
    .sgpr_spill_count: 0
    .symbol:         _ZN9rocsparseL19gebsrmvn_2xn_kernelILj128ELj1ELj4E21rocsparse_complex_numIdEEEvi20rocsparse_direction_NS_24const_host_device_scalarIT2_EEPKiS8_PKS5_SA_S6_PS5_21rocsparse_index_base_b.kd
    .uniform_work_group_size: 1
    .uses_dynamic_stack: false
    .vgpr_count:     38
    .vgpr_spill_count: 0
    .wavefront_size: 64
  - .agpr_count:     0
    .args:
      - .offset:         0
        .size:           4
        .value_kind:     by_value
      - .offset:         4
        .size:           4
        .value_kind:     by_value
      - .offset:         8
        .size:           16
        .value_kind:     by_value
      - .actual_access:  read_only
        .address_space:  global
        .offset:         24
        .size:           8
        .value_kind:     global_buffer
      - .actual_access:  read_only
        .address_space:  global
        .offset:         32
        .size:           8
        .value_kind:     global_buffer
      - .actual_access:  read_only
        .address_space:  global
        .offset:         40
        .size:           8
        .value_kind:     global_buffer
      - .actual_access:  read_only
        .address_space:  global
        .offset:         48
        .size:           8
        .value_kind:     global_buffer
      - .offset:         56
        .size:           16
        .value_kind:     by_value
      - .address_space:  global
        .offset:         72
        .size:           8
        .value_kind:     global_buffer
      - .offset:         80
        .size:           4
        .value_kind:     by_value
      - .offset:         84
        .size:           1
        .value_kind:     by_value
    .group_segment_fixed_size: 2048
    .kernarg_segment_align: 8
    .kernarg_segment_size: 88
    .language:       OpenCL C
    .language_version:
      - 2
      - 0
    .max_flat_workgroup_size: 128
    .name:           _ZN9rocsparseL19gebsrmvn_2xn_kernelILj128ELj1ELj8E21rocsparse_complex_numIdEEEvi20rocsparse_direction_NS_24const_host_device_scalarIT2_EEPKiS8_PKS5_SA_S6_PS5_21rocsparse_index_base_b
    .private_segment_fixed_size: 0
    .sgpr_count:     26
    .sgpr_spill_count: 0
    .symbol:         _ZN9rocsparseL19gebsrmvn_2xn_kernelILj128ELj1ELj8E21rocsparse_complex_numIdEEEvi20rocsparse_direction_NS_24const_host_device_scalarIT2_EEPKiS8_PKS5_SA_S6_PS5_21rocsparse_index_base_b.kd
    .uniform_work_group_size: 1
    .uses_dynamic_stack: false
    .vgpr_count:     38
    .vgpr_spill_count: 0
    .wavefront_size: 64
  - .agpr_count:     0
    .args:
      - .offset:         0
        .size:           4
        .value_kind:     by_value
      - .offset:         4
        .size:           4
        .value_kind:     by_value
      - .offset:         8
        .size:           16
        .value_kind:     by_value
      - .actual_access:  read_only
        .address_space:  global
        .offset:         24
        .size:           8
        .value_kind:     global_buffer
      - .actual_access:  read_only
        .address_space:  global
        .offset:         32
        .size:           8
        .value_kind:     global_buffer
      - .actual_access:  read_only
        .address_space:  global
        .offset:         40
        .size:           8
        .value_kind:     global_buffer
      - .actual_access:  read_only
        .address_space:  global
        .offset:         48
        .size:           8
        .value_kind:     global_buffer
      - .offset:         56
        .size:           16
        .value_kind:     by_value
      - .address_space:  global
        .offset:         72
        .size:           8
        .value_kind:     global_buffer
      - .offset:         80
        .size:           4
        .value_kind:     by_value
      - .offset:         84
        .size:           1
        .value_kind:     by_value
    .group_segment_fixed_size: 2048
    .kernarg_segment_align: 8
    .kernarg_segment_size: 88
    .language:       OpenCL C
    .language_version:
      - 2
      - 0
    .max_flat_workgroup_size: 128
    .name:           _ZN9rocsparseL19gebsrmvn_2xn_kernelILj128ELj1ELj16E21rocsparse_complex_numIdEEEvi20rocsparse_direction_NS_24const_host_device_scalarIT2_EEPKiS8_PKS5_SA_S6_PS5_21rocsparse_index_base_b
    .private_segment_fixed_size: 0
    .sgpr_count:     26
    .sgpr_spill_count: 0
    .symbol:         _ZN9rocsparseL19gebsrmvn_2xn_kernelILj128ELj1ELj16E21rocsparse_complex_numIdEEEvi20rocsparse_direction_NS_24const_host_device_scalarIT2_EEPKiS8_PKS5_SA_S6_PS5_21rocsparse_index_base_b.kd
    .uniform_work_group_size: 1
    .uses_dynamic_stack: false
    .vgpr_count:     38
    .vgpr_spill_count: 0
    .wavefront_size: 64
  - .agpr_count:     0
    .args:
      - .offset:         0
        .size:           4
        .value_kind:     by_value
      - .offset:         4
        .size:           4
        .value_kind:     by_value
      - .offset:         8
        .size:           16
        .value_kind:     by_value
      - .actual_access:  read_only
        .address_space:  global
        .offset:         24
        .size:           8
        .value_kind:     global_buffer
      - .actual_access:  read_only
        .address_space:  global
        .offset:         32
        .size:           8
        .value_kind:     global_buffer
      - .actual_access:  read_only
        .address_space:  global
        .offset:         40
        .size:           8
        .value_kind:     global_buffer
      - .actual_access:  read_only
        .address_space:  global
        .offset:         48
        .size:           8
        .value_kind:     global_buffer
      - .offset:         56
        .size:           16
        .value_kind:     by_value
      - .address_space:  global
        .offset:         72
        .size:           8
        .value_kind:     global_buffer
      - .offset:         80
        .size:           4
        .value_kind:     by_value
      - .offset:         84
        .size:           1
        .value_kind:     by_value
    .group_segment_fixed_size: 2048
    .kernarg_segment_align: 8
    .kernarg_segment_size: 88
    .language:       OpenCL C
    .language_version:
      - 2
      - 0
    .max_flat_workgroup_size: 128
    .name:           _ZN9rocsparseL19gebsrmvn_2xn_kernelILj128ELj1ELj32E21rocsparse_complex_numIdEEEvi20rocsparse_direction_NS_24const_host_device_scalarIT2_EEPKiS8_PKS5_SA_S6_PS5_21rocsparse_index_base_b
    .private_segment_fixed_size: 0
    .sgpr_count:     26
    .sgpr_spill_count: 0
    .symbol:         _ZN9rocsparseL19gebsrmvn_2xn_kernelILj128ELj1ELj32E21rocsparse_complex_numIdEEEvi20rocsparse_direction_NS_24const_host_device_scalarIT2_EEPKiS8_PKS5_SA_S6_PS5_21rocsparse_index_base_b.kd
    .uniform_work_group_size: 1
    .uses_dynamic_stack: false
    .vgpr_count:     38
    .vgpr_spill_count: 0
    .wavefront_size: 64
  - .agpr_count:     0
    .args:
      - .offset:         0
        .size:           4
        .value_kind:     by_value
      - .offset:         4
        .size:           4
        .value_kind:     by_value
      - .offset:         8
        .size:           16
        .value_kind:     by_value
      - .actual_access:  read_only
        .address_space:  global
        .offset:         24
        .size:           8
        .value_kind:     global_buffer
      - .actual_access:  read_only
        .address_space:  global
        .offset:         32
        .size:           8
        .value_kind:     global_buffer
      - .actual_access:  read_only
        .address_space:  global
        .offset:         40
        .size:           8
        .value_kind:     global_buffer
      - .actual_access:  read_only
        .address_space:  global
        .offset:         48
        .size:           8
        .value_kind:     global_buffer
      - .offset:         56
        .size:           16
        .value_kind:     by_value
      - .address_space:  global
        .offset:         72
        .size:           8
        .value_kind:     global_buffer
      - .offset:         80
        .size:           4
        .value_kind:     by_value
      - .offset:         84
        .size:           1
        .value_kind:     by_value
    .group_segment_fixed_size: 2048
    .kernarg_segment_align: 8
    .kernarg_segment_size: 88
    .language:       OpenCL C
    .language_version:
      - 2
      - 0
    .max_flat_workgroup_size: 128
    .name:           _ZN9rocsparseL19gebsrmvn_2xn_kernelILj128ELj1ELj64E21rocsparse_complex_numIdEEEvi20rocsparse_direction_NS_24const_host_device_scalarIT2_EEPKiS8_PKS5_SA_S6_PS5_21rocsparse_index_base_b
    .private_segment_fixed_size: 0
    .sgpr_count:     26
    .sgpr_spill_count: 0
    .symbol:         _ZN9rocsparseL19gebsrmvn_2xn_kernelILj128ELj1ELj64E21rocsparse_complex_numIdEEEvi20rocsparse_direction_NS_24const_host_device_scalarIT2_EEPKiS8_PKS5_SA_S6_PS5_21rocsparse_index_base_b.kd
    .uniform_work_group_size: 1
    .uses_dynamic_stack: false
    .vgpr_count:     38
    .vgpr_spill_count: 0
    .wavefront_size: 64
  - .agpr_count:     0
    .args:
      - .offset:         0
        .size:           4
        .value_kind:     by_value
      - .offset:         4
        .size:           4
        .value_kind:     by_value
      - .offset:         8
        .size:           16
        .value_kind:     by_value
      - .actual_access:  read_only
        .address_space:  global
        .offset:         24
        .size:           8
        .value_kind:     global_buffer
      - .actual_access:  read_only
        .address_space:  global
        .offset:         32
        .size:           8
        .value_kind:     global_buffer
      - .actual_access:  read_only
        .address_space:  global
        .offset:         40
        .size:           8
        .value_kind:     global_buffer
      - .actual_access:  read_only
        .address_space:  global
        .offset:         48
        .size:           8
        .value_kind:     global_buffer
      - .offset:         56
        .size:           16
        .value_kind:     by_value
      - .address_space:  global
        .offset:         72
        .size:           8
        .value_kind:     global_buffer
      - .offset:         80
        .size:           4
        .value_kind:     by_value
      - .offset:         84
        .size:           1
        .value_kind:     by_value
    .group_segment_fixed_size: 2048
    .kernarg_segment_align: 8
    .kernarg_segment_size: 88
    .language:       OpenCL C
    .language_version:
      - 2
      - 0
    .max_flat_workgroup_size: 128
    .name:           _ZN9rocsparseL19gebsrmvn_2xn_kernelILj128ELj3ELj4E21rocsparse_complex_numIdEEEvi20rocsparse_direction_NS_24const_host_device_scalarIT2_EEPKiS8_PKS5_SA_S6_PS5_21rocsparse_index_base_b
    .private_segment_fixed_size: 0
    .sgpr_count:     26
    .sgpr_spill_count: 0
    .symbol:         _ZN9rocsparseL19gebsrmvn_2xn_kernelILj128ELj3ELj4E21rocsparse_complex_numIdEEEvi20rocsparse_direction_NS_24const_host_device_scalarIT2_EEPKiS8_PKS5_SA_S6_PS5_21rocsparse_index_base_b.kd
    .uniform_work_group_size: 1
    .uses_dynamic_stack: false
    .vgpr_count:     66
    .vgpr_spill_count: 0
    .wavefront_size: 64
  - .agpr_count:     0
    .args:
      - .offset:         0
        .size:           4
        .value_kind:     by_value
      - .offset:         4
        .size:           4
        .value_kind:     by_value
      - .offset:         8
        .size:           16
        .value_kind:     by_value
      - .actual_access:  read_only
        .address_space:  global
        .offset:         24
        .size:           8
        .value_kind:     global_buffer
      - .actual_access:  read_only
        .address_space:  global
        .offset:         32
        .size:           8
        .value_kind:     global_buffer
      - .actual_access:  read_only
        .address_space:  global
        .offset:         40
        .size:           8
        .value_kind:     global_buffer
      - .actual_access:  read_only
        .address_space:  global
        .offset:         48
        .size:           8
        .value_kind:     global_buffer
      - .offset:         56
        .size:           16
        .value_kind:     by_value
      - .address_space:  global
        .offset:         72
        .size:           8
        .value_kind:     global_buffer
      - .offset:         80
        .size:           4
        .value_kind:     by_value
      - .offset:         84
        .size:           1
        .value_kind:     by_value
    .group_segment_fixed_size: 2048
    .kernarg_segment_align: 8
    .kernarg_segment_size: 88
    .language:       OpenCL C
    .language_version:
      - 2
      - 0
    .max_flat_workgroup_size: 128
    .name:           _ZN9rocsparseL19gebsrmvn_2xn_kernelILj128ELj3ELj8E21rocsparse_complex_numIdEEEvi20rocsparse_direction_NS_24const_host_device_scalarIT2_EEPKiS8_PKS5_SA_S6_PS5_21rocsparse_index_base_b
    .private_segment_fixed_size: 0
    .sgpr_count:     26
    .sgpr_spill_count: 0
    .symbol:         _ZN9rocsparseL19gebsrmvn_2xn_kernelILj128ELj3ELj8E21rocsparse_complex_numIdEEEvi20rocsparse_direction_NS_24const_host_device_scalarIT2_EEPKiS8_PKS5_SA_S6_PS5_21rocsparse_index_base_b.kd
    .uniform_work_group_size: 1
    .uses_dynamic_stack: false
    .vgpr_count:     66
    .vgpr_spill_count: 0
    .wavefront_size: 64
  - .agpr_count:     0
    .args:
      - .offset:         0
        .size:           4
        .value_kind:     by_value
      - .offset:         4
        .size:           4
        .value_kind:     by_value
      - .offset:         8
        .size:           16
        .value_kind:     by_value
      - .actual_access:  read_only
        .address_space:  global
        .offset:         24
        .size:           8
        .value_kind:     global_buffer
      - .actual_access:  read_only
        .address_space:  global
        .offset:         32
        .size:           8
        .value_kind:     global_buffer
      - .actual_access:  read_only
        .address_space:  global
        .offset:         40
        .size:           8
        .value_kind:     global_buffer
      - .actual_access:  read_only
        .address_space:  global
        .offset:         48
        .size:           8
        .value_kind:     global_buffer
      - .offset:         56
        .size:           16
        .value_kind:     by_value
      - .address_space:  global
        .offset:         72
        .size:           8
        .value_kind:     global_buffer
      - .offset:         80
        .size:           4
        .value_kind:     by_value
      - .offset:         84
        .size:           1
        .value_kind:     by_value
    .group_segment_fixed_size: 2048
    .kernarg_segment_align: 8
    .kernarg_segment_size: 88
    .language:       OpenCL C
    .language_version:
      - 2
      - 0
    .max_flat_workgroup_size: 128
    .name:           _ZN9rocsparseL19gebsrmvn_2xn_kernelILj128ELj3ELj16E21rocsparse_complex_numIdEEEvi20rocsparse_direction_NS_24const_host_device_scalarIT2_EEPKiS8_PKS5_SA_S6_PS5_21rocsparse_index_base_b
    .private_segment_fixed_size: 0
    .sgpr_count:     26
    .sgpr_spill_count: 0
    .symbol:         _ZN9rocsparseL19gebsrmvn_2xn_kernelILj128ELj3ELj16E21rocsparse_complex_numIdEEEvi20rocsparse_direction_NS_24const_host_device_scalarIT2_EEPKiS8_PKS5_SA_S6_PS5_21rocsparse_index_base_b.kd
    .uniform_work_group_size: 1
    .uses_dynamic_stack: false
    .vgpr_count:     66
    .vgpr_spill_count: 0
    .wavefront_size: 64
  - .agpr_count:     0
    .args:
      - .offset:         0
        .size:           4
        .value_kind:     by_value
      - .offset:         4
        .size:           4
        .value_kind:     by_value
      - .offset:         8
        .size:           16
        .value_kind:     by_value
      - .actual_access:  read_only
        .address_space:  global
        .offset:         24
        .size:           8
        .value_kind:     global_buffer
      - .actual_access:  read_only
        .address_space:  global
        .offset:         32
        .size:           8
        .value_kind:     global_buffer
      - .actual_access:  read_only
        .address_space:  global
        .offset:         40
        .size:           8
        .value_kind:     global_buffer
      - .actual_access:  read_only
        .address_space:  global
        .offset:         48
        .size:           8
        .value_kind:     global_buffer
      - .offset:         56
        .size:           16
        .value_kind:     by_value
      - .address_space:  global
        .offset:         72
        .size:           8
        .value_kind:     global_buffer
      - .offset:         80
        .size:           4
        .value_kind:     by_value
      - .offset:         84
        .size:           1
        .value_kind:     by_value
    .group_segment_fixed_size: 2048
    .kernarg_segment_align: 8
    .kernarg_segment_size: 88
    .language:       OpenCL C
    .language_version:
      - 2
      - 0
    .max_flat_workgroup_size: 128
    .name:           _ZN9rocsparseL19gebsrmvn_2xn_kernelILj128ELj3ELj32E21rocsparse_complex_numIdEEEvi20rocsparse_direction_NS_24const_host_device_scalarIT2_EEPKiS8_PKS5_SA_S6_PS5_21rocsparse_index_base_b
    .private_segment_fixed_size: 0
    .sgpr_count:     26
    .sgpr_spill_count: 0
    .symbol:         _ZN9rocsparseL19gebsrmvn_2xn_kernelILj128ELj3ELj32E21rocsparse_complex_numIdEEEvi20rocsparse_direction_NS_24const_host_device_scalarIT2_EEPKiS8_PKS5_SA_S6_PS5_21rocsparse_index_base_b.kd
    .uniform_work_group_size: 1
    .uses_dynamic_stack: false
    .vgpr_count:     66
    .vgpr_spill_count: 0
    .wavefront_size: 64
  - .agpr_count:     0
    .args:
      - .offset:         0
        .size:           4
        .value_kind:     by_value
      - .offset:         4
        .size:           4
        .value_kind:     by_value
      - .offset:         8
        .size:           16
        .value_kind:     by_value
      - .actual_access:  read_only
        .address_space:  global
        .offset:         24
        .size:           8
        .value_kind:     global_buffer
      - .actual_access:  read_only
        .address_space:  global
        .offset:         32
        .size:           8
        .value_kind:     global_buffer
      - .actual_access:  read_only
        .address_space:  global
        .offset:         40
        .size:           8
        .value_kind:     global_buffer
      - .actual_access:  read_only
        .address_space:  global
        .offset:         48
        .size:           8
        .value_kind:     global_buffer
      - .offset:         56
        .size:           16
        .value_kind:     by_value
      - .address_space:  global
        .offset:         72
        .size:           8
        .value_kind:     global_buffer
      - .offset:         80
        .size:           4
        .value_kind:     by_value
      - .offset:         84
        .size:           1
        .value_kind:     by_value
    .group_segment_fixed_size: 2048
    .kernarg_segment_align: 8
    .kernarg_segment_size: 88
    .language:       OpenCL C
    .language_version:
      - 2
      - 0
    .max_flat_workgroup_size: 128
    .name:           _ZN9rocsparseL19gebsrmvn_2xn_kernelILj128ELj3ELj64E21rocsparse_complex_numIdEEEvi20rocsparse_direction_NS_24const_host_device_scalarIT2_EEPKiS8_PKS5_SA_S6_PS5_21rocsparse_index_base_b
    .private_segment_fixed_size: 0
    .sgpr_count:     26
    .sgpr_spill_count: 0
    .symbol:         _ZN9rocsparseL19gebsrmvn_2xn_kernelILj128ELj3ELj64E21rocsparse_complex_numIdEEEvi20rocsparse_direction_NS_24const_host_device_scalarIT2_EEPKiS8_PKS5_SA_S6_PS5_21rocsparse_index_base_b.kd
    .uniform_work_group_size: 1
    .uses_dynamic_stack: false
    .vgpr_count:     66
    .vgpr_spill_count: 0
    .wavefront_size: 64
  - .agpr_count:     0
    .args:
      - .offset:         0
        .size:           4
        .value_kind:     by_value
      - .offset:         4
        .size:           4
        .value_kind:     by_value
      - .offset:         8
        .size:           16
        .value_kind:     by_value
      - .actual_access:  read_only
        .address_space:  global
        .offset:         24
        .size:           8
        .value_kind:     global_buffer
      - .actual_access:  read_only
        .address_space:  global
        .offset:         32
        .size:           8
        .value_kind:     global_buffer
      - .actual_access:  read_only
        .address_space:  global
        .offset:         40
        .size:           8
        .value_kind:     global_buffer
      - .actual_access:  read_only
        .address_space:  global
        .offset:         48
        .size:           8
        .value_kind:     global_buffer
      - .offset:         56
        .size:           16
        .value_kind:     by_value
      - .address_space:  global
        .offset:         72
        .size:           8
        .value_kind:     global_buffer
      - .offset:         80
        .size:           4
        .value_kind:     by_value
      - .offset:         84
        .size:           1
        .value_kind:     by_value
    .group_segment_fixed_size: 2048
    .kernarg_segment_align: 8
    .kernarg_segment_size: 88
    .language:       OpenCL C
    .language_version:
      - 2
      - 0
    .max_flat_workgroup_size: 128
    .name:           _ZN9rocsparseL19gebsrmvn_2xn_kernelILj128ELj4ELj4E21rocsparse_complex_numIdEEEvi20rocsparse_direction_NS_24const_host_device_scalarIT2_EEPKiS8_PKS5_SA_S6_PS5_21rocsparse_index_base_b
    .private_segment_fixed_size: 0
    .sgpr_count:     26
    .sgpr_spill_count: 0
    .symbol:         _ZN9rocsparseL19gebsrmvn_2xn_kernelILj128ELj4ELj4E21rocsparse_complex_numIdEEEvi20rocsparse_direction_NS_24const_host_device_scalarIT2_EEPKiS8_PKS5_SA_S6_PS5_21rocsparse_index_base_b.kd
    .uniform_work_group_size: 1
    .uses_dynamic_stack: false
    .vgpr_count:     76
    .vgpr_spill_count: 0
    .wavefront_size: 64
  - .agpr_count:     0
    .args:
      - .offset:         0
        .size:           4
        .value_kind:     by_value
      - .offset:         4
        .size:           4
        .value_kind:     by_value
      - .offset:         8
        .size:           16
        .value_kind:     by_value
      - .actual_access:  read_only
        .address_space:  global
        .offset:         24
        .size:           8
        .value_kind:     global_buffer
      - .actual_access:  read_only
        .address_space:  global
        .offset:         32
        .size:           8
        .value_kind:     global_buffer
      - .actual_access:  read_only
        .address_space:  global
        .offset:         40
        .size:           8
        .value_kind:     global_buffer
      - .actual_access:  read_only
        .address_space:  global
        .offset:         48
        .size:           8
        .value_kind:     global_buffer
      - .offset:         56
        .size:           16
        .value_kind:     by_value
      - .address_space:  global
        .offset:         72
        .size:           8
        .value_kind:     global_buffer
      - .offset:         80
        .size:           4
        .value_kind:     by_value
      - .offset:         84
        .size:           1
        .value_kind:     by_value
    .group_segment_fixed_size: 2048
    .kernarg_segment_align: 8
    .kernarg_segment_size: 88
    .language:       OpenCL C
    .language_version:
      - 2
      - 0
    .max_flat_workgroup_size: 128
    .name:           _ZN9rocsparseL19gebsrmvn_2xn_kernelILj128ELj4ELj8E21rocsparse_complex_numIdEEEvi20rocsparse_direction_NS_24const_host_device_scalarIT2_EEPKiS8_PKS5_SA_S6_PS5_21rocsparse_index_base_b
    .private_segment_fixed_size: 0
    .sgpr_count:     26
    .sgpr_spill_count: 0
    .symbol:         _ZN9rocsparseL19gebsrmvn_2xn_kernelILj128ELj4ELj8E21rocsparse_complex_numIdEEEvi20rocsparse_direction_NS_24const_host_device_scalarIT2_EEPKiS8_PKS5_SA_S6_PS5_21rocsparse_index_base_b.kd
    .uniform_work_group_size: 1
    .uses_dynamic_stack: false
    .vgpr_count:     76
    .vgpr_spill_count: 0
    .wavefront_size: 64
  - .agpr_count:     0
    .args:
      - .offset:         0
        .size:           4
        .value_kind:     by_value
      - .offset:         4
        .size:           4
        .value_kind:     by_value
      - .offset:         8
        .size:           16
        .value_kind:     by_value
      - .actual_access:  read_only
        .address_space:  global
        .offset:         24
        .size:           8
        .value_kind:     global_buffer
      - .actual_access:  read_only
        .address_space:  global
        .offset:         32
        .size:           8
        .value_kind:     global_buffer
      - .actual_access:  read_only
        .address_space:  global
        .offset:         40
        .size:           8
        .value_kind:     global_buffer
      - .actual_access:  read_only
        .address_space:  global
        .offset:         48
        .size:           8
        .value_kind:     global_buffer
      - .offset:         56
        .size:           16
        .value_kind:     by_value
      - .address_space:  global
        .offset:         72
        .size:           8
        .value_kind:     global_buffer
      - .offset:         80
        .size:           4
        .value_kind:     by_value
      - .offset:         84
        .size:           1
        .value_kind:     by_value
    .group_segment_fixed_size: 2048
    .kernarg_segment_align: 8
    .kernarg_segment_size: 88
    .language:       OpenCL C
    .language_version:
      - 2
      - 0
    .max_flat_workgroup_size: 128
    .name:           _ZN9rocsparseL19gebsrmvn_2xn_kernelILj128ELj4ELj16E21rocsparse_complex_numIdEEEvi20rocsparse_direction_NS_24const_host_device_scalarIT2_EEPKiS8_PKS5_SA_S6_PS5_21rocsparse_index_base_b
    .private_segment_fixed_size: 0
    .sgpr_count:     26
    .sgpr_spill_count: 0
    .symbol:         _ZN9rocsparseL19gebsrmvn_2xn_kernelILj128ELj4ELj16E21rocsparse_complex_numIdEEEvi20rocsparse_direction_NS_24const_host_device_scalarIT2_EEPKiS8_PKS5_SA_S6_PS5_21rocsparse_index_base_b.kd
    .uniform_work_group_size: 1
    .uses_dynamic_stack: false
    .vgpr_count:     76
    .vgpr_spill_count: 0
    .wavefront_size: 64
  - .agpr_count:     0
    .args:
      - .offset:         0
        .size:           4
        .value_kind:     by_value
      - .offset:         4
        .size:           4
        .value_kind:     by_value
      - .offset:         8
        .size:           16
        .value_kind:     by_value
      - .actual_access:  read_only
        .address_space:  global
        .offset:         24
        .size:           8
        .value_kind:     global_buffer
      - .actual_access:  read_only
        .address_space:  global
        .offset:         32
        .size:           8
        .value_kind:     global_buffer
      - .actual_access:  read_only
        .address_space:  global
        .offset:         40
        .size:           8
        .value_kind:     global_buffer
      - .actual_access:  read_only
        .address_space:  global
        .offset:         48
        .size:           8
        .value_kind:     global_buffer
      - .offset:         56
        .size:           16
        .value_kind:     by_value
      - .address_space:  global
        .offset:         72
        .size:           8
        .value_kind:     global_buffer
      - .offset:         80
        .size:           4
        .value_kind:     by_value
      - .offset:         84
        .size:           1
        .value_kind:     by_value
    .group_segment_fixed_size: 2048
    .kernarg_segment_align: 8
    .kernarg_segment_size: 88
    .language:       OpenCL C
    .language_version:
      - 2
      - 0
    .max_flat_workgroup_size: 128
    .name:           _ZN9rocsparseL19gebsrmvn_2xn_kernelILj128ELj4ELj32E21rocsparse_complex_numIdEEEvi20rocsparse_direction_NS_24const_host_device_scalarIT2_EEPKiS8_PKS5_SA_S6_PS5_21rocsparse_index_base_b
    .private_segment_fixed_size: 0
    .sgpr_count:     26
    .sgpr_spill_count: 0
    .symbol:         _ZN9rocsparseL19gebsrmvn_2xn_kernelILj128ELj4ELj32E21rocsparse_complex_numIdEEEvi20rocsparse_direction_NS_24const_host_device_scalarIT2_EEPKiS8_PKS5_SA_S6_PS5_21rocsparse_index_base_b.kd
    .uniform_work_group_size: 1
    .uses_dynamic_stack: false
    .vgpr_count:     76
    .vgpr_spill_count: 0
    .wavefront_size: 64
  - .agpr_count:     0
    .args:
      - .offset:         0
        .size:           4
        .value_kind:     by_value
      - .offset:         4
        .size:           4
        .value_kind:     by_value
      - .offset:         8
        .size:           16
        .value_kind:     by_value
      - .actual_access:  read_only
        .address_space:  global
        .offset:         24
        .size:           8
        .value_kind:     global_buffer
      - .actual_access:  read_only
        .address_space:  global
        .offset:         32
        .size:           8
        .value_kind:     global_buffer
      - .actual_access:  read_only
        .address_space:  global
        .offset:         40
        .size:           8
        .value_kind:     global_buffer
      - .actual_access:  read_only
        .address_space:  global
        .offset:         48
        .size:           8
        .value_kind:     global_buffer
      - .offset:         56
        .size:           16
        .value_kind:     by_value
      - .address_space:  global
        .offset:         72
        .size:           8
        .value_kind:     global_buffer
      - .offset:         80
        .size:           4
        .value_kind:     by_value
      - .offset:         84
        .size:           1
        .value_kind:     by_value
    .group_segment_fixed_size: 2048
    .kernarg_segment_align: 8
    .kernarg_segment_size: 88
    .language:       OpenCL C
    .language_version:
      - 2
      - 0
    .max_flat_workgroup_size: 128
    .name:           _ZN9rocsparseL19gebsrmvn_2xn_kernelILj128ELj4ELj64E21rocsparse_complex_numIdEEEvi20rocsparse_direction_NS_24const_host_device_scalarIT2_EEPKiS8_PKS5_SA_S6_PS5_21rocsparse_index_base_b
    .private_segment_fixed_size: 0
    .sgpr_count:     26
    .sgpr_spill_count: 0
    .symbol:         _ZN9rocsparseL19gebsrmvn_2xn_kernelILj128ELj4ELj64E21rocsparse_complex_numIdEEEvi20rocsparse_direction_NS_24const_host_device_scalarIT2_EEPKiS8_PKS5_SA_S6_PS5_21rocsparse_index_base_b.kd
    .uniform_work_group_size: 1
    .uses_dynamic_stack: false
    .vgpr_count:     76
    .vgpr_spill_count: 0
    .wavefront_size: 64
  - .agpr_count:     0
    .args:
      - .offset:         0
        .size:           4
        .value_kind:     by_value
      - .offset:         4
        .size:           4
        .value_kind:     by_value
      - .offset:         8
        .size:           16
        .value_kind:     by_value
      - .actual_access:  read_only
        .address_space:  global
        .offset:         24
        .size:           8
        .value_kind:     global_buffer
      - .actual_access:  read_only
        .address_space:  global
        .offset:         32
        .size:           8
        .value_kind:     global_buffer
      - .actual_access:  read_only
        .address_space:  global
        .offset:         40
        .size:           8
        .value_kind:     global_buffer
      - .actual_access:  read_only
        .address_space:  global
        .offset:         48
        .size:           8
        .value_kind:     global_buffer
      - .offset:         56
        .size:           16
        .value_kind:     by_value
      - .address_space:  global
        .offset:         72
        .size:           8
        .value_kind:     global_buffer
      - .offset:         80
        .size:           4
        .value_kind:     by_value
      - .offset:         84
        .size:           1
        .value_kind:     by_value
    .group_segment_fixed_size: 2048
    .kernarg_segment_align: 8
    .kernarg_segment_size: 88
    .language:       OpenCL C
    .language_version:
      - 2
      - 0
    .max_flat_workgroup_size: 128
    .name:           _ZN9rocsparseL19gebsrmvn_2xn_kernelILj128ELj5ELj4E21rocsparse_complex_numIdEEEvi20rocsparse_direction_NS_24const_host_device_scalarIT2_EEPKiS8_PKS5_SA_S6_PS5_21rocsparse_index_base_b
    .private_segment_fixed_size: 0
    .sgpr_count:     26
    .sgpr_spill_count: 0
    .symbol:         _ZN9rocsparseL19gebsrmvn_2xn_kernelILj128ELj5ELj4E21rocsparse_complex_numIdEEEvi20rocsparse_direction_NS_24const_host_device_scalarIT2_EEPKiS8_PKS5_SA_S6_PS5_21rocsparse_index_base_b.kd
    .uniform_work_group_size: 1
    .uses_dynamic_stack: false
    .vgpr_count:     88
    .vgpr_spill_count: 0
    .wavefront_size: 64
  - .agpr_count:     0
    .args:
      - .offset:         0
        .size:           4
        .value_kind:     by_value
      - .offset:         4
        .size:           4
        .value_kind:     by_value
      - .offset:         8
        .size:           16
        .value_kind:     by_value
      - .actual_access:  read_only
        .address_space:  global
        .offset:         24
        .size:           8
        .value_kind:     global_buffer
      - .actual_access:  read_only
        .address_space:  global
        .offset:         32
        .size:           8
        .value_kind:     global_buffer
      - .actual_access:  read_only
        .address_space:  global
        .offset:         40
        .size:           8
        .value_kind:     global_buffer
      - .actual_access:  read_only
        .address_space:  global
        .offset:         48
        .size:           8
        .value_kind:     global_buffer
      - .offset:         56
        .size:           16
        .value_kind:     by_value
      - .address_space:  global
        .offset:         72
        .size:           8
        .value_kind:     global_buffer
      - .offset:         80
        .size:           4
        .value_kind:     by_value
      - .offset:         84
        .size:           1
        .value_kind:     by_value
    .group_segment_fixed_size: 2048
    .kernarg_segment_align: 8
    .kernarg_segment_size: 88
    .language:       OpenCL C
    .language_version:
      - 2
      - 0
    .max_flat_workgroup_size: 128
    .name:           _ZN9rocsparseL19gebsrmvn_2xn_kernelILj128ELj5ELj8E21rocsparse_complex_numIdEEEvi20rocsparse_direction_NS_24const_host_device_scalarIT2_EEPKiS8_PKS5_SA_S6_PS5_21rocsparse_index_base_b
    .private_segment_fixed_size: 0
    .sgpr_count:     26
    .sgpr_spill_count: 0
    .symbol:         _ZN9rocsparseL19gebsrmvn_2xn_kernelILj128ELj5ELj8E21rocsparse_complex_numIdEEEvi20rocsparse_direction_NS_24const_host_device_scalarIT2_EEPKiS8_PKS5_SA_S6_PS5_21rocsparse_index_base_b.kd
    .uniform_work_group_size: 1
    .uses_dynamic_stack: false
    .vgpr_count:     88
    .vgpr_spill_count: 0
    .wavefront_size: 64
  - .agpr_count:     0
    .args:
      - .offset:         0
        .size:           4
        .value_kind:     by_value
      - .offset:         4
        .size:           4
        .value_kind:     by_value
      - .offset:         8
        .size:           16
        .value_kind:     by_value
      - .actual_access:  read_only
        .address_space:  global
        .offset:         24
        .size:           8
        .value_kind:     global_buffer
      - .actual_access:  read_only
        .address_space:  global
        .offset:         32
        .size:           8
        .value_kind:     global_buffer
      - .actual_access:  read_only
        .address_space:  global
        .offset:         40
        .size:           8
        .value_kind:     global_buffer
      - .actual_access:  read_only
        .address_space:  global
        .offset:         48
        .size:           8
        .value_kind:     global_buffer
      - .offset:         56
        .size:           16
        .value_kind:     by_value
      - .address_space:  global
        .offset:         72
        .size:           8
        .value_kind:     global_buffer
      - .offset:         80
        .size:           4
        .value_kind:     by_value
      - .offset:         84
        .size:           1
        .value_kind:     by_value
    .group_segment_fixed_size: 2048
    .kernarg_segment_align: 8
    .kernarg_segment_size: 88
    .language:       OpenCL C
    .language_version:
      - 2
      - 0
    .max_flat_workgroup_size: 128
    .name:           _ZN9rocsparseL19gebsrmvn_2xn_kernelILj128ELj5ELj16E21rocsparse_complex_numIdEEEvi20rocsparse_direction_NS_24const_host_device_scalarIT2_EEPKiS8_PKS5_SA_S6_PS5_21rocsparse_index_base_b
    .private_segment_fixed_size: 0
    .sgpr_count:     26
    .sgpr_spill_count: 0
    .symbol:         _ZN9rocsparseL19gebsrmvn_2xn_kernelILj128ELj5ELj16E21rocsparse_complex_numIdEEEvi20rocsparse_direction_NS_24const_host_device_scalarIT2_EEPKiS8_PKS5_SA_S6_PS5_21rocsparse_index_base_b.kd
    .uniform_work_group_size: 1
    .uses_dynamic_stack: false
    .vgpr_count:     88
    .vgpr_spill_count: 0
    .wavefront_size: 64
  - .agpr_count:     0
    .args:
      - .offset:         0
        .size:           4
        .value_kind:     by_value
      - .offset:         4
        .size:           4
        .value_kind:     by_value
      - .offset:         8
        .size:           16
        .value_kind:     by_value
      - .actual_access:  read_only
        .address_space:  global
        .offset:         24
        .size:           8
        .value_kind:     global_buffer
      - .actual_access:  read_only
        .address_space:  global
        .offset:         32
        .size:           8
        .value_kind:     global_buffer
      - .actual_access:  read_only
        .address_space:  global
        .offset:         40
        .size:           8
        .value_kind:     global_buffer
      - .actual_access:  read_only
        .address_space:  global
        .offset:         48
        .size:           8
        .value_kind:     global_buffer
      - .offset:         56
        .size:           16
        .value_kind:     by_value
      - .address_space:  global
        .offset:         72
        .size:           8
        .value_kind:     global_buffer
      - .offset:         80
        .size:           4
        .value_kind:     by_value
      - .offset:         84
        .size:           1
        .value_kind:     by_value
    .group_segment_fixed_size: 2048
    .kernarg_segment_align: 8
    .kernarg_segment_size: 88
    .language:       OpenCL C
    .language_version:
      - 2
      - 0
    .max_flat_workgroup_size: 128
    .name:           _ZN9rocsparseL19gebsrmvn_2xn_kernelILj128ELj5ELj32E21rocsparse_complex_numIdEEEvi20rocsparse_direction_NS_24const_host_device_scalarIT2_EEPKiS8_PKS5_SA_S6_PS5_21rocsparse_index_base_b
    .private_segment_fixed_size: 0
    .sgpr_count:     26
    .sgpr_spill_count: 0
    .symbol:         _ZN9rocsparseL19gebsrmvn_2xn_kernelILj128ELj5ELj32E21rocsparse_complex_numIdEEEvi20rocsparse_direction_NS_24const_host_device_scalarIT2_EEPKiS8_PKS5_SA_S6_PS5_21rocsparse_index_base_b.kd
    .uniform_work_group_size: 1
    .uses_dynamic_stack: false
    .vgpr_count:     88
    .vgpr_spill_count: 0
    .wavefront_size: 64
  - .agpr_count:     0
    .args:
      - .offset:         0
        .size:           4
        .value_kind:     by_value
      - .offset:         4
        .size:           4
        .value_kind:     by_value
      - .offset:         8
        .size:           16
        .value_kind:     by_value
      - .actual_access:  read_only
        .address_space:  global
        .offset:         24
        .size:           8
        .value_kind:     global_buffer
      - .actual_access:  read_only
        .address_space:  global
        .offset:         32
        .size:           8
        .value_kind:     global_buffer
      - .actual_access:  read_only
        .address_space:  global
        .offset:         40
        .size:           8
        .value_kind:     global_buffer
      - .actual_access:  read_only
        .address_space:  global
        .offset:         48
        .size:           8
        .value_kind:     global_buffer
      - .offset:         56
        .size:           16
        .value_kind:     by_value
      - .address_space:  global
        .offset:         72
        .size:           8
        .value_kind:     global_buffer
      - .offset:         80
        .size:           4
        .value_kind:     by_value
      - .offset:         84
        .size:           1
        .value_kind:     by_value
    .group_segment_fixed_size: 2048
    .kernarg_segment_align: 8
    .kernarg_segment_size: 88
    .language:       OpenCL C
    .language_version:
      - 2
      - 0
    .max_flat_workgroup_size: 128
    .name:           _ZN9rocsparseL19gebsrmvn_2xn_kernelILj128ELj5ELj64E21rocsparse_complex_numIdEEEvi20rocsparse_direction_NS_24const_host_device_scalarIT2_EEPKiS8_PKS5_SA_S6_PS5_21rocsparse_index_base_b
    .private_segment_fixed_size: 0
    .sgpr_count:     26
    .sgpr_spill_count: 0
    .symbol:         _ZN9rocsparseL19gebsrmvn_2xn_kernelILj128ELj5ELj64E21rocsparse_complex_numIdEEEvi20rocsparse_direction_NS_24const_host_device_scalarIT2_EEPKiS8_PKS5_SA_S6_PS5_21rocsparse_index_base_b.kd
    .uniform_work_group_size: 1
    .uses_dynamic_stack: false
    .vgpr_count:     88
    .vgpr_spill_count: 0
    .wavefront_size: 64
  - .agpr_count:     0
    .args:
      - .offset:         0
        .size:           4
        .value_kind:     by_value
      - .offset:         4
        .size:           4
        .value_kind:     by_value
      - .offset:         8
        .size:           16
        .value_kind:     by_value
      - .actual_access:  read_only
        .address_space:  global
        .offset:         24
        .size:           8
        .value_kind:     global_buffer
      - .actual_access:  read_only
        .address_space:  global
        .offset:         32
        .size:           8
        .value_kind:     global_buffer
      - .actual_access:  read_only
        .address_space:  global
        .offset:         40
        .size:           8
        .value_kind:     global_buffer
      - .actual_access:  read_only
        .address_space:  global
        .offset:         48
        .size:           8
        .value_kind:     global_buffer
      - .offset:         56
        .size:           16
        .value_kind:     by_value
      - .address_space:  global
        .offset:         72
        .size:           8
        .value_kind:     global_buffer
      - .offset:         80
        .size:           4
        .value_kind:     by_value
      - .offset:         84
        .size:           1
        .value_kind:     by_value
    .group_segment_fixed_size: 2048
    .kernarg_segment_align: 8
    .kernarg_segment_size: 88
    .language:       OpenCL C
    .language_version:
      - 2
      - 0
    .max_flat_workgroup_size: 128
    .name:           _ZN9rocsparseL19gebsrmvn_2xn_kernelILj128ELj6ELj4E21rocsparse_complex_numIdEEEvi20rocsparse_direction_NS_24const_host_device_scalarIT2_EEPKiS8_PKS5_SA_S6_PS5_21rocsparse_index_base_b
    .private_segment_fixed_size: 0
    .sgpr_count:     26
    .sgpr_spill_count: 0
    .symbol:         _ZN9rocsparseL19gebsrmvn_2xn_kernelILj128ELj6ELj4E21rocsparse_complex_numIdEEEvi20rocsparse_direction_NS_24const_host_device_scalarIT2_EEPKiS8_PKS5_SA_S6_PS5_21rocsparse_index_base_b.kd
    .uniform_work_group_size: 1
    .uses_dynamic_stack: false
    .vgpr_count:     92
    .vgpr_spill_count: 0
    .wavefront_size: 64
  - .agpr_count:     0
    .args:
      - .offset:         0
        .size:           4
        .value_kind:     by_value
      - .offset:         4
        .size:           4
        .value_kind:     by_value
      - .offset:         8
        .size:           16
        .value_kind:     by_value
      - .actual_access:  read_only
        .address_space:  global
        .offset:         24
        .size:           8
        .value_kind:     global_buffer
      - .actual_access:  read_only
        .address_space:  global
        .offset:         32
        .size:           8
        .value_kind:     global_buffer
      - .actual_access:  read_only
        .address_space:  global
        .offset:         40
        .size:           8
        .value_kind:     global_buffer
      - .actual_access:  read_only
        .address_space:  global
        .offset:         48
        .size:           8
        .value_kind:     global_buffer
      - .offset:         56
        .size:           16
        .value_kind:     by_value
      - .address_space:  global
        .offset:         72
        .size:           8
        .value_kind:     global_buffer
      - .offset:         80
        .size:           4
        .value_kind:     by_value
      - .offset:         84
        .size:           1
        .value_kind:     by_value
    .group_segment_fixed_size: 2048
    .kernarg_segment_align: 8
    .kernarg_segment_size: 88
    .language:       OpenCL C
    .language_version:
      - 2
      - 0
    .max_flat_workgroup_size: 128
    .name:           _ZN9rocsparseL19gebsrmvn_2xn_kernelILj128ELj6ELj8E21rocsparse_complex_numIdEEEvi20rocsparse_direction_NS_24const_host_device_scalarIT2_EEPKiS8_PKS5_SA_S6_PS5_21rocsparse_index_base_b
    .private_segment_fixed_size: 0
    .sgpr_count:     26
    .sgpr_spill_count: 0
    .symbol:         _ZN9rocsparseL19gebsrmvn_2xn_kernelILj128ELj6ELj8E21rocsparse_complex_numIdEEEvi20rocsparse_direction_NS_24const_host_device_scalarIT2_EEPKiS8_PKS5_SA_S6_PS5_21rocsparse_index_base_b.kd
    .uniform_work_group_size: 1
    .uses_dynamic_stack: false
    .vgpr_count:     92
    .vgpr_spill_count: 0
    .wavefront_size: 64
  - .agpr_count:     0
    .args:
      - .offset:         0
        .size:           4
        .value_kind:     by_value
      - .offset:         4
        .size:           4
        .value_kind:     by_value
      - .offset:         8
        .size:           16
        .value_kind:     by_value
      - .actual_access:  read_only
        .address_space:  global
        .offset:         24
        .size:           8
        .value_kind:     global_buffer
      - .actual_access:  read_only
        .address_space:  global
        .offset:         32
        .size:           8
        .value_kind:     global_buffer
      - .actual_access:  read_only
        .address_space:  global
        .offset:         40
        .size:           8
        .value_kind:     global_buffer
      - .actual_access:  read_only
        .address_space:  global
        .offset:         48
        .size:           8
        .value_kind:     global_buffer
      - .offset:         56
        .size:           16
        .value_kind:     by_value
      - .address_space:  global
        .offset:         72
        .size:           8
        .value_kind:     global_buffer
      - .offset:         80
        .size:           4
        .value_kind:     by_value
      - .offset:         84
        .size:           1
        .value_kind:     by_value
    .group_segment_fixed_size: 2048
    .kernarg_segment_align: 8
    .kernarg_segment_size: 88
    .language:       OpenCL C
    .language_version:
      - 2
      - 0
    .max_flat_workgroup_size: 128
    .name:           _ZN9rocsparseL19gebsrmvn_2xn_kernelILj128ELj6ELj16E21rocsparse_complex_numIdEEEvi20rocsparse_direction_NS_24const_host_device_scalarIT2_EEPKiS8_PKS5_SA_S6_PS5_21rocsparse_index_base_b
    .private_segment_fixed_size: 0
    .sgpr_count:     26
    .sgpr_spill_count: 0
    .symbol:         _ZN9rocsparseL19gebsrmvn_2xn_kernelILj128ELj6ELj16E21rocsparse_complex_numIdEEEvi20rocsparse_direction_NS_24const_host_device_scalarIT2_EEPKiS8_PKS5_SA_S6_PS5_21rocsparse_index_base_b.kd
    .uniform_work_group_size: 1
    .uses_dynamic_stack: false
    .vgpr_count:     92
    .vgpr_spill_count: 0
    .wavefront_size: 64
  - .agpr_count:     0
    .args:
      - .offset:         0
        .size:           4
        .value_kind:     by_value
      - .offset:         4
        .size:           4
        .value_kind:     by_value
      - .offset:         8
        .size:           16
        .value_kind:     by_value
      - .actual_access:  read_only
        .address_space:  global
        .offset:         24
        .size:           8
        .value_kind:     global_buffer
      - .actual_access:  read_only
        .address_space:  global
        .offset:         32
        .size:           8
        .value_kind:     global_buffer
      - .actual_access:  read_only
        .address_space:  global
        .offset:         40
        .size:           8
        .value_kind:     global_buffer
      - .actual_access:  read_only
        .address_space:  global
        .offset:         48
        .size:           8
        .value_kind:     global_buffer
      - .offset:         56
        .size:           16
        .value_kind:     by_value
      - .address_space:  global
        .offset:         72
        .size:           8
        .value_kind:     global_buffer
      - .offset:         80
        .size:           4
        .value_kind:     by_value
      - .offset:         84
        .size:           1
        .value_kind:     by_value
    .group_segment_fixed_size: 2048
    .kernarg_segment_align: 8
    .kernarg_segment_size: 88
    .language:       OpenCL C
    .language_version:
      - 2
      - 0
    .max_flat_workgroup_size: 128
    .name:           _ZN9rocsparseL19gebsrmvn_2xn_kernelILj128ELj6ELj32E21rocsparse_complex_numIdEEEvi20rocsparse_direction_NS_24const_host_device_scalarIT2_EEPKiS8_PKS5_SA_S6_PS5_21rocsparse_index_base_b
    .private_segment_fixed_size: 0
    .sgpr_count:     26
    .sgpr_spill_count: 0
    .symbol:         _ZN9rocsparseL19gebsrmvn_2xn_kernelILj128ELj6ELj32E21rocsparse_complex_numIdEEEvi20rocsparse_direction_NS_24const_host_device_scalarIT2_EEPKiS8_PKS5_SA_S6_PS5_21rocsparse_index_base_b.kd
    .uniform_work_group_size: 1
    .uses_dynamic_stack: false
    .vgpr_count:     92
    .vgpr_spill_count: 0
    .wavefront_size: 64
  - .agpr_count:     0
    .args:
      - .offset:         0
        .size:           4
        .value_kind:     by_value
      - .offset:         4
        .size:           4
        .value_kind:     by_value
      - .offset:         8
        .size:           16
        .value_kind:     by_value
      - .actual_access:  read_only
        .address_space:  global
        .offset:         24
        .size:           8
        .value_kind:     global_buffer
      - .actual_access:  read_only
        .address_space:  global
        .offset:         32
        .size:           8
        .value_kind:     global_buffer
      - .actual_access:  read_only
        .address_space:  global
        .offset:         40
        .size:           8
        .value_kind:     global_buffer
      - .actual_access:  read_only
        .address_space:  global
        .offset:         48
        .size:           8
        .value_kind:     global_buffer
      - .offset:         56
        .size:           16
        .value_kind:     by_value
      - .address_space:  global
        .offset:         72
        .size:           8
        .value_kind:     global_buffer
      - .offset:         80
        .size:           4
        .value_kind:     by_value
      - .offset:         84
        .size:           1
        .value_kind:     by_value
    .group_segment_fixed_size: 2048
    .kernarg_segment_align: 8
    .kernarg_segment_size: 88
    .language:       OpenCL C
    .language_version:
      - 2
      - 0
    .max_flat_workgroup_size: 128
    .name:           _ZN9rocsparseL19gebsrmvn_2xn_kernelILj128ELj6ELj64E21rocsparse_complex_numIdEEEvi20rocsparse_direction_NS_24const_host_device_scalarIT2_EEPKiS8_PKS5_SA_S6_PS5_21rocsparse_index_base_b
    .private_segment_fixed_size: 0
    .sgpr_count:     26
    .sgpr_spill_count: 0
    .symbol:         _ZN9rocsparseL19gebsrmvn_2xn_kernelILj128ELj6ELj64E21rocsparse_complex_numIdEEEvi20rocsparse_direction_NS_24const_host_device_scalarIT2_EEPKiS8_PKS5_SA_S6_PS5_21rocsparse_index_base_b.kd
    .uniform_work_group_size: 1
    .uses_dynamic_stack: false
    .vgpr_count:     92
    .vgpr_spill_count: 0
    .wavefront_size: 64
  - .agpr_count:     0
    .args:
      - .offset:         0
        .size:           4
        .value_kind:     by_value
      - .offset:         4
        .size:           4
        .value_kind:     by_value
      - .offset:         8
        .size:           16
        .value_kind:     by_value
      - .actual_access:  read_only
        .address_space:  global
        .offset:         24
        .size:           8
        .value_kind:     global_buffer
      - .actual_access:  read_only
        .address_space:  global
        .offset:         32
        .size:           8
        .value_kind:     global_buffer
      - .actual_access:  read_only
        .address_space:  global
        .offset:         40
        .size:           8
        .value_kind:     global_buffer
      - .actual_access:  read_only
        .address_space:  global
        .offset:         48
        .size:           8
        .value_kind:     global_buffer
      - .offset:         56
        .size:           16
        .value_kind:     by_value
      - .address_space:  global
        .offset:         72
        .size:           8
        .value_kind:     global_buffer
      - .offset:         80
        .size:           4
        .value_kind:     by_value
      - .offset:         84
        .size:           1
        .value_kind:     by_value
    .group_segment_fixed_size: 2048
    .kernarg_segment_align: 8
    .kernarg_segment_size: 88
    .language:       OpenCL C
    .language_version:
      - 2
      - 0
    .max_flat_workgroup_size: 128
    .name:           _ZN9rocsparseL19gebsrmvn_2xn_kernelILj128ELj7ELj4E21rocsparse_complex_numIdEEEvi20rocsparse_direction_NS_24const_host_device_scalarIT2_EEPKiS8_PKS5_SA_S6_PS5_21rocsparse_index_base_b
    .private_segment_fixed_size: 0
    .sgpr_count:     26
    .sgpr_spill_count: 0
    .symbol:         _ZN9rocsparseL19gebsrmvn_2xn_kernelILj128ELj7ELj4E21rocsparse_complex_numIdEEEvi20rocsparse_direction_NS_24const_host_device_scalarIT2_EEPKiS8_PKS5_SA_S6_PS5_21rocsparse_index_base_b.kd
    .uniform_work_group_size: 1
    .uses_dynamic_stack: false
    .vgpr_count:     90
    .vgpr_spill_count: 0
    .wavefront_size: 64
  - .agpr_count:     0
    .args:
      - .offset:         0
        .size:           4
        .value_kind:     by_value
      - .offset:         4
        .size:           4
        .value_kind:     by_value
      - .offset:         8
        .size:           16
        .value_kind:     by_value
      - .actual_access:  read_only
        .address_space:  global
        .offset:         24
        .size:           8
        .value_kind:     global_buffer
      - .actual_access:  read_only
        .address_space:  global
        .offset:         32
        .size:           8
        .value_kind:     global_buffer
      - .actual_access:  read_only
        .address_space:  global
        .offset:         40
        .size:           8
        .value_kind:     global_buffer
      - .actual_access:  read_only
        .address_space:  global
        .offset:         48
        .size:           8
        .value_kind:     global_buffer
      - .offset:         56
        .size:           16
        .value_kind:     by_value
      - .address_space:  global
        .offset:         72
        .size:           8
        .value_kind:     global_buffer
      - .offset:         80
        .size:           4
        .value_kind:     by_value
      - .offset:         84
        .size:           1
        .value_kind:     by_value
    .group_segment_fixed_size: 2048
    .kernarg_segment_align: 8
    .kernarg_segment_size: 88
    .language:       OpenCL C
    .language_version:
      - 2
      - 0
    .max_flat_workgroup_size: 128
    .name:           _ZN9rocsparseL19gebsrmvn_2xn_kernelILj128ELj7ELj8E21rocsparse_complex_numIdEEEvi20rocsparse_direction_NS_24const_host_device_scalarIT2_EEPKiS8_PKS5_SA_S6_PS5_21rocsparse_index_base_b
    .private_segment_fixed_size: 0
    .sgpr_count:     26
    .sgpr_spill_count: 0
    .symbol:         _ZN9rocsparseL19gebsrmvn_2xn_kernelILj128ELj7ELj8E21rocsparse_complex_numIdEEEvi20rocsparse_direction_NS_24const_host_device_scalarIT2_EEPKiS8_PKS5_SA_S6_PS5_21rocsparse_index_base_b.kd
    .uniform_work_group_size: 1
    .uses_dynamic_stack: false
    .vgpr_count:     90
    .vgpr_spill_count: 0
    .wavefront_size: 64
  - .agpr_count:     0
    .args:
      - .offset:         0
        .size:           4
        .value_kind:     by_value
      - .offset:         4
        .size:           4
        .value_kind:     by_value
      - .offset:         8
        .size:           16
        .value_kind:     by_value
      - .actual_access:  read_only
        .address_space:  global
        .offset:         24
        .size:           8
        .value_kind:     global_buffer
      - .actual_access:  read_only
        .address_space:  global
        .offset:         32
        .size:           8
        .value_kind:     global_buffer
      - .actual_access:  read_only
        .address_space:  global
        .offset:         40
        .size:           8
        .value_kind:     global_buffer
      - .actual_access:  read_only
        .address_space:  global
        .offset:         48
        .size:           8
        .value_kind:     global_buffer
      - .offset:         56
        .size:           16
        .value_kind:     by_value
      - .address_space:  global
        .offset:         72
        .size:           8
        .value_kind:     global_buffer
      - .offset:         80
        .size:           4
        .value_kind:     by_value
      - .offset:         84
        .size:           1
        .value_kind:     by_value
    .group_segment_fixed_size: 2048
    .kernarg_segment_align: 8
    .kernarg_segment_size: 88
    .language:       OpenCL C
    .language_version:
      - 2
      - 0
    .max_flat_workgroup_size: 128
    .name:           _ZN9rocsparseL19gebsrmvn_2xn_kernelILj128ELj7ELj16E21rocsparse_complex_numIdEEEvi20rocsparse_direction_NS_24const_host_device_scalarIT2_EEPKiS8_PKS5_SA_S6_PS5_21rocsparse_index_base_b
    .private_segment_fixed_size: 0
    .sgpr_count:     26
    .sgpr_spill_count: 0
    .symbol:         _ZN9rocsparseL19gebsrmvn_2xn_kernelILj128ELj7ELj16E21rocsparse_complex_numIdEEEvi20rocsparse_direction_NS_24const_host_device_scalarIT2_EEPKiS8_PKS5_SA_S6_PS5_21rocsparse_index_base_b.kd
    .uniform_work_group_size: 1
    .uses_dynamic_stack: false
    .vgpr_count:     90
    .vgpr_spill_count: 0
    .wavefront_size: 64
  - .agpr_count:     0
    .args:
      - .offset:         0
        .size:           4
        .value_kind:     by_value
      - .offset:         4
        .size:           4
        .value_kind:     by_value
      - .offset:         8
        .size:           16
        .value_kind:     by_value
      - .actual_access:  read_only
        .address_space:  global
        .offset:         24
        .size:           8
        .value_kind:     global_buffer
      - .actual_access:  read_only
        .address_space:  global
        .offset:         32
        .size:           8
        .value_kind:     global_buffer
      - .actual_access:  read_only
        .address_space:  global
        .offset:         40
        .size:           8
        .value_kind:     global_buffer
      - .actual_access:  read_only
        .address_space:  global
        .offset:         48
        .size:           8
        .value_kind:     global_buffer
      - .offset:         56
        .size:           16
        .value_kind:     by_value
      - .address_space:  global
        .offset:         72
        .size:           8
        .value_kind:     global_buffer
      - .offset:         80
        .size:           4
        .value_kind:     by_value
      - .offset:         84
        .size:           1
        .value_kind:     by_value
    .group_segment_fixed_size: 2048
    .kernarg_segment_align: 8
    .kernarg_segment_size: 88
    .language:       OpenCL C
    .language_version:
      - 2
      - 0
    .max_flat_workgroup_size: 128
    .name:           _ZN9rocsparseL19gebsrmvn_2xn_kernelILj128ELj7ELj32E21rocsparse_complex_numIdEEEvi20rocsparse_direction_NS_24const_host_device_scalarIT2_EEPKiS8_PKS5_SA_S6_PS5_21rocsparse_index_base_b
    .private_segment_fixed_size: 0
    .sgpr_count:     26
    .sgpr_spill_count: 0
    .symbol:         _ZN9rocsparseL19gebsrmvn_2xn_kernelILj128ELj7ELj32E21rocsparse_complex_numIdEEEvi20rocsparse_direction_NS_24const_host_device_scalarIT2_EEPKiS8_PKS5_SA_S6_PS5_21rocsparse_index_base_b.kd
    .uniform_work_group_size: 1
    .uses_dynamic_stack: false
    .vgpr_count:     90
    .vgpr_spill_count: 0
    .wavefront_size: 64
  - .agpr_count:     0
    .args:
      - .offset:         0
        .size:           4
        .value_kind:     by_value
      - .offset:         4
        .size:           4
        .value_kind:     by_value
      - .offset:         8
        .size:           16
        .value_kind:     by_value
      - .actual_access:  read_only
        .address_space:  global
        .offset:         24
        .size:           8
        .value_kind:     global_buffer
      - .actual_access:  read_only
        .address_space:  global
        .offset:         32
        .size:           8
        .value_kind:     global_buffer
      - .actual_access:  read_only
        .address_space:  global
        .offset:         40
        .size:           8
        .value_kind:     global_buffer
      - .actual_access:  read_only
        .address_space:  global
        .offset:         48
        .size:           8
        .value_kind:     global_buffer
      - .offset:         56
        .size:           16
        .value_kind:     by_value
      - .address_space:  global
        .offset:         72
        .size:           8
        .value_kind:     global_buffer
      - .offset:         80
        .size:           4
        .value_kind:     by_value
      - .offset:         84
        .size:           1
        .value_kind:     by_value
    .group_segment_fixed_size: 2048
    .kernarg_segment_align: 8
    .kernarg_segment_size: 88
    .language:       OpenCL C
    .language_version:
      - 2
      - 0
    .max_flat_workgroup_size: 128
    .name:           _ZN9rocsparseL19gebsrmvn_2xn_kernelILj128ELj7ELj64E21rocsparse_complex_numIdEEEvi20rocsparse_direction_NS_24const_host_device_scalarIT2_EEPKiS8_PKS5_SA_S6_PS5_21rocsparse_index_base_b
    .private_segment_fixed_size: 0
    .sgpr_count:     26
    .sgpr_spill_count: 0
    .symbol:         _ZN9rocsparseL19gebsrmvn_2xn_kernelILj128ELj7ELj64E21rocsparse_complex_numIdEEEvi20rocsparse_direction_NS_24const_host_device_scalarIT2_EEPKiS8_PKS5_SA_S6_PS5_21rocsparse_index_base_b.kd
    .uniform_work_group_size: 1
    .uses_dynamic_stack: false
    .vgpr_count:     90
    .vgpr_spill_count: 0
    .wavefront_size: 64
  - .agpr_count:     0
    .args:
      - .offset:         0
        .size:           4
        .value_kind:     by_value
      - .offset:         4
        .size:           4
        .value_kind:     by_value
      - .offset:         8
        .size:           16
        .value_kind:     by_value
      - .actual_access:  read_only
        .address_space:  global
        .offset:         24
        .size:           8
        .value_kind:     global_buffer
      - .actual_access:  read_only
        .address_space:  global
        .offset:         32
        .size:           8
        .value_kind:     global_buffer
      - .actual_access:  read_only
        .address_space:  global
        .offset:         40
        .size:           8
        .value_kind:     global_buffer
      - .actual_access:  read_only
        .address_space:  global
        .offset:         48
        .size:           8
        .value_kind:     global_buffer
      - .offset:         56
        .size:           16
        .value_kind:     by_value
      - .address_space:  global
        .offset:         72
        .size:           8
        .value_kind:     global_buffer
      - .offset:         80
        .size:           4
        .value_kind:     by_value
      - .offset:         84
        .size:           1
        .value_kind:     by_value
    .group_segment_fixed_size: 2048
    .kernarg_segment_align: 8
    .kernarg_segment_size: 88
    .language:       OpenCL C
    .language_version:
      - 2
      - 0
    .max_flat_workgroup_size: 128
    .name:           _ZN9rocsparseL19gebsrmvn_2xn_kernelILj128ELj8ELj4E21rocsparse_complex_numIdEEEvi20rocsparse_direction_NS_24const_host_device_scalarIT2_EEPKiS8_PKS5_SA_S6_PS5_21rocsparse_index_base_b
    .private_segment_fixed_size: 0
    .sgpr_count:     26
    .sgpr_spill_count: 0
    .symbol:         _ZN9rocsparseL19gebsrmvn_2xn_kernelILj128ELj8ELj4E21rocsparse_complex_numIdEEEvi20rocsparse_direction_NS_24const_host_device_scalarIT2_EEPKiS8_PKS5_SA_S6_PS5_21rocsparse_index_base_b.kd
    .uniform_work_group_size: 1
    .uses_dynamic_stack: false
    .vgpr_count:     106
    .vgpr_spill_count: 0
    .wavefront_size: 64
  - .agpr_count:     0
    .args:
      - .offset:         0
        .size:           4
        .value_kind:     by_value
      - .offset:         4
        .size:           4
        .value_kind:     by_value
      - .offset:         8
        .size:           16
        .value_kind:     by_value
      - .actual_access:  read_only
        .address_space:  global
        .offset:         24
        .size:           8
        .value_kind:     global_buffer
      - .actual_access:  read_only
        .address_space:  global
        .offset:         32
        .size:           8
        .value_kind:     global_buffer
      - .actual_access:  read_only
        .address_space:  global
        .offset:         40
        .size:           8
        .value_kind:     global_buffer
      - .actual_access:  read_only
        .address_space:  global
        .offset:         48
        .size:           8
        .value_kind:     global_buffer
      - .offset:         56
        .size:           16
        .value_kind:     by_value
      - .address_space:  global
        .offset:         72
        .size:           8
        .value_kind:     global_buffer
      - .offset:         80
        .size:           4
        .value_kind:     by_value
      - .offset:         84
        .size:           1
        .value_kind:     by_value
    .group_segment_fixed_size: 2048
    .kernarg_segment_align: 8
    .kernarg_segment_size: 88
    .language:       OpenCL C
    .language_version:
      - 2
      - 0
    .max_flat_workgroup_size: 128
    .name:           _ZN9rocsparseL19gebsrmvn_2xn_kernelILj128ELj8ELj8E21rocsparse_complex_numIdEEEvi20rocsparse_direction_NS_24const_host_device_scalarIT2_EEPKiS8_PKS5_SA_S6_PS5_21rocsparse_index_base_b
    .private_segment_fixed_size: 0
    .sgpr_count:     26
    .sgpr_spill_count: 0
    .symbol:         _ZN9rocsparseL19gebsrmvn_2xn_kernelILj128ELj8ELj8E21rocsparse_complex_numIdEEEvi20rocsparse_direction_NS_24const_host_device_scalarIT2_EEPKiS8_PKS5_SA_S6_PS5_21rocsparse_index_base_b.kd
    .uniform_work_group_size: 1
    .uses_dynamic_stack: false
    .vgpr_count:     106
    .vgpr_spill_count: 0
    .wavefront_size: 64
  - .agpr_count:     0
    .args:
      - .offset:         0
        .size:           4
        .value_kind:     by_value
      - .offset:         4
        .size:           4
        .value_kind:     by_value
      - .offset:         8
        .size:           16
        .value_kind:     by_value
      - .actual_access:  read_only
        .address_space:  global
        .offset:         24
        .size:           8
        .value_kind:     global_buffer
      - .actual_access:  read_only
        .address_space:  global
        .offset:         32
        .size:           8
        .value_kind:     global_buffer
      - .actual_access:  read_only
        .address_space:  global
        .offset:         40
        .size:           8
        .value_kind:     global_buffer
      - .actual_access:  read_only
        .address_space:  global
        .offset:         48
        .size:           8
        .value_kind:     global_buffer
      - .offset:         56
        .size:           16
        .value_kind:     by_value
      - .address_space:  global
        .offset:         72
        .size:           8
        .value_kind:     global_buffer
      - .offset:         80
        .size:           4
        .value_kind:     by_value
      - .offset:         84
        .size:           1
        .value_kind:     by_value
    .group_segment_fixed_size: 2048
    .kernarg_segment_align: 8
    .kernarg_segment_size: 88
    .language:       OpenCL C
    .language_version:
      - 2
      - 0
    .max_flat_workgroup_size: 128
    .name:           _ZN9rocsparseL19gebsrmvn_2xn_kernelILj128ELj8ELj16E21rocsparse_complex_numIdEEEvi20rocsparse_direction_NS_24const_host_device_scalarIT2_EEPKiS8_PKS5_SA_S6_PS5_21rocsparse_index_base_b
    .private_segment_fixed_size: 0
    .sgpr_count:     26
    .sgpr_spill_count: 0
    .symbol:         _ZN9rocsparseL19gebsrmvn_2xn_kernelILj128ELj8ELj16E21rocsparse_complex_numIdEEEvi20rocsparse_direction_NS_24const_host_device_scalarIT2_EEPKiS8_PKS5_SA_S6_PS5_21rocsparse_index_base_b.kd
    .uniform_work_group_size: 1
    .uses_dynamic_stack: false
    .vgpr_count:     106
    .vgpr_spill_count: 0
    .wavefront_size: 64
  - .agpr_count:     0
    .args:
      - .offset:         0
        .size:           4
        .value_kind:     by_value
      - .offset:         4
        .size:           4
        .value_kind:     by_value
      - .offset:         8
        .size:           16
        .value_kind:     by_value
      - .actual_access:  read_only
        .address_space:  global
        .offset:         24
        .size:           8
        .value_kind:     global_buffer
      - .actual_access:  read_only
        .address_space:  global
        .offset:         32
        .size:           8
        .value_kind:     global_buffer
      - .actual_access:  read_only
        .address_space:  global
        .offset:         40
        .size:           8
        .value_kind:     global_buffer
      - .actual_access:  read_only
        .address_space:  global
        .offset:         48
        .size:           8
        .value_kind:     global_buffer
      - .offset:         56
        .size:           16
        .value_kind:     by_value
      - .address_space:  global
        .offset:         72
        .size:           8
        .value_kind:     global_buffer
      - .offset:         80
        .size:           4
        .value_kind:     by_value
      - .offset:         84
        .size:           1
        .value_kind:     by_value
    .group_segment_fixed_size: 2048
    .kernarg_segment_align: 8
    .kernarg_segment_size: 88
    .language:       OpenCL C
    .language_version:
      - 2
      - 0
    .max_flat_workgroup_size: 128
    .name:           _ZN9rocsparseL19gebsrmvn_2xn_kernelILj128ELj8ELj32E21rocsparse_complex_numIdEEEvi20rocsparse_direction_NS_24const_host_device_scalarIT2_EEPKiS8_PKS5_SA_S6_PS5_21rocsparse_index_base_b
    .private_segment_fixed_size: 0
    .sgpr_count:     26
    .sgpr_spill_count: 0
    .symbol:         _ZN9rocsparseL19gebsrmvn_2xn_kernelILj128ELj8ELj32E21rocsparse_complex_numIdEEEvi20rocsparse_direction_NS_24const_host_device_scalarIT2_EEPKiS8_PKS5_SA_S6_PS5_21rocsparse_index_base_b.kd
    .uniform_work_group_size: 1
    .uses_dynamic_stack: false
    .vgpr_count:     106
    .vgpr_spill_count: 0
    .wavefront_size: 64
  - .agpr_count:     0
    .args:
      - .offset:         0
        .size:           4
        .value_kind:     by_value
      - .offset:         4
        .size:           4
        .value_kind:     by_value
      - .offset:         8
        .size:           16
        .value_kind:     by_value
      - .actual_access:  read_only
        .address_space:  global
        .offset:         24
        .size:           8
        .value_kind:     global_buffer
      - .actual_access:  read_only
        .address_space:  global
        .offset:         32
        .size:           8
        .value_kind:     global_buffer
      - .actual_access:  read_only
        .address_space:  global
        .offset:         40
        .size:           8
        .value_kind:     global_buffer
      - .actual_access:  read_only
        .address_space:  global
        .offset:         48
        .size:           8
        .value_kind:     global_buffer
      - .offset:         56
        .size:           16
        .value_kind:     by_value
      - .address_space:  global
        .offset:         72
        .size:           8
        .value_kind:     global_buffer
      - .offset:         80
        .size:           4
        .value_kind:     by_value
      - .offset:         84
        .size:           1
        .value_kind:     by_value
    .group_segment_fixed_size: 2048
    .kernarg_segment_align: 8
    .kernarg_segment_size: 88
    .language:       OpenCL C
    .language_version:
      - 2
      - 0
    .max_flat_workgroup_size: 128
    .name:           _ZN9rocsparseL19gebsrmvn_2xn_kernelILj128ELj8ELj64E21rocsparse_complex_numIdEEEvi20rocsparse_direction_NS_24const_host_device_scalarIT2_EEPKiS8_PKS5_SA_S6_PS5_21rocsparse_index_base_b
    .private_segment_fixed_size: 0
    .sgpr_count:     26
    .sgpr_spill_count: 0
    .symbol:         _ZN9rocsparseL19gebsrmvn_2xn_kernelILj128ELj8ELj64E21rocsparse_complex_numIdEEEvi20rocsparse_direction_NS_24const_host_device_scalarIT2_EEPKiS8_PKS5_SA_S6_PS5_21rocsparse_index_base_b.kd
    .uniform_work_group_size: 1
    .uses_dynamic_stack: false
    .vgpr_count:     106
    .vgpr_spill_count: 0
    .wavefront_size: 64
  - .agpr_count:     0
    .args:
      - .offset:         0
        .size:           4
        .value_kind:     by_value
      - .offset:         4
        .size:           4
        .value_kind:     by_value
      - .offset:         8
        .size:           16
        .value_kind:     by_value
      - .actual_access:  read_only
        .address_space:  global
        .offset:         24
        .size:           8
        .value_kind:     global_buffer
      - .actual_access:  read_only
        .address_space:  global
        .offset:         32
        .size:           8
        .value_kind:     global_buffer
      - .actual_access:  read_only
        .address_space:  global
        .offset:         40
        .size:           8
        .value_kind:     global_buffer
      - .actual_access:  read_only
        .address_space:  global
        .offset:         48
        .size:           8
        .value_kind:     global_buffer
      - .offset:         56
        .size:           16
        .value_kind:     by_value
      - .address_space:  global
        .offset:         72
        .size:           8
        .value_kind:     global_buffer
      - .offset:         80
        .size:           4
        .value_kind:     by_value
      - .offset:         84
        .size:           1
        .value_kind:     by_value
    .group_segment_fixed_size: 2048
    .kernarg_segment_align: 8
    .kernarg_segment_size: 88
    .language:       OpenCL C
    .language_version:
      - 2
      - 0
    .max_flat_workgroup_size: 128
    .name:           _ZN9rocsparseL19gebsrmvn_2xn_kernelILj128ELj9ELj4E21rocsparse_complex_numIdEEEvi20rocsparse_direction_NS_24const_host_device_scalarIT2_EEPKiS8_PKS5_SA_S6_PS5_21rocsparse_index_base_b
    .private_segment_fixed_size: 0
    .sgpr_count:     26
    .sgpr_spill_count: 0
    .symbol:         _ZN9rocsparseL19gebsrmvn_2xn_kernelILj128ELj9ELj4E21rocsparse_complex_numIdEEEvi20rocsparse_direction_NS_24const_host_device_scalarIT2_EEPKiS8_PKS5_SA_S6_PS5_21rocsparse_index_base_b.kd
    .uniform_work_group_size: 1
    .uses_dynamic_stack: false
    .vgpr_count:     92
    .vgpr_spill_count: 0
    .wavefront_size: 64
  - .agpr_count:     0
    .args:
      - .offset:         0
        .size:           4
        .value_kind:     by_value
      - .offset:         4
        .size:           4
        .value_kind:     by_value
      - .offset:         8
        .size:           16
        .value_kind:     by_value
      - .actual_access:  read_only
        .address_space:  global
        .offset:         24
        .size:           8
        .value_kind:     global_buffer
      - .actual_access:  read_only
        .address_space:  global
        .offset:         32
        .size:           8
        .value_kind:     global_buffer
      - .actual_access:  read_only
        .address_space:  global
        .offset:         40
        .size:           8
        .value_kind:     global_buffer
      - .actual_access:  read_only
        .address_space:  global
        .offset:         48
        .size:           8
        .value_kind:     global_buffer
      - .offset:         56
        .size:           16
        .value_kind:     by_value
      - .address_space:  global
        .offset:         72
        .size:           8
        .value_kind:     global_buffer
      - .offset:         80
        .size:           4
        .value_kind:     by_value
      - .offset:         84
        .size:           1
        .value_kind:     by_value
    .group_segment_fixed_size: 2048
    .kernarg_segment_align: 8
    .kernarg_segment_size: 88
    .language:       OpenCL C
    .language_version:
      - 2
      - 0
    .max_flat_workgroup_size: 128
    .name:           _ZN9rocsparseL19gebsrmvn_2xn_kernelILj128ELj9ELj8E21rocsparse_complex_numIdEEEvi20rocsparse_direction_NS_24const_host_device_scalarIT2_EEPKiS8_PKS5_SA_S6_PS5_21rocsparse_index_base_b
    .private_segment_fixed_size: 0
    .sgpr_count:     26
    .sgpr_spill_count: 0
    .symbol:         _ZN9rocsparseL19gebsrmvn_2xn_kernelILj128ELj9ELj8E21rocsparse_complex_numIdEEEvi20rocsparse_direction_NS_24const_host_device_scalarIT2_EEPKiS8_PKS5_SA_S6_PS5_21rocsparse_index_base_b.kd
    .uniform_work_group_size: 1
    .uses_dynamic_stack: false
    .vgpr_count:     92
    .vgpr_spill_count: 0
    .wavefront_size: 64
  - .agpr_count:     0
    .args:
      - .offset:         0
        .size:           4
        .value_kind:     by_value
      - .offset:         4
        .size:           4
        .value_kind:     by_value
      - .offset:         8
        .size:           16
        .value_kind:     by_value
      - .actual_access:  read_only
        .address_space:  global
        .offset:         24
        .size:           8
        .value_kind:     global_buffer
      - .actual_access:  read_only
        .address_space:  global
        .offset:         32
        .size:           8
        .value_kind:     global_buffer
      - .actual_access:  read_only
        .address_space:  global
        .offset:         40
        .size:           8
        .value_kind:     global_buffer
      - .actual_access:  read_only
        .address_space:  global
        .offset:         48
        .size:           8
        .value_kind:     global_buffer
      - .offset:         56
        .size:           16
        .value_kind:     by_value
      - .address_space:  global
        .offset:         72
        .size:           8
        .value_kind:     global_buffer
      - .offset:         80
        .size:           4
        .value_kind:     by_value
      - .offset:         84
        .size:           1
        .value_kind:     by_value
    .group_segment_fixed_size: 2048
    .kernarg_segment_align: 8
    .kernarg_segment_size: 88
    .language:       OpenCL C
    .language_version:
      - 2
      - 0
    .max_flat_workgroup_size: 128
    .name:           _ZN9rocsparseL19gebsrmvn_2xn_kernelILj128ELj9ELj16E21rocsparse_complex_numIdEEEvi20rocsparse_direction_NS_24const_host_device_scalarIT2_EEPKiS8_PKS5_SA_S6_PS5_21rocsparse_index_base_b
    .private_segment_fixed_size: 0
    .sgpr_count:     26
    .sgpr_spill_count: 0
    .symbol:         _ZN9rocsparseL19gebsrmvn_2xn_kernelILj128ELj9ELj16E21rocsparse_complex_numIdEEEvi20rocsparse_direction_NS_24const_host_device_scalarIT2_EEPKiS8_PKS5_SA_S6_PS5_21rocsparse_index_base_b.kd
    .uniform_work_group_size: 1
    .uses_dynamic_stack: false
    .vgpr_count:     92
    .vgpr_spill_count: 0
    .wavefront_size: 64
  - .agpr_count:     0
    .args:
      - .offset:         0
        .size:           4
        .value_kind:     by_value
      - .offset:         4
        .size:           4
        .value_kind:     by_value
      - .offset:         8
        .size:           16
        .value_kind:     by_value
      - .actual_access:  read_only
        .address_space:  global
        .offset:         24
        .size:           8
        .value_kind:     global_buffer
      - .actual_access:  read_only
        .address_space:  global
        .offset:         32
        .size:           8
        .value_kind:     global_buffer
      - .actual_access:  read_only
        .address_space:  global
        .offset:         40
        .size:           8
        .value_kind:     global_buffer
      - .actual_access:  read_only
        .address_space:  global
        .offset:         48
        .size:           8
        .value_kind:     global_buffer
      - .offset:         56
        .size:           16
        .value_kind:     by_value
      - .address_space:  global
        .offset:         72
        .size:           8
        .value_kind:     global_buffer
      - .offset:         80
        .size:           4
        .value_kind:     by_value
      - .offset:         84
        .size:           1
        .value_kind:     by_value
    .group_segment_fixed_size: 2048
    .kernarg_segment_align: 8
    .kernarg_segment_size: 88
    .language:       OpenCL C
    .language_version:
      - 2
      - 0
    .max_flat_workgroup_size: 128
    .name:           _ZN9rocsparseL19gebsrmvn_2xn_kernelILj128ELj9ELj32E21rocsparse_complex_numIdEEEvi20rocsparse_direction_NS_24const_host_device_scalarIT2_EEPKiS8_PKS5_SA_S6_PS5_21rocsparse_index_base_b
    .private_segment_fixed_size: 0
    .sgpr_count:     26
    .sgpr_spill_count: 0
    .symbol:         _ZN9rocsparseL19gebsrmvn_2xn_kernelILj128ELj9ELj32E21rocsparse_complex_numIdEEEvi20rocsparse_direction_NS_24const_host_device_scalarIT2_EEPKiS8_PKS5_SA_S6_PS5_21rocsparse_index_base_b.kd
    .uniform_work_group_size: 1
    .uses_dynamic_stack: false
    .vgpr_count:     92
    .vgpr_spill_count: 0
    .wavefront_size: 64
  - .agpr_count:     0
    .args:
      - .offset:         0
        .size:           4
        .value_kind:     by_value
      - .offset:         4
        .size:           4
        .value_kind:     by_value
      - .offset:         8
        .size:           16
        .value_kind:     by_value
      - .actual_access:  read_only
        .address_space:  global
        .offset:         24
        .size:           8
        .value_kind:     global_buffer
      - .actual_access:  read_only
        .address_space:  global
        .offset:         32
        .size:           8
        .value_kind:     global_buffer
      - .actual_access:  read_only
        .address_space:  global
        .offset:         40
        .size:           8
        .value_kind:     global_buffer
      - .actual_access:  read_only
        .address_space:  global
        .offset:         48
        .size:           8
        .value_kind:     global_buffer
      - .offset:         56
        .size:           16
        .value_kind:     by_value
      - .address_space:  global
        .offset:         72
        .size:           8
        .value_kind:     global_buffer
      - .offset:         80
        .size:           4
        .value_kind:     by_value
      - .offset:         84
        .size:           1
        .value_kind:     by_value
    .group_segment_fixed_size: 2048
    .kernarg_segment_align: 8
    .kernarg_segment_size: 88
    .language:       OpenCL C
    .language_version:
      - 2
      - 0
    .max_flat_workgroup_size: 128
    .name:           _ZN9rocsparseL19gebsrmvn_2xn_kernelILj128ELj9ELj64E21rocsparse_complex_numIdEEEvi20rocsparse_direction_NS_24const_host_device_scalarIT2_EEPKiS8_PKS5_SA_S6_PS5_21rocsparse_index_base_b
    .private_segment_fixed_size: 0
    .sgpr_count:     26
    .sgpr_spill_count: 0
    .symbol:         _ZN9rocsparseL19gebsrmvn_2xn_kernelILj128ELj9ELj64E21rocsparse_complex_numIdEEEvi20rocsparse_direction_NS_24const_host_device_scalarIT2_EEPKiS8_PKS5_SA_S6_PS5_21rocsparse_index_base_b.kd
    .uniform_work_group_size: 1
    .uses_dynamic_stack: false
    .vgpr_count:     92
    .vgpr_spill_count: 0
    .wavefront_size: 64
  - .agpr_count:     0
    .args:
      - .offset:         0
        .size:           4
        .value_kind:     by_value
      - .offset:         4
        .size:           4
        .value_kind:     by_value
      - .offset:         8
        .size:           16
        .value_kind:     by_value
      - .actual_access:  read_only
        .address_space:  global
        .offset:         24
        .size:           8
        .value_kind:     global_buffer
      - .actual_access:  read_only
        .address_space:  global
        .offset:         32
        .size:           8
        .value_kind:     global_buffer
      - .actual_access:  read_only
        .address_space:  global
        .offset:         40
        .size:           8
        .value_kind:     global_buffer
      - .actual_access:  read_only
        .address_space:  global
        .offset:         48
        .size:           8
        .value_kind:     global_buffer
      - .offset:         56
        .size:           16
        .value_kind:     by_value
      - .address_space:  global
        .offset:         72
        .size:           8
        .value_kind:     global_buffer
      - .offset:         80
        .size:           4
        .value_kind:     by_value
      - .offset:         84
        .size:           1
        .value_kind:     by_value
    .group_segment_fixed_size: 2048
    .kernarg_segment_align: 8
    .kernarg_segment_size: 88
    .language:       OpenCL C
    .language_version:
      - 2
      - 0
    .max_flat_workgroup_size: 128
    .name:           _ZN9rocsparseL19gebsrmvn_2xn_kernelILj128ELj10ELj4E21rocsparse_complex_numIdEEEvi20rocsparse_direction_NS_24const_host_device_scalarIT2_EEPKiS8_PKS5_SA_S6_PS5_21rocsparse_index_base_b
    .private_segment_fixed_size: 0
    .sgpr_count:     26
    .sgpr_spill_count: 0
    .symbol:         _ZN9rocsparseL19gebsrmvn_2xn_kernelILj128ELj10ELj4E21rocsparse_complex_numIdEEEvi20rocsparse_direction_NS_24const_host_device_scalarIT2_EEPKiS8_PKS5_SA_S6_PS5_21rocsparse_index_base_b.kd
    .uniform_work_group_size: 1
    .uses_dynamic_stack: false
    .vgpr_count:     92
    .vgpr_spill_count: 0
    .wavefront_size: 64
  - .agpr_count:     0
    .args:
      - .offset:         0
        .size:           4
        .value_kind:     by_value
      - .offset:         4
        .size:           4
        .value_kind:     by_value
      - .offset:         8
        .size:           16
        .value_kind:     by_value
      - .actual_access:  read_only
        .address_space:  global
        .offset:         24
        .size:           8
        .value_kind:     global_buffer
      - .actual_access:  read_only
        .address_space:  global
        .offset:         32
        .size:           8
        .value_kind:     global_buffer
      - .actual_access:  read_only
        .address_space:  global
        .offset:         40
        .size:           8
        .value_kind:     global_buffer
      - .actual_access:  read_only
        .address_space:  global
        .offset:         48
        .size:           8
        .value_kind:     global_buffer
      - .offset:         56
        .size:           16
        .value_kind:     by_value
      - .address_space:  global
        .offset:         72
        .size:           8
        .value_kind:     global_buffer
      - .offset:         80
        .size:           4
        .value_kind:     by_value
      - .offset:         84
        .size:           1
        .value_kind:     by_value
    .group_segment_fixed_size: 2048
    .kernarg_segment_align: 8
    .kernarg_segment_size: 88
    .language:       OpenCL C
    .language_version:
      - 2
      - 0
    .max_flat_workgroup_size: 128
    .name:           _ZN9rocsparseL19gebsrmvn_2xn_kernelILj128ELj10ELj8E21rocsparse_complex_numIdEEEvi20rocsparse_direction_NS_24const_host_device_scalarIT2_EEPKiS8_PKS5_SA_S6_PS5_21rocsparse_index_base_b
    .private_segment_fixed_size: 0
    .sgpr_count:     26
    .sgpr_spill_count: 0
    .symbol:         _ZN9rocsparseL19gebsrmvn_2xn_kernelILj128ELj10ELj8E21rocsparse_complex_numIdEEEvi20rocsparse_direction_NS_24const_host_device_scalarIT2_EEPKiS8_PKS5_SA_S6_PS5_21rocsparse_index_base_b.kd
    .uniform_work_group_size: 1
    .uses_dynamic_stack: false
    .vgpr_count:     92
    .vgpr_spill_count: 0
    .wavefront_size: 64
  - .agpr_count:     0
    .args:
      - .offset:         0
        .size:           4
        .value_kind:     by_value
      - .offset:         4
        .size:           4
        .value_kind:     by_value
      - .offset:         8
        .size:           16
        .value_kind:     by_value
      - .actual_access:  read_only
        .address_space:  global
        .offset:         24
        .size:           8
        .value_kind:     global_buffer
      - .actual_access:  read_only
        .address_space:  global
        .offset:         32
        .size:           8
        .value_kind:     global_buffer
      - .actual_access:  read_only
        .address_space:  global
        .offset:         40
        .size:           8
        .value_kind:     global_buffer
      - .actual_access:  read_only
        .address_space:  global
        .offset:         48
        .size:           8
        .value_kind:     global_buffer
      - .offset:         56
        .size:           16
        .value_kind:     by_value
      - .address_space:  global
        .offset:         72
        .size:           8
        .value_kind:     global_buffer
      - .offset:         80
        .size:           4
        .value_kind:     by_value
      - .offset:         84
        .size:           1
        .value_kind:     by_value
    .group_segment_fixed_size: 2048
    .kernarg_segment_align: 8
    .kernarg_segment_size: 88
    .language:       OpenCL C
    .language_version:
      - 2
      - 0
    .max_flat_workgroup_size: 128
    .name:           _ZN9rocsparseL19gebsrmvn_2xn_kernelILj128ELj10ELj16E21rocsparse_complex_numIdEEEvi20rocsparse_direction_NS_24const_host_device_scalarIT2_EEPKiS8_PKS5_SA_S6_PS5_21rocsparse_index_base_b
    .private_segment_fixed_size: 0
    .sgpr_count:     26
    .sgpr_spill_count: 0
    .symbol:         _ZN9rocsparseL19gebsrmvn_2xn_kernelILj128ELj10ELj16E21rocsparse_complex_numIdEEEvi20rocsparse_direction_NS_24const_host_device_scalarIT2_EEPKiS8_PKS5_SA_S6_PS5_21rocsparse_index_base_b.kd
    .uniform_work_group_size: 1
    .uses_dynamic_stack: false
    .vgpr_count:     92
    .vgpr_spill_count: 0
    .wavefront_size: 64
  - .agpr_count:     0
    .args:
      - .offset:         0
        .size:           4
        .value_kind:     by_value
      - .offset:         4
        .size:           4
        .value_kind:     by_value
      - .offset:         8
        .size:           16
        .value_kind:     by_value
      - .actual_access:  read_only
        .address_space:  global
        .offset:         24
        .size:           8
        .value_kind:     global_buffer
      - .actual_access:  read_only
        .address_space:  global
        .offset:         32
        .size:           8
        .value_kind:     global_buffer
      - .actual_access:  read_only
        .address_space:  global
        .offset:         40
        .size:           8
        .value_kind:     global_buffer
      - .actual_access:  read_only
        .address_space:  global
        .offset:         48
        .size:           8
        .value_kind:     global_buffer
      - .offset:         56
        .size:           16
        .value_kind:     by_value
      - .address_space:  global
        .offset:         72
        .size:           8
        .value_kind:     global_buffer
      - .offset:         80
        .size:           4
        .value_kind:     by_value
      - .offset:         84
        .size:           1
        .value_kind:     by_value
    .group_segment_fixed_size: 2048
    .kernarg_segment_align: 8
    .kernarg_segment_size: 88
    .language:       OpenCL C
    .language_version:
      - 2
      - 0
    .max_flat_workgroup_size: 128
    .name:           _ZN9rocsparseL19gebsrmvn_2xn_kernelILj128ELj10ELj32E21rocsparse_complex_numIdEEEvi20rocsparse_direction_NS_24const_host_device_scalarIT2_EEPKiS8_PKS5_SA_S6_PS5_21rocsparse_index_base_b
    .private_segment_fixed_size: 0
    .sgpr_count:     26
    .sgpr_spill_count: 0
    .symbol:         _ZN9rocsparseL19gebsrmvn_2xn_kernelILj128ELj10ELj32E21rocsparse_complex_numIdEEEvi20rocsparse_direction_NS_24const_host_device_scalarIT2_EEPKiS8_PKS5_SA_S6_PS5_21rocsparse_index_base_b.kd
    .uniform_work_group_size: 1
    .uses_dynamic_stack: false
    .vgpr_count:     92
    .vgpr_spill_count: 0
    .wavefront_size: 64
  - .agpr_count:     0
    .args:
      - .offset:         0
        .size:           4
        .value_kind:     by_value
      - .offset:         4
        .size:           4
        .value_kind:     by_value
      - .offset:         8
        .size:           16
        .value_kind:     by_value
      - .actual_access:  read_only
        .address_space:  global
        .offset:         24
        .size:           8
        .value_kind:     global_buffer
      - .actual_access:  read_only
        .address_space:  global
        .offset:         32
        .size:           8
        .value_kind:     global_buffer
      - .actual_access:  read_only
        .address_space:  global
        .offset:         40
        .size:           8
        .value_kind:     global_buffer
      - .actual_access:  read_only
        .address_space:  global
        .offset:         48
        .size:           8
        .value_kind:     global_buffer
      - .offset:         56
        .size:           16
        .value_kind:     by_value
      - .address_space:  global
        .offset:         72
        .size:           8
        .value_kind:     global_buffer
      - .offset:         80
        .size:           4
        .value_kind:     by_value
      - .offset:         84
        .size:           1
        .value_kind:     by_value
    .group_segment_fixed_size: 2048
    .kernarg_segment_align: 8
    .kernarg_segment_size: 88
    .language:       OpenCL C
    .language_version:
      - 2
      - 0
    .max_flat_workgroup_size: 128
    .name:           _ZN9rocsparseL19gebsrmvn_2xn_kernelILj128ELj10ELj64E21rocsparse_complex_numIdEEEvi20rocsparse_direction_NS_24const_host_device_scalarIT2_EEPKiS8_PKS5_SA_S6_PS5_21rocsparse_index_base_b
    .private_segment_fixed_size: 0
    .sgpr_count:     26
    .sgpr_spill_count: 0
    .symbol:         _ZN9rocsparseL19gebsrmvn_2xn_kernelILj128ELj10ELj64E21rocsparse_complex_numIdEEEvi20rocsparse_direction_NS_24const_host_device_scalarIT2_EEPKiS8_PKS5_SA_S6_PS5_21rocsparse_index_base_b.kd
    .uniform_work_group_size: 1
    .uses_dynamic_stack: false
    .vgpr_count:     92
    .vgpr_spill_count: 0
    .wavefront_size: 64
  - .agpr_count:     0
    .args:
      - .offset:         0
        .size:           4
        .value_kind:     by_value
      - .offset:         4
        .size:           4
        .value_kind:     by_value
      - .offset:         8
        .size:           16
        .value_kind:     by_value
      - .actual_access:  read_only
        .address_space:  global
        .offset:         24
        .size:           8
        .value_kind:     global_buffer
      - .actual_access:  read_only
        .address_space:  global
        .offset:         32
        .size:           8
        .value_kind:     global_buffer
      - .actual_access:  read_only
        .address_space:  global
        .offset:         40
        .size:           8
        .value_kind:     global_buffer
      - .actual_access:  read_only
        .address_space:  global
        .offset:         48
        .size:           8
        .value_kind:     global_buffer
      - .offset:         56
        .size:           16
        .value_kind:     by_value
      - .address_space:  global
        .offset:         72
        .size:           8
        .value_kind:     global_buffer
      - .offset:         80
        .size:           4
        .value_kind:     by_value
      - .offset:         84
        .size:           1
        .value_kind:     by_value
    .group_segment_fixed_size: 2048
    .kernarg_segment_align: 8
    .kernarg_segment_size: 88
    .language:       OpenCL C
    .language_version:
      - 2
      - 0
    .max_flat_workgroup_size: 128
    .name:           _ZN9rocsparseL19gebsrmvn_2xn_kernelILj128ELj11ELj4E21rocsparse_complex_numIdEEEvi20rocsparse_direction_NS_24const_host_device_scalarIT2_EEPKiS8_PKS5_SA_S6_PS5_21rocsparse_index_base_b
    .private_segment_fixed_size: 0
    .sgpr_count:     26
    .sgpr_spill_count: 0
    .symbol:         _ZN9rocsparseL19gebsrmvn_2xn_kernelILj128ELj11ELj4E21rocsparse_complex_numIdEEEvi20rocsparse_direction_NS_24const_host_device_scalarIT2_EEPKiS8_PKS5_SA_S6_PS5_21rocsparse_index_base_b.kd
    .uniform_work_group_size: 1
    .uses_dynamic_stack: false
    .vgpr_count:     92
    .vgpr_spill_count: 0
    .wavefront_size: 64
  - .agpr_count:     0
    .args:
      - .offset:         0
        .size:           4
        .value_kind:     by_value
      - .offset:         4
        .size:           4
        .value_kind:     by_value
      - .offset:         8
        .size:           16
        .value_kind:     by_value
      - .actual_access:  read_only
        .address_space:  global
        .offset:         24
        .size:           8
        .value_kind:     global_buffer
      - .actual_access:  read_only
        .address_space:  global
        .offset:         32
        .size:           8
        .value_kind:     global_buffer
      - .actual_access:  read_only
        .address_space:  global
        .offset:         40
        .size:           8
        .value_kind:     global_buffer
      - .actual_access:  read_only
        .address_space:  global
        .offset:         48
        .size:           8
        .value_kind:     global_buffer
      - .offset:         56
        .size:           16
        .value_kind:     by_value
      - .address_space:  global
        .offset:         72
        .size:           8
        .value_kind:     global_buffer
      - .offset:         80
        .size:           4
        .value_kind:     by_value
      - .offset:         84
        .size:           1
        .value_kind:     by_value
    .group_segment_fixed_size: 2048
    .kernarg_segment_align: 8
    .kernarg_segment_size: 88
    .language:       OpenCL C
    .language_version:
      - 2
      - 0
    .max_flat_workgroup_size: 128
    .name:           _ZN9rocsparseL19gebsrmvn_2xn_kernelILj128ELj11ELj8E21rocsparse_complex_numIdEEEvi20rocsparse_direction_NS_24const_host_device_scalarIT2_EEPKiS8_PKS5_SA_S6_PS5_21rocsparse_index_base_b
    .private_segment_fixed_size: 0
    .sgpr_count:     26
    .sgpr_spill_count: 0
    .symbol:         _ZN9rocsparseL19gebsrmvn_2xn_kernelILj128ELj11ELj8E21rocsparse_complex_numIdEEEvi20rocsparse_direction_NS_24const_host_device_scalarIT2_EEPKiS8_PKS5_SA_S6_PS5_21rocsparse_index_base_b.kd
    .uniform_work_group_size: 1
    .uses_dynamic_stack: false
    .vgpr_count:     92
    .vgpr_spill_count: 0
    .wavefront_size: 64
  - .agpr_count:     0
    .args:
      - .offset:         0
        .size:           4
        .value_kind:     by_value
      - .offset:         4
        .size:           4
        .value_kind:     by_value
      - .offset:         8
        .size:           16
        .value_kind:     by_value
      - .actual_access:  read_only
        .address_space:  global
        .offset:         24
        .size:           8
        .value_kind:     global_buffer
      - .actual_access:  read_only
        .address_space:  global
        .offset:         32
        .size:           8
        .value_kind:     global_buffer
      - .actual_access:  read_only
        .address_space:  global
        .offset:         40
        .size:           8
        .value_kind:     global_buffer
      - .actual_access:  read_only
        .address_space:  global
        .offset:         48
        .size:           8
        .value_kind:     global_buffer
      - .offset:         56
        .size:           16
        .value_kind:     by_value
      - .address_space:  global
        .offset:         72
        .size:           8
        .value_kind:     global_buffer
      - .offset:         80
        .size:           4
        .value_kind:     by_value
      - .offset:         84
        .size:           1
        .value_kind:     by_value
    .group_segment_fixed_size: 2048
    .kernarg_segment_align: 8
    .kernarg_segment_size: 88
    .language:       OpenCL C
    .language_version:
      - 2
      - 0
    .max_flat_workgroup_size: 128
    .name:           _ZN9rocsparseL19gebsrmvn_2xn_kernelILj128ELj11ELj16E21rocsparse_complex_numIdEEEvi20rocsparse_direction_NS_24const_host_device_scalarIT2_EEPKiS8_PKS5_SA_S6_PS5_21rocsparse_index_base_b
    .private_segment_fixed_size: 0
    .sgpr_count:     26
    .sgpr_spill_count: 0
    .symbol:         _ZN9rocsparseL19gebsrmvn_2xn_kernelILj128ELj11ELj16E21rocsparse_complex_numIdEEEvi20rocsparse_direction_NS_24const_host_device_scalarIT2_EEPKiS8_PKS5_SA_S6_PS5_21rocsparse_index_base_b.kd
    .uniform_work_group_size: 1
    .uses_dynamic_stack: false
    .vgpr_count:     92
    .vgpr_spill_count: 0
    .wavefront_size: 64
  - .agpr_count:     0
    .args:
      - .offset:         0
        .size:           4
        .value_kind:     by_value
      - .offset:         4
        .size:           4
        .value_kind:     by_value
      - .offset:         8
        .size:           16
        .value_kind:     by_value
      - .actual_access:  read_only
        .address_space:  global
        .offset:         24
        .size:           8
        .value_kind:     global_buffer
      - .actual_access:  read_only
        .address_space:  global
        .offset:         32
        .size:           8
        .value_kind:     global_buffer
      - .actual_access:  read_only
        .address_space:  global
        .offset:         40
        .size:           8
        .value_kind:     global_buffer
      - .actual_access:  read_only
        .address_space:  global
        .offset:         48
        .size:           8
        .value_kind:     global_buffer
      - .offset:         56
        .size:           16
        .value_kind:     by_value
      - .address_space:  global
        .offset:         72
        .size:           8
        .value_kind:     global_buffer
      - .offset:         80
        .size:           4
        .value_kind:     by_value
      - .offset:         84
        .size:           1
        .value_kind:     by_value
    .group_segment_fixed_size: 2048
    .kernarg_segment_align: 8
    .kernarg_segment_size: 88
    .language:       OpenCL C
    .language_version:
      - 2
      - 0
    .max_flat_workgroup_size: 128
    .name:           _ZN9rocsparseL19gebsrmvn_2xn_kernelILj128ELj11ELj32E21rocsparse_complex_numIdEEEvi20rocsparse_direction_NS_24const_host_device_scalarIT2_EEPKiS8_PKS5_SA_S6_PS5_21rocsparse_index_base_b
    .private_segment_fixed_size: 0
    .sgpr_count:     26
    .sgpr_spill_count: 0
    .symbol:         _ZN9rocsparseL19gebsrmvn_2xn_kernelILj128ELj11ELj32E21rocsparse_complex_numIdEEEvi20rocsparse_direction_NS_24const_host_device_scalarIT2_EEPKiS8_PKS5_SA_S6_PS5_21rocsparse_index_base_b.kd
    .uniform_work_group_size: 1
    .uses_dynamic_stack: false
    .vgpr_count:     92
    .vgpr_spill_count: 0
    .wavefront_size: 64
  - .agpr_count:     0
    .args:
      - .offset:         0
        .size:           4
        .value_kind:     by_value
      - .offset:         4
        .size:           4
        .value_kind:     by_value
      - .offset:         8
        .size:           16
        .value_kind:     by_value
      - .actual_access:  read_only
        .address_space:  global
        .offset:         24
        .size:           8
        .value_kind:     global_buffer
      - .actual_access:  read_only
        .address_space:  global
        .offset:         32
        .size:           8
        .value_kind:     global_buffer
      - .actual_access:  read_only
        .address_space:  global
        .offset:         40
        .size:           8
        .value_kind:     global_buffer
      - .actual_access:  read_only
        .address_space:  global
        .offset:         48
        .size:           8
        .value_kind:     global_buffer
      - .offset:         56
        .size:           16
        .value_kind:     by_value
      - .address_space:  global
        .offset:         72
        .size:           8
        .value_kind:     global_buffer
      - .offset:         80
        .size:           4
        .value_kind:     by_value
      - .offset:         84
        .size:           1
        .value_kind:     by_value
    .group_segment_fixed_size: 2048
    .kernarg_segment_align: 8
    .kernarg_segment_size: 88
    .language:       OpenCL C
    .language_version:
      - 2
      - 0
    .max_flat_workgroup_size: 128
    .name:           _ZN9rocsparseL19gebsrmvn_2xn_kernelILj128ELj11ELj64E21rocsparse_complex_numIdEEEvi20rocsparse_direction_NS_24const_host_device_scalarIT2_EEPKiS8_PKS5_SA_S6_PS5_21rocsparse_index_base_b
    .private_segment_fixed_size: 0
    .sgpr_count:     26
    .sgpr_spill_count: 0
    .symbol:         _ZN9rocsparseL19gebsrmvn_2xn_kernelILj128ELj11ELj64E21rocsparse_complex_numIdEEEvi20rocsparse_direction_NS_24const_host_device_scalarIT2_EEPKiS8_PKS5_SA_S6_PS5_21rocsparse_index_base_b.kd
    .uniform_work_group_size: 1
    .uses_dynamic_stack: false
    .vgpr_count:     92
    .vgpr_spill_count: 0
    .wavefront_size: 64
  - .agpr_count:     0
    .args:
      - .offset:         0
        .size:           4
        .value_kind:     by_value
      - .offset:         4
        .size:           4
        .value_kind:     by_value
      - .offset:         8
        .size:           16
        .value_kind:     by_value
      - .actual_access:  read_only
        .address_space:  global
        .offset:         24
        .size:           8
        .value_kind:     global_buffer
      - .actual_access:  read_only
        .address_space:  global
        .offset:         32
        .size:           8
        .value_kind:     global_buffer
      - .actual_access:  read_only
        .address_space:  global
        .offset:         40
        .size:           8
        .value_kind:     global_buffer
      - .actual_access:  read_only
        .address_space:  global
        .offset:         48
        .size:           8
        .value_kind:     global_buffer
      - .offset:         56
        .size:           16
        .value_kind:     by_value
      - .address_space:  global
        .offset:         72
        .size:           8
        .value_kind:     global_buffer
      - .offset:         80
        .size:           4
        .value_kind:     by_value
      - .offset:         84
        .size:           1
        .value_kind:     by_value
    .group_segment_fixed_size: 2048
    .kernarg_segment_align: 8
    .kernarg_segment_size: 88
    .language:       OpenCL C
    .language_version:
      - 2
      - 0
    .max_flat_workgroup_size: 128
    .name:           _ZN9rocsparseL19gebsrmvn_2xn_kernelILj128ELj12ELj4E21rocsparse_complex_numIdEEEvi20rocsparse_direction_NS_24const_host_device_scalarIT2_EEPKiS8_PKS5_SA_S6_PS5_21rocsparse_index_base_b
    .private_segment_fixed_size: 0
    .sgpr_count:     26
    .sgpr_spill_count: 0
    .symbol:         _ZN9rocsparseL19gebsrmvn_2xn_kernelILj128ELj12ELj4E21rocsparse_complex_numIdEEEvi20rocsparse_direction_NS_24const_host_device_scalarIT2_EEPKiS8_PKS5_SA_S6_PS5_21rocsparse_index_base_b.kd
    .uniform_work_group_size: 1
    .uses_dynamic_stack: false
    .vgpr_count:     92
    .vgpr_spill_count: 0
    .wavefront_size: 64
  - .agpr_count:     0
    .args:
      - .offset:         0
        .size:           4
        .value_kind:     by_value
      - .offset:         4
        .size:           4
        .value_kind:     by_value
      - .offset:         8
        .size:           16
        .value_kind:     by_value
      - .actual_access:  read_only
        .address_space:  global
        .offset:         24
        .size:           8
        .value_kind:     global_buffer
      - .actual_access:  read_only
        .address_space:  global
        .offset:         32
        .size:           8
        .value_kind:     global_buffer
      - .actual_access:  read_only
        .address_space:  global
        .offset:         40
        .size:           8
        .value_kind:     global_buffer
      - .actual_access:  read_only
        .address_space:  global
        .offset:         48
        .size:           8
        .value_kind:     global_buffer
      - .offset:         56
        .size:           16
        .value_kind:     by_value
      - .address_space:  global
        .offset:         72
        .size:           8
        .value_kind:     global_buffer
      - .offset:         80
        .size:           4
        .value_kind:     by_value
      - .offset:         84
        .size:           1
        .value_kind:     by_value
    .group_segment_fixed_size: 2048
    .kernarg_segment_align: 8
    .kernarg_segment_size: 88
    .language:       OpenCL C
    .language_version:
      - 2
      - 0
    .max_flat_workgroup_size: 128
    .name:           _ZN9rocsparseL19gebsrmvn_2xn_kernelILj128ELj12ELj8E21rocsparse_complex_numIdEEEvi20rocsparse_direction_NS_24const_host_device_scalarIT2_EEPKiS8_PKS5_SA_S6_PS5_21rocsparse_index_base_b
    .private_segment_fixed_size: 0
    .sgpr_count:     26
    .sgpr_spill_count: 0
    .symbol:         _ZN9rocsparseL19gebsrmvn_2xn_kernelILj128ELj12ELj8E21rocsparse_complex_numIdEEEvi20rocsparse_direction_NS_24const_host_device_scalarIT2_EEPKiS8_PKS5_SA_S6_PS5_21rocsparse_index_base_b.kd
    .uniform_work_group_size: 1
    .uses_dynamic_stack: false
    .vgpr_count:     92
    .vgpr_spill_count: 0
    .wavefront_size: 64
  - .agpr_count:     0
    .args:
      - .offset:         0
        .size:           4
        .value_kind:     by_value
      - .offset:         4
        .size:           4
        .value_kind:     by_value
      - .offset:         8
        .size:           16
        .value_kind:     by_value
      - .actual_access:  read_only
        .address_space:  global
        .offset:         24
        .size:           8
        .value_kind:     global_buffer
      - .actual_access:  read_only
        .address_space:  global
        .offset:         32
        .size:           8
        .value_kind:     global_buffer
      - .actual_access:  read_only
        .address_space:  global
        .offset:         40
        .size:           8
        .value_kind:     global_buffer
      - .actual_access:  read_only
        .address_space:  global
        .offset:         48
        .size:           8
        .value_kind:     global_buffer
      - .offset:         56
        .size:           16
        .value_kind:     by_value
      - .address_space:  global
        .offset:         72
        .size:           8
        .value_kind:     global_buffer
      - .offset:         80
        .size:           4
        .value_kind:     by_value
      - .offset:         84
        .size:           1
        .value_kind:     by_value
    .group_segment_fixed_size: 2048
    .kernarg_segment_align: 8
    .kernarg_segment_size: 88
    .language:       OpenCL C
    .language_version:
      - 2
      - 0
    .max_flat_workgroup_size: 128
    .name:           _ZN9rocsparseL19gebsrmvn_2xn_kernelILj128ELj12ELj16E21rocsparse_complex_numIdEEEvi20rocsparse_direction_NS_24const_host_device_scalarIT2_EEPKiS8_PKS5_SA_S6_PS5_21rocsparse_index_base_b
    .private_segment_fixed_size: 0
    .sgpr_count:     26
    .sgpr_spill_count: 0
    .symbol:         _ZN9rocsparseL19gebsrmvn_2xn_kernelILj128ELj12ELj16E21rocsparse_complex_numIdEEEvi20rocsparse_direction_NS_24const_host_device_scalarIT2_EEPKiS8_PKS5_SA_S6_PS5_21rocsparse_index_base_b.kd
    .uniform_work_group_size: 1
    .uses_dynamic_stack: false
    .vgpr_count:     92
    .vgpr_spill_count: 0
    .wavefront_size: 64
  - .agpr_count:     0
    .args:
      - .offset:         0
        .size:           4
        .value_kind:     by_value
      - .offset:         4
        .size:           4
        .value_kind:     by_value
      - .offset:         8
        .size:           16
        .value_kind:     by_value
      - .actual_access:  read_only
        .address_space:  global
        .offset:         24
        .size:           8
        .value_kind:     global_buffer
      - .actual_access:  read_only
        .address_space:  global
        .offset:         32
        .size:           8
        .value_kind:     global_buffer
      - .actual_access:  read_only
        .address_space:  global
        .offset:         40
        .size:           8
        .value_kind:     global_buffer
      - .actual_access:  read_only
        .address_space:  global
        .offset:         48
        .size:           8
        .value_kind:     global_buffer
      - .offset:         56
        .size:           16
        .value_kind:     by_value
      - .address_space:  global
        .offset:         72
        .size:           8
        .value_kind:     global_buffer
      - .offset:         80
        .size:           4
        .value_kind:     by_value
      - .offset:         84
        .size:           1
        .value_kind:     by_value
    .group_segment_fixed_size: 2048
    .kernarg_segment_align: 8
    .kernarg_segment_size: 88
    .language:       OpenCL C
    .language_version:
      - 2
      - 0
    .max_flat_workgroup_size: 128
    .name:           _ZN9rocsparseL19gebsrmvn_2xn_kernelILj128ELj12ELj32E21rocsparse_complex_numIdEEEvi20rocsparse_direction_NS_24const_host_device_scalarIT2_EEPKiS8_PKS5_SA_S6_PS5_21rocsparse_index_base_b
    .private_segment_fixed_size: 0
    .sgpr_count:     26
    .sgpr_spill_count: 0
    .symbol:         _ZN9rocsparseL19gebsrmvn_2xn_kernelILj128ELj12ELj32E21rocsparse_complex_numIdEEEvi20rocsparse_direction_NS_24const_host_device_scalarIT2_EEPKiS8_PKS5_SA_S6_PS5_21rocsparse_index_base_b.kd
    .uniform_work_group_size: 1
    .uses_dynamic_stack: false
    .vgpr_count:     92
    .vgpr_spill_count: 0
    .wavefront_size: 64
  - .agpr_count:     0
    .args:
      - .offset:         0
        .size:           4
        .value_kind:     by_value
      - .offset:         4
        .size:           4
        .value_kind:     by_value
      - .offset:         8
        .size:           16
        .value_kind:     by_value
      - .actual_access:  read_only
        .address_space:  global
        .offset:         24
        .size:           8
        .value_kind:     global_buffer
      - .actual_access:  read_only
        .address_space:  global
        .offset:         32
        .size:           8
        .value_kind:     global_buffer
      - .actual_access:  read_only
        .address_space:  global
        .offset:         40
        .size:           8
        .value_kind:     global_buffer
      - .actual_access:  read_only
        .address_space:  global
        .offset:         48
        .size:           8
        .value_kind:     global_buffer
      - .offset:         56
        .size:           16
        .value_kind:     by_value
      - .address_space:  global
        .offset:         72
        .size:           8
        .value_kind:     global_buffer
      - .offset:         80
        .size:           4
        .value_kind:     by_value
      - .offset:         84
        .size:           1
        .value_kind:     by_value
    .group_segment_fixed_size: 2048
    .kernarg_segment_align: 8
    .kernarg_segment_size: 88
    .language:       OpenCL C
    .language_version:
      - 2
      - 0
    .max_flat_workgroup_size: 128
    .name:           _ZN9rocsparseL19gebsrmvn_2xn_kernelILj128ELj12ELj64E21rocsparse_complex_numIdEEEvi20rocsparse_direction_NS_24const_host_device_scalarIT2_EEPKiS8_PKS5_SA_S6_PS5_21rocsparse_index_base_b
    .private_segment_fixed_size: 0
    .sgpr_count:     26
    .sgpr_spill_count: 0
    .symbol:         _ZN9rocsparseL19gebsrmvn_2xn_kernelILj128ELj12ELj64E21rocsparse_complex_numIdEEEvi20rocsparse_direction_NS_24const_host_device_scalarIT2_EEPKiS8_PKS5_SA_S6_PS5_21rocsparse_index_base_b.kd
    .uniform_work_group_size: 1
    .uses_dynamic_stack: false
    .vgpr_count:     92
    .vgpr_spill_count: 0
    .wavefront_size: 64
  - .agpr_count:     0
    .args:
      - .offset:         0
        .size:           4
        .value_kind:     by_value
      - .offset:         4
        .size:           4
        .value_kind:     by_value
      - .offset:         8
        .size:           16
        .value_kind:     by_value
      - .actual_access:  read_only
        .address_space:  global
        .offset:         24
        .size:           8
        .value_kind:     global_buffer
      - .actual_access:  read_only
        .address_space:  global
        .offset:         32
        .size:           8
        .value_kind:     global_buffer
      - .actual_access:  read_only
        .address_space:  global
        .offset:         40
        .size:           8
        .value_kind:     global_buffer
      - .actual_access:  read_only
        .address_space:  global
        .offset:         48
        .size:           8
        .value_kind:     global_buffer
      - .offset:         56
        .size:           16
        .value_kind:     by_value
      - .address_space:  global
        .offset:         72
        .size:           8
        .value_kind:     global_buffer
      - .offset:         80
        .size:           4
        .value_kind:     by_value
      - .offset:         84
        .size:           1
        .value_kind:     by_value
    .group_segment_fixed_size: 2048
    .kernarg_segment_align: 8
    .kernarg_segment_size: 88
    .language:       OpenCL C
    .language_version:
      - 2
      - 0
    .max_flat_workgroup_size: 128
    .name:           _ZN9rocsparseL19gebsrmvn_2xn_kernelILj128ELj13ELj4E21rocsparse_complex_numIdEEEvi20rocsparse_direction_NS_24const_host_device_scalarIT2_EEPKiS8_PKS5_SA_S6_PS5_21rocsparse_index_base_b
    .private_segment_fixed_size: 0
    .sgpr_count:     26
    .sgpr_spill_count: 0
    .symbol:         _ZN9rocsparseL19gebsrmvn_2xn_kernelILj128ELj13ELj4E21rocsparse_complex_numIdEEEvi20rocsparse_direction_NS_24const_host_device_scalarIT2_EEPKiS8_PKS5_SA_S6_PS5_21rocsparse_index_base_b.kd
    .uniform_work_group_size: 1
    .uses_dynamic_stack: false
    .vgpr_count:     84
    .vgpr_spill_count: 0
    .wavefront_size: 64
  - .agpr_count:     0
    .args:
      - .offset:         0
        .size:           4
        .value_kind:     by_value
      - .offset:         4
        .size:           4
        .value_kind:     by_value
      - .offset:         8
        .size:           16
        .value_kind:     by_value
      - .actual_access:  read_only
        .address_space:  global
        .offset:         24
        .size:           8
        .value_kind:     global_buffer
      - .actual_access:  read_only
        .address_space:  global
        .offset:         32
        .size:           8
        .value_kind:     global_buffer
      - .actual_access:  read_only
        .address_space:  global
        .offset:         40
        .size:           8
        .value_kind:     global_buffer
      - .actual_access:  read_only
        .address_space:  global
        .offset:         48
        .size:           8
        .value_kind:     global_buffer
      - .offset:         56
        .size:           16
        .value_kind:     by_value
      - .address_space:  global
        .offset:         72
        .size:           8
        .value_kind:     global_buffer
      - .offset:         80
        .size:           4
        .value_kind:     by_value
      - .offset:         84
        .size:           1
        .value_kind:     by_value
    .group_segment_fixed_size: 2048
    .kernarg_segment_align: 8
    .kernarg_segment_size: 88
    .language:       OpenCL C
    .language_version:
      - 2
      - 0
    .max_flat_workgroup_size: 128
    .name:           _ZN9rocsparseL19gebsrmvn_2xn_kernelILj128ELj13ELj8E21rocsparse_complex_numIdEEEvi20rocsparse_direction_NS_24const_host_device_scalarIT2_EEPKiS8_PKS5_SA_S6_PS5_21rocsparse_index_base_b
    .private_segment_fixed_size: 0
    .sgpr_count:     26
    .sgpr_spill_count: 0
    .symbol:         _ZN9rocsparseL19gebsrmvn_2xn_kernelILj128ELj13ELj8E21rocsparse_complex_numIdEEEvi20rocsparse_direction_NS_24const_host_device_scalarIT2_EEPKiS8_PKS5_SA_S6_PS5_21rocsparse_index_base_b.kd
    .uniform_work_group_size: 1
    .uses_dynamic_stack: false
    .vgpr_count:     84
    .vgpr_spill_count: 0
    .wavefront_size: 64
  - .agpr_count:     0
    .args:
      - .offset:         0
        .size:           4
        .value_kind:     by_value
      - .offset:         4
        .size:           4
        .value_kind:     by_value
      - .offset:         8
        .size:           16
        .value_kind:     by_value
      - .actual_access:  read_only
        .address_space:  global
        .offset:         24
        .size:           8
        .value_kind:     global_buffer
      - .actual_access:  read_only
        .address_space:  global
        .offset:         32
        .size:           8
        .value_kind:     global_buffer
      - .actual_access:  read_only
        .address_space:  global
        .offset:         40
        .size:           8
        .value_kind:     global_buffer
      - .actual_access:  read_only
        .address_space:  global
        .offset:         48
        .size:           8
        .value_kind:     global_buffer
      - .offset:         56
        .size:           16
        .value_kind:     by_value
      - .address_space:  global
        .offset:         72
        .size:           8
        .value_kind:     global_buffer
      - .offset:         80
        .size:           4
        .value_kind:     by_value
      - .offset:         84
        .size:           1
        .value_kind:     by_value
    .group_segment_fixed_size: 2048
    .kernarg_segment_align: 8
    .kernarg_segment_size: 88
    .language:       OpenCL C
    .language_version:
      - 2
      - 0
    .max_flat_workgroup_size: 128
    .name:           _ZN9rocsparseL19gebsrmvn_2xn_kernelILj128ELj13ELj16E21rocsparse_complex_numIdEEEvi20rocsparse_direction_NS_24const_host_device_scalarIT2_EEPKiS8_PKS5_SA_S6_PS5_21rocsparse_index_base_b
    .private_segment_fixed_size: 0
    .sgpr_count:     26
    .sgpr_spill_count: 0
    .symbol:         _ZN9rocsparseL19gebsrmvn_2xn_kernelILj128ELj13ELj16E21rocsparse_complex_numIdEEEvi20rocsparse_direction_NS_24const_host_device_scalarIT2_EEPKiS8_PKS5_SA_S6_PS5_21rocsparse_index_base_b.kd
    .uniform_work_group_size: 1
    .uses_dynamic_stack: false
    .vgpr_count:     84
    .vgpr_spill_count: 0
    .wavefront_size: 64
  - .agpr_count:     0
    .args:
      - .offset:         0
        .size:           4
        .value_kind:     by_value
      - .offset:         4
        .size:           4
        .value_kind:     by_value
      - .offset:         8
        .size:           16
        .value_kind:     by_value
      - .actual_access:  read_only
        .address_space:  global
        .offset:         24
        .size:           8
        .value_kind:     global_buffer
      - .actual_access:  read_only
        .address_space:  global
        .offset:         32
        .size:           8
        .value_kind:     global_buffer
      - .actual_access:  read_only
        .address_space:  global
        .offset:         40
        .size:           8
        .value_kind:     global_buffer
      - .actual_access:  read_only
        .address_space:  global
        .offset:         48
        .size:           8
        .value_kind:     global_buffer
      - .offset:         56
        .size:           16
        .value_kind:     by_value
      - .address_space:  global
        .offset:         72
        .size:           8
        .value_kind:     global_buffer
      - .offset:         80
        .size:           4
        .value_kind:     by_value
      - .offset:         84
        .size:           1
        .value_kind:     by_value
    .group_segment_fixed_size: 2048
    .kernarg_segment_align: 8
    .kernarg_segment_size: 88
    .language:       OpenCL C
    .language_version:
      - 2
      - 0
    .max_flat_workgroup_size: 128
    .name:           _ZN9rocsparseL19gebsrmvn_2xn_kernelILj128ELj13ELj32E21rocsparse_complex_numIdEEEvi20rocsparse_direction_NS_24const_host_device_scalarIT2_EEPKiS8_PKS5_SA_S6_PS5_21rocsparse_index_base_b
    .private_segment_fixed_size: 0
    .sgpr_count:     26
    .sgpr_spill_count: 0
    .symbol:         _ZN9rocsparseL19gebsrmvn_2xn_kernelILj128ELj13ELj32E21rocsparse_complex_numIdEEEvi20rocsparse_direction_NS_24const_host_device_scalarIT2_EEPKiS8_PKS5_SA_S6_PS5_21rocsparse_index_base_b.kd
    .uniform_work_group_size: 1
    .uses_dynamic_stack: false
    .vgpr_count:     84
    .vgpr_spill_count: 0
    .wavefront_size: 64
  - .agpr_count:     0
    .args:
      - .offset:         0
        .size:           4
        .value_kind:     by_value
      - .offset:         4
        .size:           4
        .value_kind:     by_value
      - .offset:         8
        .size:           16
        .value_kind:     by_value
      - .actual_access:  read_only
        .address_space:  global
        .offset:         24
        .size:           8
        .value_kind:     global_buffer
      - .actual_access:  read_only
        .address_space:  global
        .offset:         32
        .size:           8
        .value_kind:     global_buffer
      - .actual_access:  read_only
        .address_space:  global
        .offset:         40
        .size:           8
        .value_kind:     global_buffer
      - .actual_access:  read_only
        .address_space:  global
        .offset:         48
        .size:           8
        .value_kind:     global_buffer
      - .offset:         56
        .size:           16
        .value_kind:     by_value
      - .address_space:  global
        .offset:         72
        .size:           8
        .value_kind:     global_buffer
      - .offset:         80
        .size:           4
        .value_kind:     by_value
      - .offset:         84
        .size:           1
        .value_kind:     by_value
    .group_segment_fixed_size: 2048
    .kernarg_segment_align: 8
    .kernarg_segment_size: 88
    .language:       OpenCL C
    .language_version:
      - 2
      - 0
    .max_flat_workgroup_size: 128
    .name:           _ZN9rocsparseL19gebsrmvn_2xn_kernelILj128ELj13ELj64E21rocsparse_complex_numIdEEEvi20rocsparse_direction_NS_24const_host_device_scalarIT2_EEPKiS8_PKS5_SA_S6_PS5_21rocsparse_index_base_b
    .private_segment_fixed_size: 0
    .sgpr_count:     26
    .sgpr_spill_count: 0
    .symbol:         _ZN9rocsparseL19gebsrmvn_2xn_kernelILj128ELj13ELj64E21rocsparse_complex_numIdEEEvi20rocsparse_direction_NS_24const_host_device_scalarIT2_EEPKiS8_PKS5_SA_S6_PS5_21rocsparse_index_base_b.kd
    .uniform_work_group_size: 1
    .uses_dynamic_stack: false
    .vgpr_count:     84
    .vgpr_spill_count: 0
    .wavefront_size: 64
  - .agpr_count:     0
    .args:
      - .offset:         0
        .size:           4
        .value_kind:     by_value
      - .offset:         4
        .size:           4
        .value_kind:     by_value
      - .offset:         8
        .size:           16
        .value_kind:     by_value
      - .actual_access:  read_only
        .address_space:  global
        .offset:         24
        .size:           8
        .value_kind:     global_buffer
      - .actual_access:  read_only
        .address_space:  global
        .offset:         32
        .size:           8
        .value_kind:     global_buffer
      - .actual_access:  read_only
        .address_space:  global
        .offset:         40
        .size:           8
        .value_kind:     global_buffer
      - .actual_access:  read_only
        .address_space:  global
        .offset:         48
        .size:           8
        .value_kind:     global_buffer
      - .offset:         56
        .size:           16
        .value_kind:     by_value
      - .address_space:  global
        .offset:         72
        .size:           8
        .value_kind:     global_buffer
      - .offset:         80
        .size:           4
        .value_kind:     by_value
      - .offset:         84
        .size:           1
        .value_kind:     by_value
    .group_segment_fixed_size: 2048
    .kernarg_segment_align: 8
    .kernarg_segment_size: 88
    .language:       OpenCL C
    .language_version:
      - 2
      - 0
    .max_flat_workgroup_size: 128
    .name:           _ZN9rocsparseL19gebsrmvn_2xn_kernelILj128ELj14ELj4E21rocsparse_complex_numIdEEEvi20rocsparse_direction_NS_24const_host_device_scalarIT2_EEPKiS8_PKS5_SA_S6_PS5_21rocsparse_index_base_b
    .private_segment_fixed_size: 0
    .sgpr_count:     26
    .sgpr_spill_count: 0
    .symbol:         _ZN9rocsparseL19gebsrmvn_2xn_kernelILj128ELj14ELj4E21rocsparse_complex_numIdEEEvi20rocsparse_direction_NS_24const_host_device_scalarIT2_EEPKiS8_PKS5_SA_S6_PS5_21rocsparse_index_base_b.kd
    .uniform_work_group_size: 1
    .uses_dynamic_stack: false
    .vgpr_count:     56
    .vgpr_spill_count: 0
    .wavefront_size: 64
  - .agpr_count:     0
    .args:
      - .offset:         0
        .size:           4
        .value_kind:     by_value
      - .offset:         4
        .size:           4
        .value_kind:     by_value
      - .offset:         8
        .size:           16
        .value_kind:     by_value
      - .actual_access:  read_only
        .address_space:  global
        .offset:         24
        .size:           8
        .value_kind:     global_buffer
      - .actual_access:  read_only
        .address_space:  global
        .offset:         32
        .size:           8
        .value_kind:     global_buffer
      - .actual_access:  read_only
        .address_space:  global
        .offset:         40
        .size:           8
        .value_kind:     global_buffer
      - .actual_access:  read_only
        .address_space:  global
        .offset:         48
        .size:           8
        .value_kind:     global_buffer
      - .offset:         56
        .size:           16
        .value_kind:     by_value
      - .address_space:  global
        .offset:         72
        .size:           8
        .value_kind:     global_buffer
      - .offset:         80
        .size:           4
        .value_kind:     by_value
      - .offset:         84
        .size:           1
        .value_kind:     by_value
    .group_segment_fixed_size: 2048
    .kernarg_segment_align: 8
    .kernarg_segment_size: 88
    .language:       OpenCL C
    .language_version:
      - 2
      - 0
    .max_flat_workgroup_size: 128
    .name:           _ZN9rocsparseL19gebsrmvn_2xn_kernelILj128ELj14ELj8E21rocsparse_complex_numIdEEEvi20rocsparse_direction_NS_24const_host_device_scalarIT2_EEPKiS8_PKS5_SA_S6_PS5_21rocsparse_index_base_b
    .private_segment_fixed_size: 0
    .sgpr_count:     26
    .sgpr_spill_count: 0
    .symbol:         _ZN9rocsparseL19gebsrmvn_2xn_kernelILj128ELj14ELj8E21rocsparse_complex_numIdEEEvi20rocsparse_direction_NS_24const_host_device_scalarIT2_EEPKiS8_PKS5_SA_S6_PS5_21rocsparse_index_base_b.kd
    .uniform_work_group_size: 1
    .uses_dynamic_stack: false
    .vgpr_count:     56
    .vgpr_spill_count: 0
    .wavefront_size: 64
  - .agpr_count:     0
    .args:
      - .offset:         0
        .size:           4
        .value_kind:     by_value
      - .offset:         4
        .size:           4
        .value_kind:     by_value
      - .offset:         8
        .size:           16
        .value_kind:     by_value
      - .actual_access:  read_only
        .address_space:  global
        .offset:         24
        .size:           8
        .value_kind:     global_buffer
      - .actual_access:  read_only
        .address_space:  global
        .offset:         32
        .size:           8
        .value_kind:     global_buffer
      - .actual_access:  read_only
        .address_space:  global
        .offset:         40
        .size:           8
        .value_kind:     global_buffer
      - .actual_access:  read_only
        .address_space:  global
        .offset:         48
        .size:           8
        .value_kind:     global_buffer
      - .offset:         56
        .size:           16
        .value_kind:     by_value
      - .address_space:  global
        .offset:         72
        .size:           8
        .value_kind:     global_buffer
      - .offset:         80
        .size:           4
        .value_kind:     by_value
      - .offset:         84
        .size:           1
        .value_kind:     by_value
    .group_segment_fixed_size: 2048
    .kernarg_segment_align: 8
    .kernarg_segment_size: 88
    .language:       OpenCL C
    .language_version:
      - 2
      - 0
    .max_flat_workgroup_size: 128
    .name:           _ZN9rocsparseL19gebsrmvn_2xn_kernelILj128ELj14ELj16E21rocsparse_complex_numIdEEEvi20rocsparse_direction_NS_24const_host_device_scalarIT2_EEPKiS8_PKS5_SA_S6_PS5_21rocsparse_index_base_b
    .private_segment_fixed_size: 0
    .sgpr_count:     26
    .sgpr_spill_count: 0
    .symbol:         _ZN9rocsparseL19gebsrmvn_2xn_kernelILj128ELj14ELj16E21rocsparse_complex_numIdEEEvi20rocsparse_direction_NS_24const_host_device_scalarIT2_EEPKiS8_PKS5_SA_S6_PS5_21rocsparse_index_base_b.kd
    .uniform_work_group_size: 1
    .uses_dynamic_stack: false
    .vgpr_count:     56
    .vgpr_spill_count: 0
    .wavefront_size: 64
  - .agpr_count:     0
    .args:
      - .offset:         0
        .size:           4
        .value_kind:     by_value
      - .offset:         4
        .size:           4
        .value_kind:     by_value
      - .offset:         8
        .size:           16
        .value_kind:     by_value
      - .actual_access:  read_only
        .address_space:  global
        .offset:         24
        .size:           8
        .value_kind:     global_buffer
      - .actual_access:  read_only
        .address_space:  global
        .offset:         32
        .size:           8
        .value_kind:     global_buffer
      - .actual_access:  read_only
        .address_space:  global
        .offset:         40
        .size:           8
        .value_kind:     global_buffer
      - .actual_access:  read_only
        .address_space:  global
        .offset:         48
        .size:           8
        .value_kind:     global_buffer
      - .offset:         56
        .size:           16
        .value_kind:     by_value
      - .address_space:  global
        .offset:         72
        .size:           8
        .value_kind:     global_buffer
      - .offset:         80
        .size:           4
        .value_kind:     by_value
      - .offset:         84
        .size:           1
        .value_kind:     by_value
    .group_segment_fixed_size: 2048
    .kernarg_segment_align: 8
    .kernarg_segment_size: 88
    .language:       OpenCL C
    .language_version:
      - 2
      - 0
    .max_flat_workgroup_size: 128
    .name:           _ZN9rocsparseL19gebsrmvn_2xn_kernelILj128ELj14ELj32E21rocsparse_complex_numIdEEEvi20rocsparse_direction_NS_24const_host_device_scalarIT2_EEPKiS8_PKS5_SA_S6_PS5_21rocsparse_index_base_b
    .private_segment_fixed_size: 0
    .sgpr_count:     26
    .sgpr_spill_count: 0
    .symbol:         _ZN9rocsparseL19gebsrmvn_2xn_kernelILj128ELj14ELj32E21rocsparse_complex_numIdEEEvi20rocsparse_direction_NS_24const_host_device_scalarIT2_EEPKiS8_PKS5_SA_S6_PS5_21rocsparse_index_base_b.kd
    .uniform_work_group_size: 1
    .uses_dynamic_stack: false
    .vgpr_count:     56
    .vgpr_spill_count: 0
    .wavefront_size: 64
  - .agpr_count:     0
    .args:
      - .offset:         0
        .size:           4
        .value_kind:     by_value
      - .offset:         4
        .size:           4
        .value_kind:     by_value
      - .offset:         8
        .size:           16
        .value_kind:     by_value
      - .actual_access:  read_only
        .address_space:  global
        .offset:         24
        .size:           8
        .value_kind:     global_buffer
      - .actual_access:  read_only
        .address_space:  global
        .offset:         32
        .size:           8
        .value_kind:     global_buffer
      - .actual_access:  read_only
        .address_space:  global
        .offset:         40
        .size:           8
        .value_kind:     global_buffer
      - .actual_access:  read_only
        .address_space:  global
        .offset:         48
        .size:           8
        .value_kind:     global_buffer
      - .offset:         56
        .size:           16
        .value_kind:     by_value
      - .address_space:  global
        .offset:         72
        .size:           8
        .value_kind:     global_buffer
      - .offset:         80
        .size:           4
        .value_kind:     by_value
      - .offset:         84
        .size:           1
        .value_kind:     by_value
    .group_segment_fixed_size: 2048
    .kernarg_segment_align: 8
    .kernarg_segment_size: 88
    .language:       OpenCL C
    .language_version:
      - 2
      - 0
    .max_flat_workgroup_size: 128
    .name:           _ZN9rocsparseL19gebsrmvn_2xn_kernelILj128ELj14ELj64E21rocsparse_complex_numIdEEEvi20rocsparse_direction_NS_24const_host_device_scalarIT2_EEPKiS8_PKS5_SA_S6_PS5_21rocsparse_index_base_b
    .private_segment_fixed_size: 0
    .sgpr_count:     26
    .sgpr_spill_count: 0
    .symbol:         _ZN9rocsparseL19gebsrmvn_2xn_kernelILj128ELj14ELj64E21rocsparse_complex_numIdEEEvi20rocsparse_direction_NS_24const_host_device_scalarIT2_EEPKiS8_PKS5_SA_S6_PS5_21rocsparse_index_base_b.kd
    .uniform_work_group_size: 1
    .uses_dynamic_stack: false
    .vgpr_count:     56
    .vgpr_spill_count: 0
    .wavefront_size: 64
  - .agpr_count:     0
    .args:
      - .offset:         0
        .size:           4
        .value_kind:     by_value
      - .offset:         4
        .size:           4
        .value_kind:     by_value
      - .offset:         8
        .size:           16
        .value_kind:     by_value
      - .actual_access:  read_only
        .address_space:  global
        .offset:         24
        .size:           8
        .value_kind:     global_buffer
      - .actual_access:  read_only
        .address_space:  global
        .offset:         32
        .size:           8
        .value_kind:     global_buffer
      - .actual_access:  read_only
        .address_space:  global
        .offset:         40
        .size:           8
        .value_kind:     global_buffer
      - .actual_access:  read_only
        .address_space:  global
        .offset:         48
        .size:           8
        .value_kind:     global_buffer
      - .offset:         56
        .size:           16
        .value_kind:     by_value
      - .address_space:  global
        .offset:         72
        .size:           8
        .value_kind:     global_buffer
      - .offset:         80
        .size:           4
        .value_kind:     by_value
      - .offset:         84
        .size:           1
        .value_kind:     by_value
    .group_segment_fixed_size: 2048
    .kernarg_segment_align: 8
    .kernarg_segment_size: 88
    .language:       OpenCL C
    .language_version:
      - 2
      - 0
    .max_flat_workgroup_size: 128
    .name:           _ZN9rocsparseL19gebsrmvn_2xn_kernelILj128ELj15ELj4E21rocsparse_complex_numIdEEEvi20rocsparse_direction_NS_24const_host_device_scalarIT2_EEPKiS8_PKS5_SA_S6_PS5_21rocsparse_index_base_b
    .private_segment_fixed_size: 0
    .sgpr_count:     26
    .sgpr_spill_count: 0
    .symbol:         _ZN9rocsparseL19gebsrmvn_2xn_kernelILj128ELj15ELj4E21rocsparse_complex_numIdEEEvi20rocsparse_direction_NS_24const_host_device_scalarIT2_EEPKiS8_PKS5_SA_S6_PS5_21rocsparse_index_base_b.kd
    .uniform_work_group_size: 1
    .uses_dynamic_stack: false
    .vgpr_count:     100
    .vgpr_spill_count: 0
    .wavefront_size: 64
  - .agpr_count:     0
    .args:
      - .offset:         0
        .size:           4
        .value_kind:     by_value
      - .offset:         4
        .size:           4
        .value_kind:     by_value
      - .offset:         8
        .size:           16
        .value_kind:     by_value
      - .actual_access:  read_only
        .address_space:  global
        .offset:         24
        .size:           8
        .value_kind:     global_buffer
      - .actual_access:  read_only
        .address_space:  global
        .offset:         32
        .size:           8
        .value_kind:     global_buffer
      - .actual_access:  read_only
        .address_space:  global
        .offset:         40
        .size:           8
        .value_kind:     global_buffer
      - .actual_access:  read_only
        .address_space:  global
        .offset:         48
        .size:           8
        .value_kind:     global_buffer
      - .offset:         56
        .size:           16
        .value_kind:     by_value
      - .address_space:  global
        .offset:         72
        .size:           8
        .value_kind:     global_buffer
      - .offset:         80
        .size:           4
        .value_kind:     by_value
      - .offset:         84
        .size:           1
        .value_kind:     by_value
    .group_segment_fixed_size: 2048
    .kernarg_segment_align: 8
    .kernarg_segment_size: 88
    .language:       OpenCL C
    .language_version:
      - 2
      - 0
    .max_flat_workgroup_size: 128
    .name:           _ZN9rocsparseL19gebsrmvn_2xn_kernelILj128ELj15ELj8E21rocsparse_complex_numIdEEEvi20rocsparse_direction_NS_24const_host_device_scalarIT2_EEPKiS8_PKS5_SA_S6_PS5_21rocsparse_index_base_b
    .private_segment_fixed_size: 0
    .sgpr_count:     26
    .sgpr_spill_count: 0
    .symbol:         _ZN9rocsparseL19gebsrmvn_2xn_kernelILj128ELj15ELj8E21rocsparse_complex_numIdEEEvi20rocsparse_direction_NS_24const_host_device_scalarIT2_EEPKiS8_PKS5_SA_S6_PS5_21rocsparse_index_base_b.kd
    .uniform_work_group_size: 1
    .uses_dynamic_stack: false
    .vgpr_count:     100
    .vgpr_spill_count: 0
    .wavefront_size: 64
  - .agpr_count:     0
    .args:
      - .offset:         0
        .size:           4
        .value_kind:     by_value
      - .offset:         4
        .size:           4
        .value_kind:     by_value
      - .offset:         8
        .size:           16
        .value_kind:     by_value
      - .actual_access:  read_only
        .address_space:  global
        .offset:         24
        .size:           8
        .value_kind:     global_buffer
      - .actual_access:  read_only
        .address_space:  global
        .offset:         32
        .size:           8
        .value_kind:     global_buffer
      - .actual_access:  read_only
        .address_space:  global
        .offset:         40
        .size:           8
        .value_kind:     global_buffer
      - .actual_access:  read_only
        .address_space:  global
        .offset:         48
        .size:           8
        .value_kind:     global_buffer
      - .offset:         56
        .size:           16
        .value_kind:     by_value
      - .address_space:  global
        .offset:         72
        .size:           8
        .value_kind:     global_buffer
      - .offset:         80
        .size:           4
        .value_kind:     by_value
      - .offset:         84
        .size:           1
        .value_kind:     by_value
    .group_segment_fixed_size: 2048
    .kernarg_segment_align: 8
    .kernarg_segment_size: 88
    .language:       OpenCL C
    .language_version:
      - 2
      - 0
    .max_flat_workgroup_size: 128
    .name:           _ZN9rocsparseL19gebsrmvn_2xn_kernelILj128ELj15ELj16E21rocsparse_complex_numIdEEEvi20rocsparse_direction_NS_24const_host_device_scalarIT2_EEPKiS8_PKS5_SA_S6_PS5_21rocsparse_index_base_b
    .private_segment_fixed_size: 0
    .sgpr_count:     26
    .sgpr_spill_count: 0
    .symbol:         _ZN9rocsparseL19gebsrmvn_2xn_kernelILj128ELj15ELj16E21rocsparse_complex_numIdEEEvi20rocsparse_direction_NS_24const_host_device_scalarIT2_EEPKiS8_PKS5_SA_S6_PS5_21rocsparse_index_base_b.kd
    .uniform_work_group_size: 1
    .uses_dynamic_stack: false
    .vgpr_count:     100
    .vgpr_spill_count: 0
    .wavefront_size: 64
  - .agpr_count:     0
    .args:
      - .offset:         0
        .size:           4
        .value_kind:     by_value
      - .offset:         4
        .size:           4
        .value_kind:     by_value
      - .offset:         8
        .size:           16
        .value_kind:     by_value
      - .actual_access:  read_only
        .address_space:  global
        .offset:         24
        .size:           8
        .value_kind:     global_buffer
      - .actual_access:  read_only
        .address_space:  global
        .offset:         32
        .size:           8
        .value_kind:     global_buffer
      - .actual_access:  read_only
        .address_space:  global
        .offset:         40
        .size:           8
        .value_kind:     global_buffer
      - .actual_access:  read_only
        .address_space:  global
        .offset:         48
        .size:           8
        .value_kind:     global_buffer
      - .offset:         56
        .size:           16
        .value_kind:     by_value
      - .address_space:  global
        .offset:         72
        .size:           8
        .value_kind:     global_buffer
      - .offset:         80
        .size:           4
        .value_kind:     by_value
      - .offset:         84
        .size:           1
        .value_kind:     by_value
    .group_segment_fixed_size: 2048
    .kernarg_segment_align: 8
    .kernarg_segment_size: 88
    .language:       OpenCL C
    .language_version:
      - 2
      - 0
    .max_flat_workgroup_size: 128
    .name:           _ZN9rocsparseL19gebsrmvn_2xn_kernelILj128ELj15ELj32E21rocsparse_complex_numIdEEEvi20rocsparse_direction_NS_24const_host_device_scalarIT2_EEPKiS8_PKS5_SA_S6_PS5_21rocsparse_index_base_b
    .private_segment_fixed_size: 0
    .sgpr_count:     26
    .sgpr_spill_count: 0
    .symbol:         _ZN9rocsparseL19gebsrmvn_2xn_kernelILj128ELj15ELj32E21rocsparse_complex_numIdEEEvi20rocsparse_direction_NS_24const_host_device_scalarIT2_EEPKiS8_PKS5_SA_S6_PS5_21rocsparse_index_base_b.kd
    .uniform_work_group_size: 1
    .uses_dynamic_stack: false
    .vgpr_count:     100
    .vgpr_spill_count: 0
    .wavefront_size: 64
  - .agpr_count:     0
    .args:
      - .offset:         0
        .size:           4
        .value_kind:     by_value
      - .offset:         4
        .size:           4
        .value_kind:     by_value
      - .offset:         8
        .size:           16
        .value_kind:     by_value
      - .actual_access:  read_only
        .address_space:  global
        .offset:         24
        .size:           8
        .value_kind:     global_buffer
      - .actual_access:  read_only
        .address_space:  global
        .offset:         32
        .size:           8
        .value_kind:     global_buffer
      - .actual_access:  read_only
        .address_space:  global
        .offset:         40
        .size:           8
        .value_kind:     global_buffer
      - .actual_access:  read_only
        .address_space:  global
        .offset:         48
        .size:           8
        .value_kind:     global_buffer
      - .offset:         56
        .size:           16
        .value_kind:     by_value
      - .address_space:  global
        .offset:         72
        .size:           8
        .value_kind:     global_buffer
      - .offset:         80
        .size:           4
        .value_kind:     by_value
      - .offset:         84
        .size:           1
        .value_kind:     by_value
    .group_segment_fixed_size: 2048
    .kernarg_segment_align: 8
    .kernarg_segment_size: 88
    .language:       OpenCL C
    .language_version:
      - 2
      - 0
    .max_flat_workgroup_size: 128
    .name:           _ZN9rocsparseL19gebsrmvn_2xn_kernelILj128ELj15ELj64E21rocsparse_complex_numIdEEEvi20rocsparse_direction_NS_24const_host_device_scalarIT2_EEPKiS8_PKS5_SA_S6_PS5_21rocsparse_index_base_b
    .private_segment_fixed_size: 0
    .sgpr_count:     26
    .sgpr_spill_count: 0
    .symbol:         _ZN9rocsparseL19gebsrmvn_2xn_kernelILj128ELj15ELj64E21rocsparse_complex_numIdEEEvi20rocsparse_direction_NS_24const_host_device_scalarIT2_EEPKiS8_PKS5_SA_S6_PS5_21rocsparse_index_base_b.kd
    .uniform_work_group_size: 1
    .uses_dynamic_stack: false
    .vgpr_count:     100
    .vgpr_spill_count: 0
    .wavefront_size: 64
  - .agpr_count:     0
    .args:
      - .offset:         0
        .size:           4
        .value_kind:     by_value
      - .offset:         4
        .size:           4
        .value_kind:     by_value
      - .offset:         8
        .size:           16
        .value_kind:     by_value
      - .actual_access:  read_only
        .address_space:  global
        .offset:         24
        .size:           8
        .value_kind:     global_buffer
      - .actual_access:  read_only
        .address_space:  global
        .offset:         32
        .size:           8
        .value_kind:     global_buffer
      - .actual_access:  read_only
        .address_space:  global
        .offset:         40
        .size:           8
        .value_kind:     global_buffer
      - .actual_access:  read_only
        .address_space:  global
        .offset:         48
        .size:           8
        .value_kind:     global_buffer
      - .offset:         56
        .size:           16
        .value_kind:     by_value
      - .address_space:  global
        .offset:         72
        .size:           8
        .value_kind:     global_buffer
      - .offset:         80
        .size:           4
        .value_kind:     by_value
      - .offset:         84
        .size:           1
        .value_kind:     by_value
    .group_segment_fixed_size: 2048
    .kernarg_segment_align: 8
    .kernarg_segment_size: 88
    .language:       OpenCL C
    .language_version:
      - 2
      - 0
    .max_flat_workgroup_size: 128
    .name:           _ZN9rocsparseL19gebsrmvn_2xn_kernelILj128ELj16ELj4E21rocsparse_complex_numIdEEEvi20rocsparse_direction_NS_24const_host_device_scalarIT2_EEPKiS8_PKS5_SA_S6_PS5_21rocsparse_index_base_b
    .private_segment_fixed_size: 0
    .sgpr_count:     30
    .sgpr_spill_count: 0
    .symbol:         _ZN9rocsparseL19gebsrmvn_2xn_kernelILj128ELj16ELj4E21rocsparse_complex_numIdEEEvi20rocsparse_direction_NS_24const_host_device_scalarIT2_EEPKiS8_PKS5_SA_S6_PS5_21rocsparse_index_base_b.kd
    .uniform_work_group_size: 1
    .uses_dynamic_stack: false
    .vgpr_count:     86
    .vgpr_spill_count: 0
    .wavefront_size: 64
  - .agpr_count:     0
    .args:
      - .offset:         0
        .size:           4
        .value_kind:     by_value
      - .offset:         4
        .size:           4
        .value_kind:     by_value
      - .offset:         8
        .size:           16
        .value_kind:     by_value
      - .actual_access:  read_only
        .address_space:  global
        .offset:         24
        .size:           8
        .value_kind:     global_buffer
      - .actual_access:  read_only
        .address_space:  global
        .offset:         32
        .size:           8
        .value_kind:     global_buffer
      - .actual_access:  read_only
        .address_space:  global
        .offset:         40
        .size:           8
        .value_kind:     global_buffer
      - .actual_access:  read_only
        .address_space:  global
        .offset:         48
        .size:           8
        .value_kind:     global_buffer
      - .offset:         56
        .size:           16
        .value_kind:     by_value
      - .address_space:  global
        .offset:         72
        .size:           8
        .value_kind:     global_buffer
      - .offset:         80
        .size:           4
        .value_kind:     by_value
      - .offset:         84
        .size:           1
        .value_kind:     by_value
    .group_segment_fixed_size: 2048
    .kernarg_segment_align: 8
    .kernarg_segment_size: 88
    .language:       OpenCL C
    .language_version:
      - 2
      - 0
    .max_flat_workgroup_size: 128
    .name:           _ZN9rocsparseL19gebsrmvn_2xn_kernelILj128ELj16ELj8E21rocsparse_complex_numIdEEEvi20rocsparse_direction_NS_24const_host_device_scalarIT2_EEPKiS8_PKS5_SA_S6_PS5_21rocsparse_index_base_b
    .private_segment_fixed_size: 0
    .sgpr_count:     30
    .sgpr_spill_count: 0
    .symbol:         _ZN9rocsparseL19gebsrmvn_2xn_kernelILj128ELj16ELj8E21rocsparse_complex_numIdEEEvi20rocsparse_direction_NS_24const_host_device_scalarIT2_EEPKiS8_PKS5_SA_S6_PS5_21rocsparse_index_base_b.kd
    .uniform_work_group_size: 1
    .uses_dynamic_stack: false
    .vgpr_count:     86
    .vgpr_spill_count: 0
    .wavefront_size: 64
  - .agpr_count:     0
    .args:
      - .offset:         0
        .size:           4
        .value_kind:     by_value
      - .offset:         4
        .size:           4
        .value_kind:     by_value
      - .offset:         8
        .size:           16
        .value_kind:     by_value
      - .actual_access:  read_only
        .address_space:  global
        .offset:         24
        .size:           8
        .value_kind:     global_buffer
      - .actual_access:  read_only
        .address_space:  global
        .offset:         32
        .size:           8
        .value_kind:     global_buffer
      - .actual_access:  read_only
        .address_space:  global
        .offset:         40
        .size:           8
        .value_kind:     global_buffer
      - .actual_access:  read_only
        .address_space:  global
        .offset:         48
        .size:           8
        .value_kind:     global_buffer
      - .offset:         56
        .size:           16
        .value_kind:     by_value
      - .address_space:  global
        .offset:         72
        .size:           8
        .value_kind:     global_buffer
      - .offset:         80
        .size:           4
        .value_kind:     by_value
      - .offset:         84
        .size:           1
        .value_kind:     by_value
    .group_segment_fixed_size: 2048
    .kernarg_segment_align: 8
    .kernarg_segment_size: 88
    .language:       OpenCL C
    .language_version:
      - 2
      - 0
    .max_flat_workgroup_size: 128
    .name:           _ZN9rocsparseL19gebsrmvn_2xn_kernelILj128ELj16ELj16E21rocsparse_complex_numIdEEEvi20rocsparse_direction_NS_24const_host_device_scalarIT2_EEPKiS8_PKS5_SA_S6_PS5_21rocsparse_index_base_b
    .private_segment_fixed_size: 0
    .sgpr_count:     30
    .sgpr_spill_count: 0
    .symbol:         _ZN9rocsparseL19gebsrmvn_2xn_kernelILj128ELj16ELj16E21rocsparse_complex_numIdEEEvi20rocsparse_direction_NS_24const_host_device_scalarIT2_EEPKiS8_PKS5_SA_S6_PS5_21rocsparse_index_base_b.kd
    .uniform_work_group_size: 1
    .uses_dynamic_stack: false
    .vgpr_count:     86
    .vgpr_spill_count: 0
    .wavefront_size: 64
  - .agpr_count:     0
    .args:
      - .offset:         0
        .size:           4
        .value_kind:     by_value
      - .offset:         4
        .size:           4
        .value_kind:     by_value
      - .offset:         8
        .size:           16
        .value_kind:     by_value
      - .actual_access:  read_only
        .address_space:  global
        .offset:         24
        .size:           8
        .value_kind:     global_buffer
      - .actual_access:  read_only
        .address_space:  global
        .offset:         32
        .size:           8
        .value_kind:     global_buffer
      - .actual_access:  read_only
        .address_space:  global
        .offset:         40
        .size:           8
        .value_kind:     global_buffer
      - .actual_access:  read_only
        .address_space:  global
        .offset:         48
        .size:           8
        .value_kind:     global_buffer
      - .offset:         56
        .size:           16
        .value_kind:     by_value
      - .address_space:  global
        .offset:         72
        .size:           8
        .value_kind:     global_buffer
      - .offset:         80
        .size:           4
        .value_kind:     by_value
      - .offset:         84
        .size:           1
        .value_kind:     by_value
    .group_segment_fixed_size: 2048
    .kernarg_segment_align: 8
    .kernarg_segment_size: 88
    .language:       OpenCL C
    .language_version:
      - 2
      - 0
    .max_flat_workgroup_size: 128
    .name:           _ZN9rocsparseL19gebsrmvn_2xn_kernelILj128ELj16ELj32E21rocsparse_complex_numIdEEEvi20rocsparse_direction_NS_24const_host_device_scalarIT2_EEPKiS8_PKS5_SA_S6_PS5_21rocsparse_index_base_b
    .private_segment_fixed_size: 0
    .sgpr_count:     30
    .sgpr_spill_count: 0
    .symbol:         _ZN9rocsparseL19gebsrmvn_2xn_kernelILj128ELj16ELj32E21rocsparse_complex_numIdEEEvi20rocsparse_direction_NS_24const_host_device_scalarIT2_EEPKiS8_PKS5_SA_S6_PS5_21rocsparse_index_base_b.kd
    .uniform_work_group_size: 1
    .uses_dynamic_stack: false
    .vgpr_count:     86
    .vgpr_spill_count: 0
    .wavefront_size: 64
  - .agpr_count:     0
    .args:
      - .offset:         0
        .size:           4
        .value_kind:     by_value
      - .offset:         4
        .size:           4
        .value_kind:     by_value
      - .offset:         8
        .size:           16
        .value_kind:     by_value
      - .actual_access:  read_only
        .address_space:  global
        .offset:         24
        .size:           8
        .value_kind:     global_buffer
      - .actual_access:  read_only
        .address_space:  global
        .offset:         32
        .size:           8
        .value_kind:     global_buffer
      - .actual_access:  read_only
        .address_space:  global
        .offset:         40
        .size:           8
        .value_kind:     global_buffer
      - .actual_access:  read_only
        .address_space:  global
        .offset:         48
        .size:           8
        .value_kind:     global_buffer
      - .offset:         56
        .size:           16
        .value_kind:     by_value
      - .address_space:  global
        .offset:         72
        .size:           8
        .value_kind:     global_buffer
      - .offset:         80
        .size:           4
        .value_kind:     by_value
      - .offset:         84
        .size:           1
        .value_kind:     by_value
    .group_segment_fixed_size: 2048
    .kernarg_segment_align: 8
    .kernarg_segment_size: 88
    .language:       OpenCL C
    .language_version:
      - 2
      - 0
    .max_flat_workgroup_size: 128
    .name:           _ZN9rocsparseL19gebsrmvn_2xn_kernelILj128ELj16ELj64E21rocsparse_complex_numIdEEEvi20rocsparse_direction_NS_24const_host_device_scalarIT2_EEPKiS8_PKS5_SA_S6_PS5_21rocsparse_index_base_b
    .private_segment_fixed_size: 0
    .sgpr_count:     30
    .sgpr_spill_count: 0
    .symbol:         _ZN9rocsparseL19gebsrmvn_2xn_kernelILj128ELj16ELj64E21rocsparse_complex_numIdEEEvi20rocsparse_direction_NS_24const_host_device_scalarIT2_EEPKiS8_PKS5_SA_S6_PS5_21rocsparse_index_base_b.kd
    .uniform_work_group_size: 1
    .uses_dynamic_stack: false
    .vgpr_count:     86
    .vgpr_spill_count: 0
    .wavefront_size: 64
  - .agpr_count:     0
    .args:
      - .offset:         0
        .size:           4
        .value_kind:     by_value
      - .offset:         4
        .size:           4
        .value_kind:     by_value
      - .offset:         8
        .size:           16
        .value_kind:     by_value
      - .actual_access:  read_only
        .address_space:  global
        .offset:         24
        .size:           8
        .value_kind:     global_buffer
      - .actual_access:  read_only
        .address_space:  global
        .offset:         32
        .size:           8
        .value_kind:     global_buffer
      - .actual_access:  read_only
        .address_space:  global
        .offset:         40
        .size:           8
        .value_kind:     global_buffer
      - .offset:         48
        .size:           4
        .value_kind:     by_value
      - .offset:         52
        .size:           4
        .value_kind:     by_value
      - .actual_access:  read_only
        .address_space:  global
        .offset:         56
        .size:           8
        .value_kind:     global_buffer
      - .offset:         64
        .size:           16
        .value_kind:     by_value
      - .address_space:  global
        .offset:         80
        .size:           8
        .value_kind:     global_buffer
      - .offset:         88
        .size:           4
        .value_kind:     by_value
      - .offset:         92
        .size:           1
        .value_kind:     by_value
    .group_segment_fixed_size: 512
    .kernarg_segment_align: 8
    .kernarg_segment_size: 96
    .language:       OpenCL C
    .language_version:
      - 2
      - 0
    .max_flat_workgroup_size: 32
    .name:           _ZN9rocsparseL23gebsrmvn_general_kernelILj32ELj32E21rocsparse_complex_numIdEEEvi20rocsparse_direction_NS_24const_host_device_scalarIT1_EEPKiS8_PKS5_iiSA_S6_PS5_21rocsparse_index_base_b
    .private_segment_fixed_size: 0
    .sgpr_count:     43
    .sgpr_spill_count: 0
    .symbol:         _ZN9rocsparseL23gebsrmvn_general_kernelILj32ELj32E21rocsparse_complex_numIdEEEvi20rocsparse_direction_NS_24const_host_device_scalarIT1_EEPKiS8_PKS5_iiSA_S6_PS5_21rocsparse_index_base_b.kd
    .uniform_work_group_size: 1
    .uses_dynamic_stack: false
    .vgpr_count:     28
    .vgpr_spill_count: 0
    .wavefront_size: 64
amdhsa.target:   amdgcn-amd-amdhsa--gfx942
amdhsa.version:
  - 1
  - 2
...

	.end_amdgpu_metadata
